;; amdgpu-corpus repo=ROCm/rocBLAS kind=compiled arch=gfx1030 opt=O3
	.amdgcn_target "amdgcn-amd-amdhsa--gfx1030"
	.amdhsa_code_object_version 6
	.section	.text._ZL29rocblas_internal_gemmt_kernelIiLi16ELi32ELi8ELc78ELc78ELc85ELb0ELb0EfPKfS1_PfEviT_T9_T10_S3_lS5_S3_lS4_T11_S3_li,"axG",@progbits,_ZL29rocblas_internal_gemmt_kernelIiLi16ELi32ELi8ELc78ELc78ELc85ELb0ELb0EfPKfS1_PfEviT_T9_T10_S3_lS5_S3_lS4_T11_S3_li,comdat
	.globl	_ZL29rocblas_internal_gemmt_kernelIiLi16ELi32ELi8ELc78ELc78ELc85ELb0ELb0EfPKfS1_PfEviT_T9_T10_S3_lS5_S3_lS4_T11_S3_li ; -- Begin function _ZL29rocblas_internal_gemmt_kernelIiLi16ELi32ELi8ELc78ELc78ELc85ELb0ELb0EfPKfS1_PfEviT_T9_T10_S3_lS5_S3_lS4_T11_S3_li
	.p2align	8
	.type	_ZL29rocblas_internal_gemmt_kernelIiLi16ELi32ELi8ELc78ELc78ELc85ELb0ELb0EfPKfS1_PfEviT_T9_T10_S3_lS5_S3_lS4_T11_S3_li,@function
_ZL29rocblas_internal_gemmt_kernelIiLi16ELi32ELi8ELc78ELc78ELc85ELb0ELb0EfPKfS1_PfEviT_T9_T10_S3_lS5_S3_lS4_T11_S3_li: ; @_ZL29rocblas_internal_gemmt_kernelIiLi16ELi32ELi8ELc78ELc78ELc85ELb0ELb0EfPKfS1_PfEviT_T9_T10_S3_lS5_S3_lS4_T11_S3_li
; %bb.0:
	s_clause 0x1
	s_load_dwordx4 s[12:15], s[4:5], 0x38
	s_load_dwordx4 s[0:3], s[4:5], 0x8
	s_waitcnt lgkmcnt(0)
	s_load_dword s9, s[14:15], 0x0
	s_load_dwordx2 s[10:11], s[4:5], 0x0
	s_load_dword s20, s[0:1], 0x0
	s_waitcnt lgkmcnt(0)
	v_cmp_neq_f32_e64 s0, s9, 1.0
	s_and_b32 vcc_lo, exec_lo, s0
	s_cbranch_vccnz .LBB0_2
; %bb.1:
	v_cmp_neq_f32_e64 s0, s20, 0
	s_cmp_lg_u32 s11, 0
	s_cselect_b32 s1, -1, 0
	s_and_b32 s0, s1, s0
.LBB0_2:
	s_andn2_b32 vcc_lo, exec_lo, s0
	s_cbranch_vccnz .LBB0_26
; %bb.3:
	s_load_dwordx2 s[14:15], s[4:5], 0x48
	s_lshl_b32 s21, s6, 5
	s_lshl_b32 s22, s7, 5
	v_cmp_eq_f32_e64 s0, s20, 0
	s_cmp_lt_i32 s11, 1
	v_mov_b32_e32 v13, 0
	s_cselect_b32 s1, -1, 0
	v_mov_b32_e32 v8, 0
	v_mov_b32_e32 v7, 0
	;; [unrolled: 1-line block ×3, first 2 shown]
	s_or_b32 s0, s0, s1
	s_mov_b32 s23, 0
	s_and_b32 vcc_lo, exec_lo, s0
	s_cbranch_vccnz .LBB0_10
; %bb.4:
	s_load_dword s6, s[4:5], 0x18
	v_lshl_add_u32 v2, v1, 4, v0
	s_clause 0x1
	s_load_dwordx4 s[16:19], s[4:5], 0x20
	s_load_dword s1, s[4:5], 0x30
	v_and_b32_e32 v9, 7, v0
	v_lshlrev_b32_e32 v10, 2, v0
	v_lshl_add_u32 v11, v1, 5, 0x400
	v_and_b32_e32 v3, 31, v2
	v_lshrrev_b32_e32 v4, 3, v2
	v_lshlrev_b32_e32 v8, 2, v9
	v_lshrrev_b32_e32 v12, 5, v2
	v_or_b32_e32 v5, s21, v3
	v_add_nc_u32_e32 v6, s22, v4
	v_lshl_or_b32 v13, v4, 5, v8
	v_lshlrev_b32_e32 v7, 2, v3
	v_add_nc_u32_e32 v2, s21, v3
	v_cmp_gt_i32_e32 vcc_lo, s10, v5
	v_cmp_gt_i32_e64 s0, s10, v6
	v_add_nc_u32_e32 v15, 0x400, v13
	v_lshl_or_b32 v14, v12, 7, v7
	s_waitcnt lgkmcnt(0)
	v_mad_i64_i32 v[4:5], null, v12, s6, 0
	s_mul_i32 s7, s17, s8
	s_mul_hi_u32 s17, s16, s8
	v_mad_i64_i32 v[6:7], null, s1, v6, 0
	v_ashrrev_i32_e32 v3, 31, v2
	s_mul_i32 s16, s16, s8
	v_lshlrev_b64 v[4:5], 2, v[4:5]
	s_add_i32 s17, s17, s7
	s_mul_hi_u32 s7, s12, s8
	s_lshl_b64 s[16:17], s[16:17], 2
	v_lshlrev_b64 v[2:3], 2, v[2:3]
	s_mul_i32 s12, s12, s8
	v_add_co_u32 v13, s1, v4, s16
	v_add_co_ci_u32_e64 v16, null, s17, v5, s1
	s_mul_i32 s1, s13, s8
	v_lshlrev_b64 v[4:5], 2, v[6:7]
	s_add_i32 s13, s7, s1
	v_add_co_u32 v2, s1, v13, v2
	s_lshl_b64 s[12:13], s[12:13], 2
	v_add_co_ci_u32_e64 v3, null, v16, v3, s1
	v_add_co_u32 v4, s1, v4, s12
	v_add_co_ci_u32_e64 v5, null, s13, v5, s1
	v_add_co_u32 v2, s1, s2, v2
	;; [unrolled: 2-line block ×3, first 2 shown]
	v_add_co_ci_u32_e64 v5, null, 0, v5, s1
	v_mov_b32_e32 v6, 0
	v_add_co_u32 v4, s1, s18, v4
	v_add_co_ci_u32_e64 v5, null, s19, v5, s1
	v_mov_b32_e32 v7, 0
	v_mov_b32_e32 v8, 0
	;; [unrolled: 1-line block ×3, first 2 shown]
	s_ashr_i32 s7, s6, 31
	s_lshl_b64 s[2:3], s[6:7], 5
	s_branch .LBB0_6
.LBB0_5:                                ;   in Loop: Header=BB0_6 Depth=1
	s_or_b32 exec_lo, exec_lo, s1
	s_waitcnt vmcnt(0)
	ds_write_b32 v15, v17
	s_waitcnt lgkmcnt(0)
	s_barrier
	buffer_gl0_inv
	ds_read_b128 v[16:19], v11
	ds_read2_b32 v[32:33], v10 offset1:16
	ds_read_b128 v[20:23], v11 offset:512
	ds_read2_b32 v[34:35], v10 offset0:32 offset1:48
	ds_read2_b32 v[36:37], v10 offset0:64 offset1:80
	;; [unrolled: 1-line block ×3, first 2 shown]
	ds_read_b128 v[24:27], v11 offset:16
	ds_read2_b32 v[40:41], v10 offset0:128 offset1:144
	ds_read_b128 v[28:31], v11 offset:528
	v_add_co_u32 v2, s1, v2, s2
	v_add_co_ci_u32_e64 v3, null, s3, v3, s1
	v_add_co_u32 v4, s1, v4, 32
	v_add_co_ci_u32_e64 v5, null, 0, v5, s1
	s_add_i32 s23, s23, 8
	s_cmp_lt_i32 s23, s11
	s_waitcnt lgkmcnt(7)
	v_fmac_f32_e32 v13, v32, v16
	v_fmac_f32_e32 v8, v33, v16
	s_waitcnt lgkmcnt(6)
	v_fmac_f32_e32 v7, v32, v20
	v_fmac_f32_e32 v6, v33, v20
	ds_read2_b32 v[32:33], v10 offset0:160 offset1:176
	s_waitcnt lgkmcnt(6)
	v_fmac_f32_e32 v13, v34, v17
	v_fmac_f32_e32 v8, v35, v17
	v_fmac_f32_e32 v7, v34, v21
	v_fmac_f32_e32 v6, v35, v21
	ds_read2_b32 v[16:17], v10 offset0:192 offset1:208
	s_waitcnt lgkmcnt(6)
	v_fmac_f32_e32 v13, v36, v18
	v_fmac_f32_e32 v8, v37, v18
	;; [unrolled: 6-line block ×3, first 2 shown]
	v_fmac_f32_e32 v7, v38, v23
	v_fmac_f32_e32 v6, v39, v23
	s_waitcnt lgkmcnt(0)
	v_fmac_f32_e32 v13, v40, v24
	v_fmac_f32_e32 v8, v41, v24
	;; [unrolled: 1-line block ×4, first 2 shown]
	s_barrier
	v_fmac_f32_e32 v13, v32, v25
	v_fmac_f32_e32 v8, v33, v25
	;; [unrolled: 1-line block ×4, first 2 shown]
	buffer_gl0_inv
	v_fmac_f32_e32 v13, v16, v26
	v_fmac_f32_e32 v8, v17, v26
	;; [unrolled: 1-line block ×8, first 2 shown]
	s_cbranch_scc0 .LBB0_10
.LBB0_6:                                ; =>This Inner Loop Header: Depth=1
	v_add_nc_u32_e32 v16, s23, v12
	v_cmp_gt_i32_e64 s1, s11, v16
	v_mov_b32_e32 v16, 0
	s_and_b32 s6, vcc_lo, s1
	s_and_saveexec_b32 s1, s6
	s_cbranch_execz .LBB0_8
; %bb.7:                                ;   in Loop: Header=BB0_6 Depth=1
	global_load_dword v16, v[2:3], off
.LBB0_8:                                ;   in Loop: Header=BB0_6 Depth=1
	s_or_b32 exec_lo, exec_lo, s1
	v_add_nc_u32_e32 v17, s23, v9
	s_waitcnt vmcnt(0)
	ds_write_b32 v14, v16
	v_cmp_gt_i32_e64 s1, s11, v17
	v_mov_b32_e32 v17, 0
	s_and_b32 s6, s1, s0
	s_and_saveexec_b32 s1, s6
	s_cbranch_execz .LBB0_5
; %bb.9:                                ;   in Loop: Header=BB0_6 Depth=1
	global_load_dword v17, v[4:5], off
	s_branch .LBB0_5
.LBB0_10:
	s_clause 0x1
	s_load_dword s2, s[4:5], 0x50
	s_load_dwordx2 s[4:5], s[4:5], 0x58
	v_add_nc_u32_e32 v10, s22, v1
	v_add_nc_u32_e32 v0, s21, v0
	v_cmp_gt_i32_e64 s0, s10, v10
	v_cmp_le_i32_e32 vcc_lo, v0, v10
	s_waitcnt lgkmcnt(0)
	v_mad_i64_i32 v[1:2], null, v10, s2, 0
	s_mul_i32 s1, s5, s8
	s_mul_hi_u32 s3, s4, s8
	s_mul_i32 s4, s4, s8
	s_add_i32 s5, s3, s1
	s_lshl_b64 s[4:5], s[4:5], 2
	v_lshlrev_b64 v[2:3], 2, v[1:2]
	s_add_u32 s3, s14, s4
	s_addc_u32 s4, s15, s5
	v_cmp_neq_f32_e64 s5, s9, 0
	v_ashrrev_i32_e32 v1, 31, v0
	s_and_b32 s6, s0, vcc_lo
	v_add_co_u32 v4, s1, s3, v2
	v_add_co_ci_u32_e64 v5, null, s4, v3, s1
	v_cndmask_b32_e64 v9, 0, 1, s5
	s_and_saveexec_b32 s1, s6
	s_cbranch_execz .LBB0_14
; %bb.11:
	v_lshlrev_b64 v[2:3], 2, v[0:1]
	v_mul_f32_e32 v11, s20, v13
	v_add_co_u32 v2, vcc_lo, v4, v2
	v_add_co_ci_u32_e64 v3, null, v5, v3, vcc_lo
	s_andn2_b32 vcc_lo, exec_lo, s5
	s_cbranch_vccnz .LBB0_13
; %bb.12:
	global_load_dword v12, v[2:3], off
	s_waitcnt vmcnt(0)
	v_fmac_f32_e32 v11, s9, v12
.LBB0_13:
	global_store_dword v[2:3], v11, off
.LBB0_14:
	s_or_b32 exec_lo, exec_lo, s1
	v_add_nc_u32_e32 v2, 16, v0
	v_cmp_le_i32_e32 vcc_lo, v2, v10
	v_ashrrev_i32_e32 v3, 31, v2
	s_and_b32 s0, s0, vcc_lo
	s_and_saveexec_b32 s1, s0
	s_cbranch_execz .LBB0_18
; %bb.15:
	v_lshlrev_b64 v[11:12], 2, v[2:3]
	v_cmp_ne_u32_e32 vcc_lo, 1, v9
	v_mul_f32_e32 v8, s20, v8
	v_add_co_u32 v4, s0, v4, v11
	v_add_co_ci_u32_e64 v5, null, v5, v12, s0
	s_cbranch_vccnz .LBB0_17
; %bb.16:
	global_load_dword v11, v[4:5], off
	s_waitcnt vmcnt(0)
	v_fmac_f32_e32 v8, s9, v11
.LBB0_17:
	global_store_dword v[4:5], v8, off
.LBB0_18:
	s_or_b32 exec_lo, exec_lo, s1
	v_add_nc_u32_e32 v8, 16, v10
	v_mad_i64_i32 v[4:5], null, v8, s2, 0
	v_cmp_gt_i32_e64 s0, s10, v8
	v_cmp_le_i32_e32 vcc_lo, v0, v8
	v_lshlrev_b64 v[4:5], 2, v[4:5]
	v_add_co_u32 v4, s1, s3, v4
	v_add_co_ci_u32_e64 v5, null, s4, v5, s1
	s_and_b32 s1, s0, vcc_lo
	s_and_saveexec_b32 s2, s1
	s_cbranch_execz .LBB0_22
; %bb.19:
	v_lshlrev_b64 v[0:1], 2, v[0:1]
	v_cmp_ne_u32_e32 vcc_lo, 1, v9
	v_mul_f32_e32 v7, s20, v7
	v_add_co_u32 v0, s1, v4, v0
	v_add_co_ci_u32_e64 v1, null, v5, v1, s1
	s_cbranch_vccnz .LBB0_21
; %bb.20:
	global_load_dword v10, v[0:1], off
	s_waitcnt vmcnt(0)
	v_fmac_f32_e32 v7, s9, v10
.LBB0_21:
	global_store_dword v[0:1], v7, off
.LBB0_22:
	s_or_b32 exec_lo, exec_lo, s2
	v_cmp_le_i32_e32 vcc_lo, v2, v8
	s_and_b32 s0, s0, vcc_lo
	s_and_saveexec_b32 s1, s0
	s_cbranch_execz .LBB0_26
; %bb.23:
	v_lshlrev_b64 v[0:1], 2, v[2:3]
	v_cmp_ne_u32_e32 vcc_lo, 1, v9
	v_mul_f32_e32 v2, s20, v6
	v_add_co_u32 v0, s0, v4, v0
	v_add_co_ci_u32_e64 v1, null, v5, v1, s0
	s_cbranch_vccnz .LBB0_25
; %bb.24:
	global_load_dword v3, v[0:1], off
	s_waitcnt vmcnt(0)
	v_fmac_f32_e32 v2, s9, v3
.LBB0_25:
	global_store_dword v[0:1], v2, off
.LBB0_26:
	s_endpgm
	.section	.rodata,"a",@progbits
	.p2align	6, 0x0
	.amdhsa_kernel _ZL29rocblas_internal_gemmt_kernelIiLi16ELi32ELi8ELc78ELc78ELc85ELb0ELb0EfPKfS1_PfEviT_T9_T10_S3_lS5_S3_lS4_T11_S3_li
		.amdhsa_group_segment_fixed_size 2048
		.amdhsa_private_segment_fixed_size 0
		.amdhsa_kernarg_size 100
		.amdhsa_user_sgpr_count 6
		.amdhsa_user_sgpr_private_segment_buffer 1
		.amdhsa_user_sgpr_dispatch_ptr 0
		.amdhsa_user_sgpr_queue_ptr 0
		.amdhsa_user_sgpr_kernarg_segment_ptr 1
		.amdhsa_user_sgpr_dispatch_id 0
		.amdhsa_user_sgpr_flat_scratch_init 0
		.amdhsa_user_sgpr_private_segment_size 0
		.amdhsa_wavefront_size32 1
		.amdhsa_uses_dynamic_stack 0
		.amdhsa_system_sgpr_private_segment_wavefront_offset 0
		.amdhsa_system_sgpr_workgroup_id_x 1
		.amdhsa_system_sgpr_workgroup_id_y 1
		.amdhsa_system_sgpr_workgroup_id_z 1
		.amdhsa_system_sgpr_workgroup_info 0
		.amdhsa_system_vgpr_workitem_id 1
		.amdhsa_next_free_vgpr 42
		.amdhsa_next_free_sgpr 24
		.amdhsa_reserve_vcc 1
		.amdhsa_reserve_flat_scratch 0
		.amdhsa_float_round_mode_32 0
		.amdhsa_float_round_mode_16_64 0
		.amdhsa_float_denorm_mode_32 3
		.amdhsa_float_denorm_mode_16_64 3
		.amdhsa_dx10_clamp 1
		.amdhsa_ieee_mode 1
		.amdhsa_fp16_overflow 0
		.amdhsa_workgroup_processor_mode 1
		.amdhsa_memory_ordered 1
		.amdhsa_forward_progress 1
		.amdhsa_shared_vgpr_count 0
		.amdhsa_exception_fp_ieee_invalid_op 0
		.amdhsa_exception_fp_denorm_src 0
		.amdhsa_exception_fp_ieee_div_zero 0
		.amdhsa_exception_fp_ieee_overflow 0
		.amdhsa_exception_fp_ieee_underflow 0
		.amdhsa_exception_fp_ieee_inexact 0
		.amdhsa_exception_int_div_zero 0
	.end_amdhsa_kernel
	.section	.text._ZL29rocblas_internal_gemmt_kernelIiLi16ELi32ELi8ELc78ELc78ELc85ELb0ELb0EfPKfS1_PfEviT_T9_T10_S3_lS5_S3_lS4_T11_S3_li,"axG",@progbits,_ZL29rocblas_internal_gemmt_kernelIiLi16ELi32ELi8ELc78ELc78ELc85ELb0ELb0EfPKfS1_PfEviT_T9_T10_S3_lS5_S3_lS4_T11_S3_li,comdat
.Lfunc_end0:
	.size	_ZL29rocblas_internal_gemmt_kernelIiLi16ELi32ELi8ELc78ELc78ELc85ELb0ELb0EfPKfS1_PfEviT_T9_T10_S3_lS5_S3_lS4_T11_S3_li, .Lfunc_end0-_ZL29rocblas_internal_gemmt_kernelIiLi16ELi32ELi8ELc78ELc78ELc85ELb0ELb0EfPKfS1_PfEviT_T9_T10_S3_lS5_S3_lS4_T11_S3_li
                                        ; -- End function
	.set _ZL29rocblas_internal_gemmt_kernelIiLi16ELi32ELi8ELc78ELc78ELc85ELb0ELb0EfPKfS1_PfEviT_T9_T10_S3_lS5_S3_lS4_T11_S3_li.num_vgpr, 42
	.set _ZL29rocblas_internal_gemmt_kernelIiLi16ELi32ELi8ELc78ELc78ELc85ELb0ELb0EfPKfS1_PfEviT_T9_T10_S3_lS5_S3_lS4_T11_S3_li.num_agpr, 0
	.set _ZL29rocblas_internal_gemmt_kernelIiLi16ELi32ELi8ELc78ELc78ELc85ELb0ELb0EfPKfS1_PfEviT_T9_T10_S3_lS5_S3_lS4_T11_S3_li.numbered_sgpr, 24
	.set _ZL29rocblas_internal_gemmt_kernelIiLi16ELi32ELi8ELc78ELc78ELc85ELb0ELb0EfPKfS1_PfEviT_T9_T10_S3_lS5_S3_lS4_T11_S3_li.num_named_barrier, 0
	.set _ZL29rocblas_internal_gemmt_kernelIiLi16ELi32ELi8ELc78ELc78ELc85ELb0ELb0EfPKfS1_PfEviT_T9_T10_S3_lS5_S3_lS4_T11_S3_li.private_seg_size, 0
	.set _ZL29rocblas_internal_gemmt_kernelIiLi16ELi32ELi8ELc78ELc78ELc85ELb0ELb0EfPKfS1_PfEviT_T9_T10_S3_lS5_S3_lS4_T11_S3_li.uses_vcc, 1
	.set _ZL29rocblas_internal_gemmt_kernelIiLi16ELi32ELi8ELc78ELc78ELc85ELb0ELb0EfPKfS1_PfEviT_T9_T10_S3_lS5_S3_lS4_T11_S3_li.uses_flat_scratch, 0
	.set _ZL29rocblas_internal_gemmt_kernelIiLi16ELi32ELi8ELc78ELc78ELc85ELb0ELb0EfPKfS1_PfEviT_T9_T10_S3_lS5_S3_lS4_T11_S3_li.has_dyn_sized_stack, 0
	.set _ZL29rocblas_internal_gemmt_kernelIiLi16ELi32ELi8ELc78ELc78ELc85ELb0ELb0EfPKfS1_PfEviT_T9_T10_S3_lS5_S3_lS4_T11_S3_li.has_recursion, 0
	.set _ZL29rocblas_internal_gemmt_kernelIiLi16ELi32ELi8ELc78ELc78ELc85ELb0ELb0EfPKfS1_PfEviT_T9_T10_S3_lS5_S3_lS4_T11_S3_li.has_indirect_call, 0
	.section	.AMDGPU.csdata,"",@progbits
; Kernel info:
; codeLenInByte = 1416
; TotalNumSgprs: 26
; NumVgprs: 42
; ScratchSize: 0
; MemoryBound: 0
; FloatMode: 240
; IeeeMode: 1
; LDSByteSize: 2048 bytes/workgroup (compile time only)
; SGPRBlocks: 0
; VGPRBlocks: 5
; NumSGPRsForWavesPerEU: 26
; NumVGPRsForWavesPerEU: 42
; Occupancy: 16
; WaveLimiterHint : 0
; COMPUTE_PGM_RSRC2:SCRATCH_EN: 0
; COMPUTE_PGM_RSRC2:USER_SGPR: 6
; COMPUTE_PGM_RSRC2:TRAP_HANDLER: 0
; COMPUTE_PGM_RSRC2:TGID_X_EN: 1
; COMPUTE_PGM_RSRC2:TGID_Y_EN: 1
; COMPUTE_PGM_RSRC2:TGID_Z_EN: 1
; COMPUTE_PGM_RSRC2:TIDIG_COMP_CNT: 1
	.section	.text._ZL29rocblas_internal_gemmt_kernelIiLi16ELi32ELi8ELc78ELc84ELc85ELb0ELb0EfPKfS1_PfEviT_T9_T10_S3_lS5_S3_lS4_T11_S3_li,"axG",@progbits,_ZL29rocblas_internal_gemmt_kernelIiLi16ELi32ELi8ELc78ELc84ELc85ELb0ELb0EfPKfS1_PfEviT_T9_T10_S3_lS5_S3_lS4_T11_S3_li,comdat
	.globl	_ZL29rocblas_internal_gemmt_kernelIiLi16ELi32ELi8ELc78ELc84ELc85ELb0ELb0EfPKfS1_PfEviT_T9_T10_S3_lS5_S3_lS4_T11_S3_li ; -- Begin function _ZL29rocblas_internal_gemmt_kernelIiLi16ELi32ELi8ELc78ELc84ELc85ELb0ELb0EfPKfS1_PfEviT_T9_T10_S3_lS5_S3_lS4_T11_S3_li
	.p2align	8
	.type	_ZL29rocblas_internal_gemmt_kernelIiLi16ELi32ELi8ELc78ELc84ELc85ELb0ELb0EfPKfS1_PfEviT_T9_T10_S3_lS5_S3_lS4_T11_S3_li,@function
_ZL29rocblas_internal_gemmt_kernelIiLi16ELi32ELi8ELc78ELc84ELc85ELb0ELb0EfPKfS1_PfEviT_T9_T10_S3_lS5_S3_lS4_T11_S3_li: ; @_ZL29rocblas_internal_gemmt_kernelIiLi16ELi32ELi8ELc78ELc84ELc85ELb0ELb0EfPKfS1_PfEviT_T9_T10_S3_lS5_S3_lS4_T11_S3_li
; %bb.0:
	s_clause 0x1
	s_load_dwordx4 s[12:15], s[4:5], 0x38
	s_load_dwordx4 s[0:3], s[4:5], 0x8
	s_waitcnt lgkmcnt(0)
	s_load_dword s9, s[14:15], 0x0
	s_load_dwordx2 s[10:11], s[4:5], 0x0
	s_load_dword s22, s[0:1], 0x0
	s_waitcnt lgkmcnt(0)
	v_cmp_neq_f32_e64 s0, s9, 1.0
	s_and_b32 vcc_lo, exec_lo, s0
	s_cbranch_vccnz .LBB1_2
; %bb.1:
	v_cmp_neq_f32_e64 s0, s22, 0
	s_cmp_lg_u32 s11, 0
	s_cselect_b32 s1, -1, 0
	s_and_b32 s0, s1, s0
.LBB1_2:
	s_andn2_b32 vcc_lo, exec_lo, s0
	s_cbranch_vccnz .LBB1_26
; %bb.3:
	s_load_dwordx2 s[14:15], s[4:5], 0x48
	s_lshl_b32 s23, s6, 5
	s_lshl_b32 s24, s7, 5
	v_cmp_eq_f32_e64 s0, s22, 0
	s_cmp_lt_i32 s11, 1
	v_mov_b32_e32 v13, 0
	s_cselect_b32 s1, -1, 0
	v_mov_b32_e32 v8, 0
	v_mov_b32_e32 v7, 0
	;; [unrolled: 1-line block ×3, first 2 shown]
	s_or_b32 s0, s0, s1
	s_mov_b32 s25, 0
	s_and_b32 vcc_lo, exec_lo, s0
	s_cbranch_vccnz .LBB1_10
; %bb.4:
	s_load_dword s6, s[4:5], 0x18
	v_lshl_add_u32 v2, v1, 4, v0
	s_clause 0x1
	s_load_dwordx4 s[16:19], s[4:5], 0x20
	s_load_dword s20, s[4:5], 0x30
	v_and_b32_e32 v9, 7, v0
	v_lshlrev_b32_e32 v10, 2, v0
	v_lshl_add_u32 v11, v1, 5, 0x400
	v_and_b32_e32 v3, 31, v2
	v_lshrrev_b32_e32 v4, 3, v2
	v_lshlrev_b32_e32 v5, 2, v9
	v_lshrrev_b32_e32 v12, 5, v2
	v_or_b32_e32 v6, s23, v3
	v_lshlrev_b32_e32 v7, 2, v3
	v_lshl_or_b32 v8, v4, 5, v5
	v_add_nc_u32_e32 v2, s24, v4
	v_add_nc_u32_e32 v4, s23, v3
	v_cmp_gt_i32_e32 vcc_lo, s10, v6
	v_lshl_or_b32 v14, v12, 7, v7
	v_add_nc_u32_e32 v15, 0x400, v8
	v_ashrrev_i32_e32 v3, 31, v2
	s_waitcnt lgkmcnt(0)
	v_mad_i64_i32 v[5:6], null, v12, s6, 0
	s_mul_i32 s1, s17, s8
	s_mul_hi_u32 s17, s16, s8
	v_mad_i64_i32 v[7:8], null, s20, v9, 0
	s_mul_i32 s16, s16, s8
	s_add_i32 s17, s17, s1
	v_lshlrev_b64 v[5:6], 2, v[5:6]
	s_lshl_b64 s[16:17], s[16:17], 2
	v_cmp_gt_i32_e64 s0, s10, v2
	v_lshlrev_b64 v[2:3], 2, v[2:3]
	s_ashr_i32 s7, s6, 31
	s_ashr_i32 s21, s20, 31
	v_add_co_u32 v13, s1, v5, s16
	v_ashrrev_i32_e32 v5, 31, v4
	v_add_co_ci_u32_e64 v16, null, s17, v6, s1
	s_mul_i32 s1, s13, s8
	s_mul_hi_u32 s13, s12, s8
	v_lshlrev_b64 v[6:7], 2, v[7:8]
	s_add_i32 s13, s13, s1
	s_mul_i32 s12, s12, s8
	v_lshlrev_b64 v[4:5], 2, v[4:5]
	s_lshl_b64 s[12:13], s[12:13], 2
	v_mov_b32_e32 v8, 0
	v_add_co_u32 v6, s1, s12, v6
	v_add_co_ci_u32_e64 v7, null, s13, v7, s1
	v_add_co_u32 v4, s1, v13, v4
	v_add_co_ci_u32_e64 v5, null, v16, v5, s1
	;; [unrolled: 2-line block ×5, first 2 shown]
	v_mov_b32_e32 v6, 0
	v_mov_b32_e32 v7, 0
	;; [unrolled: 1-line block ×3, first 2 shown]
	s_lshl_b64 s[2:3], s[6:7], 5
	s_lshl_b64 s[6:7], s[20:21], 5
	s_branch .LBB1_6
.LBB1_5:                                ;   in Loop: Header=BB1_6 Depth=1
	s_or_b32 exec_lo, exec_lo, s1
	s_waitcnt vmcnt(0)
	ds_write_b32 v15, v17
	s_waitcnt lgkmcnt(0)
	s_barrier
	buffer_gl0_inv
	ds_read_b128 v[16:19], v11
	ds_read2_b32 v[32:33], v10 offset1:16
	ds_read_b128 v[20:23], v11 offset:512
	ds_read2_b32 v[34:35], v10 offset0:32 offset1:48
	ds_read2_b32 v[36:37], v10 offset0:64 offset1:80
	ds_read2_b32 v[38:39], v10 offset0:96 offset1:112
	ds_read_b128 v[24:27], v11 offset:16
	ds_read2_b32 v[40:41], v10 offset0:128 offset1:144
	ds_read_b128 v[28:31], v11 offset:528
	v_add_co_u32 v2, s1, v2, s2
	v_add_co_ci_u32_e64 v3, null, s3, v3, s1
	v_add_co_u32 v4, s1, v4, s6
	v_add_co_ci_u32_e64 v5, null, s7, v5, s1
	s_add_i32 s25, s25, 8
	s_cmp_lt_i32 s25, s11
	s_waitcnt lgkmcnt(7)
	v_fmac_f32_e32 v13, v32, v16
	v_fmac_f32_e32 v8, v33, v16
	s_waitcnt lgkmcnt(6)
	v_fmac_f32_e32 v7, v32, v20
	v_fmac_f32_e32 v6, v33, v20
	ds_read2_b32 v[32:33], v10 offset0:160 offset1:176
	s_waitcnt lgkmcnt(6)
	v_fmac_f32_e32 v13, v34, v17
	v_fmac_f32_e32 v8, v35, v17
	v_fmac_f32_e32 v7, v34, v21
	v_fmac_f32_e32 v6, v35, v21
	ds_read2_b32 v[16:17], v10 offset0:192 offset1:208
	s_waitcnt lgkmcnt(6)
	v_fmac_f32_e32 v13, v36, v18
	v_fmac_f32_e32 v8, v37, v18
	;; [unrolled: 6-line block ×3, first 2 shown]
	v_fmac_f32_e32 v7, v38, v23
	v_fmac_f32_e32 v6, v39, v23
	s_waitcnt lgkmcnt(0)
	v_fmac_f32_e32 v13, v40, v24
	v_fmac_f32_e32 v8, v41, v24
	;; [unrolled: 1-line block ×4, first 2 shown]
	s_barrier
	v_fmac_f32_e32 v13, v32, v25
	v_fmac_f32_e32 v8, v33, v25
	;; [unrolled: 1-line block ×4, first 2 shown]
	buffer_gl0_inv
	v_fmac_f32_e32 v13, v16, v26
	v_fmac_f32_e32 v8, v17, v26
	v_fmac_f32_e32 v7, v16, v30
	v_fmac_f32_e32 v6, v17, v30
	v_fmac_f32_e32 v13, v20, v27
	v_fmac_f32_e32 v8, v21, v27
	v_fmac_f32_e32 v7, v20, v31
	v_fmac_f32_e32 v6, v21, v31
	s_cbranch_scc0 .LBB1_10
.LBB1_6:                                ; =>This Inner Loop Header: Depth=1
	v_add_nc_u32_e32 v16, s25, v12
	v_cmp_gt_i32_e64 s1, s11, v16
	v_mov_b32_e32 v16, 0
	s_and_b32 s12, vcc_lo, s1
	s_and_saveexec_b32 s1, s12
	s_cbranch_execz .LBB1_8
; %bb.7:                                ;   in Loop: Header=BB1_6 Depth=1
	global_load_dword v16, v[2:3], off
.LBB1_8:                                ;   in Loop: Header=BB1_6 Depth=1
	s_or_b32 exec_lo, exec_lo, s1
	v_add_nc_u32_e32 v17, s25, v9
	s_waitcnt vmcnt(0)
	ds_write_b32 v14, v16
	v_cmp_gt_i32_e64 s1, s11, v17
	v_mov_b32_e32 v17, 0
	s_and_b32 s12, s1, s0
	s_and_saveexec_b32 s1, s12
	s_cbranch_execz .LBB1_5
; %bb.9:                                ;   in Loop: Header=BB1_6 Depth=1
	global_load_dword v17, v[4:5], off
	s_branch .LBB1_5
.LBB1_10:
	s_clause 0x1
	s_load_dword s2, s[4:5], 0x50
	s_load_dwordx2 s[4:5], s[4:5], 0x58
	v_add_nc_u32_e32 v10, s24, v1
	v_add_nc_u32_e32 v0, s23, v0
	v_cmp_gt_i32_e64 s0, s10, v10
	v_cmp_le_i32_e32 vcc_lo, v0, v10
	s_waitcnt lgkmcnt(0)
	v_mad_i64_i32 v[1:2], null, v10, s2, 0
	s_mul_i32 s1, s5, s8
	s_mul_hi_u32 s3, s4, s8
	s_mul_i32 s4, s4, s8
	s_add_i32 s5, s3, s1
	s_lshl_b64 s[4:5], s[4:5], 2
	v_lshlrev_b64 v[2:3], 2, v[1:2]
	s_add_u32 s3, s14, s4
	s_addc_u32 s4, s15, s5
	v_cmp_neq_f32_e64 s5, s9, 0
	v_ashrrev_i32_e32 v1, 31, v0
	s_and_b32 s6, s0, vcc_lo
	v_add_co_u32 v4, s1, s3, v2
	v_add_co_ci_u32_e64 v5, null, s4, v3, s1
	v_cndmask_b32_e64 v9, 0, 1, s5
	s_and_saveexec_b32 s1, s6
	s_cbranch_execz .LBB1_14
; %bb.11:
	v_lshlrev_b64 v[2:3], 2, v[0:1]
	v_mul_f32_e32 v11, s22, v13
	v_add_co_u32 v2, vcc_lo, v4, v2
	v_add_co_ci_u32_e64 v3, null, v5, v3, vcc_lo
	s_andn2_b32 vcc_lo, exec_lo, s5
	s_cbranch_vccnz .LBB1_13
; %bb.12:
	global_load_dword v12, v[2:3], off
	s_waitcnt vmcnt(0)
	v_fmac_f32_e32 v11, s9, v12
.LBB1_13:
	global_store_dword v[2:3], v11, off
.LBB1_14:
	s_or_b32 exec_lo, exec_lo, s1
	v_add_nc_u32_e32 v2, 16, v0
	v_cmp_le_i32_e32 vcc_lo, v2, v10
	v_ashrrev_i32_e32 v3, 31, v2
	s_and_b32 s0, s0, vcc_lo
	s_and_saveexec_b32 s1, s0
	s_cbranch_execz .LBB1_18
; %bb.15:
	v_lshlrev_b64 v[11:12], 2, v[2:3]
	v_cmp_ne_u32_e32 vcc_lo, 1, v9
	v_mul_f32_e32 v8, s22, v8
	v_add_co_u32 v4, s0, v4, v11
	v_add_co_ci_u32_e64 v5, null, v5, v12, s0
	s_cbranch_vccnz .LBB1_17
; %bb.16:
	global_load_dword v11, v[4:5], off
	s_waitcnt vmcnt(0)
	v_fmac_f32_e32 v8, s9, v11
.LBB1_17:
	global_store_dword v[4:5], v8, off
.LBB1_18:
	s_or_b32 exec_lo, exec_lo, s1
	v_add_nc_u32_e32 v8, 16, v10
	v_mad_i64_i32 v[4:5], null, v8, s2, 0
	v_cmp_gt_i32_e64 s0, s10, v8
	v_cmp_le_i32_e32 vcc_lo, v0, v8
	v_lshlrev_b64 v[4:5], 2, v[4:5]
	v_add_co_u32 v4, s1, s3, v4
	v_add_co_ci_u32_e64 v5, null, s4, v5, s1
	s_and_b32 s1, s0, vcc_lo
	s_and_saveexec_b32 s2, s1
	s_cbranch_execz .LBB1_22
; %bb.19:
	v_lshlrev_b64 v[0:1], 2, v[0:1]
	v_cmp_ne_u32_e32 vcc_lo, 1, v9
	v_mul_f32_e32 v7, s22, v7
	v_add_co_u32 v0, s1, v4, v0
	v_add_co_ci_u32_e64 v1, null, v5, v1, s1
	s_cbranch_vccnz .LBB1_21
; %bb.20:
	global_load_dword v10, v[0:1], off
	s_waitcnt vmcnt(0)
	v_fmac_f32_e32 v7, s9, v10
.LBB1_21:
	global_store_dword v[0:1], v7, off
.LBB1_22:
	s_or_b32 exec_lo, exec_lo, s2
	v_cmp_le_i32_e32 vcc_lo, v2, v8
	s_and_b32 s0, s0, vcc_lo
	s_and_saveexec_b32 s1, s0
	s_cbranch_execz .LBB1_26
; %bb.23:
	v_lshlrev_b64 v[0:1], 2, v[2:3]
	v_cmp_ne_u32_e32 vcc_lo, 1, v9
	v_mul_f32_e32 v2, s22, v6
	v_add_co_u32 v0, s0, v4, v0
	v_add_co_ci_u32_e64 v1, null, v5, v1, s0
	s_cbranch_vccnz .LBB1_25
; %bb.24:
	global_load_dword v3, v[0:1], off
	s_waitcnt vmcnt(0)
	v_fmac_f32_e32 v2, s9, v3
.LBB1_25:
	global_store_dword v[0:1], v2, off
.LBB1_26:
	s_endpgm
	.section	.rodata,"a",@progbits
	.p2align	6, 0x0
	.amdhsa_kernel _ZL29rocblas_internal_gemmt_kernelIiLi16ELi32ELi8ELc78ELc84ELc85ELb0ELb0EfPKfS1_PfEviT_T9_T10_S3_lS5_S3_lS4_T11_S3_li
		.amdhsa_group_segment_fixed_size 2048
		.amdhsa_private_segment_fixed_size 0
		.amdhsa_kernarg_size 100
		.amdhsa_user_sgpr_count 6
		.amdhsa_user_sgpr_private_segment_buffer 1
		.amdhsa_user_sgpr_dispatch_ptr 0
		.amdhsa_user_sgpr_queue_ptr 0
		.amdhsa_user_sgpr_kernarg_segment_ptr 1
		.amdhsa_user_sgpr_dispatch_id 0
		.amdhsa_user_sgpr_flat_scratch_init 0
		.amdhsa_user_sgpr_private_segment_size 0
		.amdhsa_wavefront_size32 1
		.amdhsa_uses_dynamic_stack 0
		.amdhsa_system_sgpr_private_segment_wavefront_offset 0
		.amdhsa_system_sgpr_workgroup_id_x 1
		.amdhsa_system_sgpr_workgroup_id_y 1
		.amdhsa_system_sgpr_workgroup_id_z 1
		.amdhsa_system_sgpr_workgroup_info 0
		.amdhsa_system_vgpr_workitem_id 1
		.amdhsa_next_free_vgpr 42
		.amdhsa_next_free_sgpr 26
		.amdhsa_reserve_vcc 1
		.amdhsa_reserve_flat_scratch 0
		.amdhsa_float_round_mode_32 0
		.amdhsa_float_round_mode_16_64 0
		.amdhsa_float_denorm_mode_32 3
		.amdhsa_float_denorm_mode_16_64 3
		.amdhsa_dx10_clamp 1
		.amdhsa_ieee_mode 1
		.amdhsa_fp16_overflow 0
		.amdhsa_workgroup_processor_mode 1
		.amdhsa_memory_ordered 1
		.amdhsa_forward_progress 1
		.amdhsa_shared_vgpr_count 0
		.amdhsa_exception_fp_ieee_invalid_op 0
		.amdhsa_exception_fp_denorm_src 0
		.amdhsa_exception_fp_ieee_div_zero 0
		.amdhsa_exception_fp_ieee_overflow 0
		.amdhsa_exception_fp_ieee_underflow 0
		.amdhsa_exception_fp_ieee_inexact 0
		.amdhsa_exception_int_div_zero 0
	.end_amdhsa_kernel
	.section	.text._ZL29rocblas_internal_gemmt_kernelIiLi16ELi32ELi8ELc78ELc84ELc85ELb0ELb0EfPKfS1_PfEviT_T9_T10_S3_lS5_S3_lS4_T11_S3_li,"axG",@progbits,_ZL29rocblas_internal_gemmt_kernelIiLi16ELi32ELi8ELc78ELc84ELc85ELb0ELb0EfPKfS1_PfEviT_T9_T10_S3_lS5_S3_lS4_T11_S3_li,comdat
.Lfunc_end1:
	.size	_ZL29rocblas_internal_gemmt_kernelIiLi16ELi32ELi8ELc78ELc84ELc85ELb0ELb0EfPKfS1_PfEviT_T9_T10_S3_lS5_S3_lS4_T11_S3_li, .Lfunc_end1-_ZL29rocblas_internal_gemmt_kernelIiLi16ELi32ELi8ELc78ELc84ELc85ELb0ELb0EfPKfS1_PfEviT_T9_T10_S3_lS5_S3_lS4_T11_S3_li
                                        ; -- End function
	.set _ZL29rocblas_internal_gemmt_kernelIiLi16ELi32ELi8ELc78ELc84ELc85ELb0ELb0EfPKfS1_PfEviT_T9_T10_S3_lS5_S3_lS4_T11_S3_li.num_vgpr, 42
	.set _ZL29rocblas_internal_gemmt_kernelIiLi16ELi32ELi8ELc78ELc84ELc85ELb0ELb0EfPKfS1_PfEviT_T9_T10_S3_lS5_S3_lS4_T11_S3_li.num_agpr, 0
	.set _ZL29rocblas_internal_gemmt_kernelIiLi16ELi32ELi8ELc78ELc84ELc85ELb0ELb0EfPKfS1_PfEviT_T9_T10_S3_lS5_S3_lS4_T11_S3_li.numbered_sgpr, 26
	.set _ZL29rocblas_internal_gemmt_kernelIiLi16ELi32ELi8ELc78ELc84ELc85ELb0ELb0EfPKfS1_PfEviT_T9_T10_S3_lS5_S3_lS4_T11_S3_li.num_named_barrier, 0
	.set _ZL29rocblas_internal_gemmt_kernelIiLi16ELi32ELi8ELc78ELc84ELc85ELb0ELb0EfPKfS1_PfEviT_T9_T10_S3_lS5_S3_lS4_T11_S3_li.private_seg_size, 0
	.set _ZL29rocblas_internal_gemmt_kernelIiLi16ELi32ELi8ELc78ELc84ELc85ELb0ELb0EfPKfS1_PfEviT_T9_T10_S3_lS5_S3_lS4_T11_S3_li.uses_vcc, 1
	.set _ZL29rocblas_internal_gemmt_kernelIiLi16ELi32ELi8ELc78ELc84ELc85ELb0ELb0EfPKfS1_PfEviT_T9_T10_S3_lS5_S3_lS4_T11_S3_li.uses_flat_scratch, 0
	.set _ZL29rocblas_internal_gemmt_kernelIiLi16ELi32ELi8ELc78ELc84ELc85ELb0ELb0EfPKfS1_PfEviT_T9_T10_S3_lS5_S3_lS4_T11_S3_li.has_dyn_sized_stack, 0
	.set _ZL29rocblas_internal_gemmt_kernelIiLi16ELi32ELi8ELc78ELc84ELc85ELb0ELb0EfPKfS1_PfEviT_T9_T10_S3_lS5_S3_lS4_T11_S3_li.has_recursion, 0
	.set _ZL29rocblas_internal_gemmt_kernelIiLi16ELi32ELi8ELc78ELc84ELc85ELb0ELb0EfPKfS1_PfEviT_T9_T10_S3_lS5_S3_lS4_T11_S3_li.has_indirect_call, 0
	.section	.AMDGPU.csdata,"",@progbits
; Kernel info:
; codeLenInByte = 1436
; TotalNumSgprs: 28
; NumVgprs: 42
; ScratchSize: 0
; MemoryBound: 0
; FloatMode: 240
; IeeeMode: 1
; LDSByteSize: 2048 bytes/workgroup (compile time only)
; SGPRBlocks: 0
; VGPRBlocks: 5
; NumSGPRsForWavesPerEU: 28
; NumVGPRsForWavesPerEU: 42
; Occupancy: 16
; WaveLimiterHint : 0
; COMPUTE_PGM_RSRC2:SCRATCH_EN: 0
; COMPUTE_PGM_RSRC2:USER_SGPR: 6
; COMPUTE_PGM_RSRC2:TRAP_HANDLER: 0
; COMPUTE_PGM_RSRC2:TGID_X_EN: 1
; COMPUTE_PGM_RSRC2:TGID_Y_EN: 1
; COMPUTE_PGM_RSRC2:TGID_Z_EN: 1
; COMPUTE_PGM_RSRC2:TIDIG_COMP_CNT: 1
	.section	.text._ZL29rocblas_internal_gemmt_kernelIiLi16ELi32ELi8ELc78ELc67ELc85ELb0ELb0EfPKfS1_PfEviT_T9_T10_S3_lS5_S3_lS4_T11_S3_li,"axG",@progbits,_ZL29rocblas_internal_gemmt_kernelIiLi16ELi32ELi8ELc78ELc67ELc85ELb0ELb0EfPKfS1_PfEviT_T9_T10_S3_lS5_S3_lS4_T11_S3_li,comdat
	.globl	_ZL29rocblas_internal_gemmt_kernelIiLi16ELi32ELi8ELc78ELc67ELc85ELb0ELb0EfPKfS1_PfEviT_T9_T10_S3_lS5_S3_lS4_T11_S3_li ; -- Begin function _ZL29rocblas_internal_gemmt_kernelIiLi16ELi32ELi8ELc78ELc67ELc85ELb0ELb0EfPKfS1_PfEviT_T9_T10_S3_lS5_S3_lS4_T11_S3_li
	.p2align	8
	.type	_ZL29rocblas_internal_gemmt_kernelIiLi16ELi32ELi8ELc78ELc67ELc85ELb0ELb0EfPKfS1_PfEviT_T9_T10_S3_lS5_S3_lS4_T11_S3_li,@function
_ZL29rocblas_internal_gemmt_kernelIiLi16ELi32ELi8ELc78ELc67ELc85ELb0ELb0EfPKfS1_PfEviT_T9_T10_S3_lS5_S3_lS4_T11_S3_li: ; @_ZL29rocblas_internal_gemmt_kernelIiLi16ELi32ELi8ELc78ELc67ELc85ELb0ELb0EfPKfS1_PfEviT_T9_T10_S3_lS5_S3_lS4_T11_S3_li
; %bb.0:
	s_clause 0x1
	s_load_dwordx4 s[12:15], s[4:5], 0x38
	s_load_dwordx4 s[0:3], s[4:5], 0x8
	s_waitcnt lgkmcnt(0)
	s_load_dword s9, s[14:15], 0x0
	s_load_dwordx2 s[10:11], s[4:5], 0x0
	s_load_dword s22, s[0:1], 0x0
	s_waitcnt lgkmcnt(0)
	v_cmp_neq_f32_e64 s0, s9, 1.0
	s_and_b32 vcc_lo, exec_lo, s0
	s_cbranch_vccnz .LBB2_2
; %bb.1:
	v_cmp_neq_f32_e64 s0, s22, 0
	s_cmp_lg_u32 s11, 0
	s_cselect_b32 s1, -1, 0
	s_and_b32 s0, s1, s0
.LBB2_2:
	s_andn2_b32 vcc_lo, exec_lo, s0
	s_cbranch_vccnz .LBB2_26
; %bb.3:
	s_load_dwordx2 s[14:15], s[4:5], 0x48
	s_lshl_b32 s23, s6, 5
	s_lshl_b32 s24, s7, 5
	v_cmp_eq_f32_e64 s0, s22, 0
	s_cmp_lt_i32 s11, 1
	v_mov_b32_e32 v13, 0
	s_cselect_b32 s1, -1, 0
	v_mov_b32_e32 v8, 0
	v_mov_b32_e32 v7, 0
	;; [unrolled: 1-line block ×3, first 2 shown]
	s_or_b32 s0, s0, s1
	s_mov_b32 s25, 0
	s_and_b32 vcc_lo, exec_lo, s0
	s_cbranch_vccnz .LBB2_10
; %bb.4:
	s_load_dword s6, s[4:5], 0x18
	v_lshl_add_u32 v2, v1, 4, v0
	s_clause 0x1
	s_load_dwordx4 s[16:19], s[4:5], 0x20
	s_load_dword s20, s[4:5], 0x30
	v_and_b32_e32 v9, 7, v0
	v_lshlrev_b32_e32 v10, 2, v0
	v_lshl_add_u32 v11, v1, 5, 0x400
	v_and_b32_e32 v3, 31, v2
	v_lshrrev_b32_e32 v4, 3, v2
	v_lshlrev_b32_e32 v5, 2, v9
	v_lshrrev_b32_e32 v12, 5, v2
	v_or_b32_e32 v6, s23, v3
	v_lshlrev_b32_e32 v7, 2, v3
	v_lshl_or_b32 v8, v4, 5, v5
	v_add_nc_u32_e32 v2, s24, v4
	v_add_nc_u32_e32 v4, s23, v3
	v_cmp_gt_i32_e32 vcc_lo, s10, v6
	v_lshl_or_b32 v14, v12, 7, v7
	v_add_nc_u32_e32 v15, 0x400, v8
	v_ashrrev_i32_e32 v3, 31, v2
	s_waitcnt lgkmcnt(0)
	v_mad_i64_i32 v[5:6], null, v12, s6, 0
	s_mul_i32 s1, s17, s8
	s_mul_hi_u32 s17, s16, s8
	v_mad_i64_i32 v[7:8], null, s20, v9, 0
	s_mul_i32 s16, s16, s8
	s_add_i32 s17, s17, s1
	v_lshlrev_b64 v[5:6], 2, v[5:6]
	s_lshl_b64 s[16:17], s[16:17], 2
	v_cmp_gt_i32_e64 s0, s10, v2
	v_lshlrev_b64 v[2:3], 2, v[2:3]
	s_ashr_i32 s7, s6, 31
	s_ashr_i32 s21, s20, 31
	v_add_co_u32 v13, s1, v5, s16
	v_ashrrev_i32_e32 v5, 31, v4
	v_add_co_ci_u32_e64 v16, null, s17, v6, s1
	s_mul_i32 s1, s13, s8
	s_mul_hi_u32 s13, s12, s8
	v_lshlrev_b64 v[6:7], 2, v[7:8]
	s_add_i32 s13, s13, s1
	s_mul_i32 s12, s12, s8
	v_lshlrev_b64 v[4:5], 2, v[4:5]
	s_lshl_b64 s[12:13], s[12:13], 2
	v_mov_b32_e32 v8, 0
	v_add_co_u32 v6, s1, s12, v6
	v_add_co_ci_u32_e64 v7, null, s13, v7, s1
	v_add_co_u32 v4, s1, v13, v4
	v_add_co_ci_u32_e64 v5, null, v16, v5, s1
	;; [unrolled: 2-line block ×5, first 2 shown]
	v_mov_b32_e32 v6, 0
	v_mov_b32_e32 v7, 0
	;; [unrolled: 1-line block ×3, first 2 shown]
	s_lshl_b64 s[2:3], s[6:7], 5
	s_lshl_b64 s[6:7], s[20:21], 5
	s_branch .LBB2_6
.LBB2_5:                                ;   in Loop: Header=BB2_6 Depth=1
	s_or_b32 exec_lo, exec_lo, s1
	s_waitcnt vmcnt(0)
	ds_write_b32 v15, v17
	s_waitcnt lgkmcnt(0)
	s_barrier
	buffer_gl0_inv
	ds_read_b128 v[16:19], v11
	ds_read2_b32 v[32:33], v10 offset1:16
	ds_read_b128 v[20:23], v11 offset:512
	ds_read2_b32 v[34:35], v10 offset0:32 offset1:48
	ds_read2_b32 v[36:37], v10 offset0:64 offset1:80
	;; [unrolled: 1-line block ×3, first 2 shown]
	ds_read_b128 v[24:27], v11 offset:16
	ds_read2_b32 v[40:41], v10 offset0:128 offset1:144
	ds_read_b128 v[28:31], v11 offset:528
	v_add_co_u32 v2, s1, v2, s2
	v_add_co_ci_u32_e64 v3, null, s3, v3, s1
	v_add_co_u32 v4, s1, v4, s6
	v_add_co_ci_u32_e64 v5, null, s7, v5, s1
	s_add_i32 s25, s25, 8
	s_cmp_lt_i32 s25, s11
	s_waitcnt lgkmcnt(7)
	v_fmac_f32_e32 v13, v32, v16
	v_fmac_f32_e32 v8, v33, v16
	s_waitcnt lgkmcnt(6)
	v_fmac_f32_e32 v7, v32, v20
	v_fmac_f32_e32 v6, v33, v20
	ds_read2_b32 v[32:33], v10 offset0:160 offset1:176
	s_waitcnt lgkmcnt(6)
	v_fmac_f32_e32 v13, v34, v17
	v_fmac_f32_e32 v8, v35, v17
	v_fmac_f32_e32 v7, v34, v21
	v_fmac_f32_e32 v6, v35, v21
	ds_read2_b32 v[16:17], v10 offset0:192 offset1:208
	s_waitcnt lgkmcnt(6)
	v_fmac_f32_e32 v13, v36, v18
	v_fmac_f32_e32 v8, v37, v18
	;; [unrolled: 6-line block ×3, first 2 shown]
	v_fmac_f32_e32 v7, v38, v23
	v_fmac_f32_e32 v6, v39, v23
	s_waitcnt lgkmcnt(0)
	v_fmac_f32_e32 v13, v40, v24
	v_fmac_f32_e32 v8, v41, v24
	;; [unrolled: 1-line block ×4, first 2 shown]
	s_barrier
	v_fmac_f32_e32 v13, v32, v25
	v_fmac_f32_e32 v8, v33, v25
	;; [unrolled: 1-line block ×4, first 2 shown]
	buffer_gl0_inv
	v_fmac_f32_e32 v13, v16, v26
	v_fmac_f32_e32 v8, v17, v26
	;; [unrolled: 1-line block ×8, first 2 shown]
	s_cbranch_scc0 .LBB2_10
.LBB2_6:                                ; =>This Inner Loop Header: Depth=1
	v_add_nc_u32_e32 v16, s25, v12
	v_cmp_gt_i32_e64 s1, s11, v16
	v_mov_b32_e32 v16, 0
	s_and_b32 s12, vcc_lo, s1
	s_and_saveexec_b32 s1, s12
	s_cbranch_execz .LBB2_8
; %bb.7:                                ;   in Loop: Header=BB2_6 Depth=1
	global_load_dword v16, v[2:3], off
.LBB2_8:                                ;   in Loop: Header=BB2_6 Depth=1
	s_or_b32 exec_lo, exec_lo, s1
	v_add_nc_u32_e32 v17, s25, v9
	s_waitcnt vmcnt(0)
	ds_write_b32 v14, v16
	v_cmp_gt_i32_e64 s1, s11, v17
	v_mov_b32_e32 v17, 0
	s_and_b32 s12, s1, s0
	s_and_saveexec_b32 s1, s12
	s_cbranch_execz .LBB2_5
; %bb.9:                                ;   in Loop: Header=BB2_6 Depth=1
	global_load_dword v17, v[4:5], off
	s_branch .LBB2_5
.LBB2_10:
	s_clause 0x1
	s_load_dword s2, s[4:5], 0x50
	s_load_dwordx2 s[4:5], s[4:5], 0x58
	v_add_nc_u32_e32 v10, s24, v1
	v_add_nc_u32_e32 v0, s23, v0
	v_cmp_gt_i32_e64 s0, s10, v10
	v_cmp_le_i32_e32 vcc_lo, v0, v10
	s_waitcnt lgkmcnt(0)
	v_mad_i64_i32 v[1:2], null, v10, s2, 0
	s_mul_i32 s1, s5, s8
	s_mul_hi_u32 s3, s4, s8
	s_mul_i32 s4, s4, s8
	s_add_i32 s5, s3, s1
	s_lshl_b64 s[4:5], s[4:5], 2
	v_lshlrev_b64 v[2:3], 2, v[1:2]
	s_add_u32 s3, s14, s4
	s_addc_u32 s4, s15, s5
	v_cmp_neq_f32_e64 s5, s9, 0
	v_ashrrev_i32_e32 v1, 31, v0
	s_and_b32 s6, s0, vcc_lo
	v_add_co_u32 v4, s1, s3, v2
	v_add_co_ci_u32_e64 v5, null, s4, v3, s1
	v_cndmask_b32_e64 v9, 0, 1, s5
	s_and_saveexec_b32 s1, s6
	s_cbranch_execz .LBB2_14
; %bb.11:
	v_lshlrev_b64 v[2:3], 2, v[0:1]
	v_mul_f32_e32 v11, s22, v13
	v_add_co_u32 v2, vcc_lo, v4, v2
	v_add_co_ci_u32_e64 v3, null, v5, v3, vcc_lo
	s_andn2_b32 vcc_lo, exec_lo, s5
	s_cbranch_vccnz .LBB2_13
; %bb.12:
	global_load_dword v12, v[2:3], off
	s_waitcnt vmcnt(0)
	v_fmac_f32_e32 v11, s9, v12
.LBB2_13:
	global_store_dword v[2:3], v11, off
.LBB2_14:
	s_or_b32 exec_lo, exec_lo, s1
	v_add_nc_u32_e32 v2, 16, v0
	v_cmp_le_i32_e32 vcc_lo, v2, v10
	v_ashrrev_i32_e32 v3, 31, v2
	s_and_b32 s0, s0, vcc_lo
	s_and_saveexec_b32 s1, s0
	s_cbranch_execz .LBB2_18
; %bb.15:
	v_lshlrev_b64 v[11:12], 2, v[2:3]
	v_cmp_ne_u32_e32 vcc_lo, 1, v9
	v_mul_f32_e32 v8, s22, v8
	v_add_co_u32 v4, s0, v4, v11
	v_add_co_ci_u32_e64 v5, null, v5, v12, s0
	s_cbranch_vccnz .LBB2_17
; %bb.16:
	global_load_dword v11, v[4:5], off
	s_waitcnt vmcnt(0)
	v_fmac_f32_e32 v8, s9, v11
.LBB2_17:
	global_store_dword v[4:5], v8, off
.LBB2_18:
	s_or_b32 exec_lo, exec_lo, s1
	v_add_nc_u32_e32 v8, 16, v10
	v_mad_i64_i32 v[4:5], null, v8, s2, 0
	v_cmp_gt_i32_e64 s0, s10, v8
	v_cmp_le_i32_e32 vcc_lo, v0, v8
	v_lshlrev_b64 v[4:5], 2, v[4:5]
	v_add_co_u32 v4, s1, s3, v4
	v_add_co_ci_u32_e64 v5, null, s4, v5, s1
	s_and_b32 s1, s0, vcc_lo
	s_and_saveexec_b32 s2, s1
	s_cbranch_execz .LBB2_22
; %bb.19:
	v_lshlrev_b64 v[0:1], 2, v[0:1]
	v_cmp_ne_u32_e32 vcc_lo, 1, v9
	v_mul_f32_e32 v7, s22, v7
	v_add_co_u32 v0, s1, v4, v0
	v_add_co_ci_u32_e64 v1, null, v5, v1, s1
	s_cbranch_vccnz .LBB2_21
; %bb.20:
	global_load_dword v10, v[0:1], off
	s_waitcnt vmcnt(0)
	v_fmac_f32_e32 v7, s9, v10
.LBB2_21:
	global_store_dword v[0:1], v7, off
.LBB2_22:
	s_or_b32 exec_lo, exec_lo, s2
	v_cmp_le_i32_e32 vcc_lo, v2, v8
	s_and_b32 s0, s0, vcc_lo
	s_and_saveexec_b32 s1, s0
	s_cbranch_execz .LBB2_26
; %bb.23:
	v_lshlrev_b64 v[0:1], 2, v[2:3]
	v_cmp_ne_u32_e32 vcc_lo, 1, v9
	v_mul_f32_e32 v2, s22, v6
	v_add_co_u32 v0, s0, v4, v0
	v_add_co_ci_u32_e64 v1, null, v5, v1, s0
	s_cbranch_vccnz .LBB2_25
; %bb.24:
	global_load_dword v3, v[0:1], off
	s_waitcnt vmcnt(0)
	v_fmac_f32_e32 v2, s9, v3
.LBB2_25:
	global_store_dword v[0:1], v2, off
.LBB2_26:
	s_endpgm
	.section	.rodata,"a",@progbits
	.p2align	6, 0x0
	.amdhsa_kernel _ZL29rocblas_internal_gemmt_kernelIiLi16ELi32ELi8ELc78ELc67ELc85ELb0ELb0EfPKfS1_PfEviT_T9_T10_S3_lS5_S3_lS4_T11_S3_li
		.amdhsa_group_segment_fixed_size 2048
		.amdhsa_private_segment_fixed_size 0
		.amdhsa_kernarg_size 100
		.amdhsa_user_sgpr_count 6
		.amdhsa_user_sgpr_private_segment_buffer 1
		.amdhsa_user_sgpr_dispatch_ptr 0
		.amdhsa_user_sgpr_queue_ptr 0
		.amdhsa_user_sgpr_kernarg_segment_ptr 1
		.amdhsa_user_sgpr_dispatch_id 0
		.amdhsa_user_sgpr_flat_scratch_init 0
		.amdhsa_user_sgpr_private_segment_size 0
		.amdhsa_wavefront_size32 1
		.amdhsa_uses_dynamic_stack 0
		.amdhsa_system_sgpr_private_segment_wavefront_offset 0
		.amdhsa_system_sgpr_workgroup_id_x 1
		.amdhsa_system_sgpr_workgroup_id_y 1
		.amdhsa_system_sgpr_workgroup_id_z 1
		.amdhsa_system_sgpr_workgroup_info 0
		.amdhsa_system_vgpr_workitem_id 1
		.amdhsa_next_free_vgpr 42
		.amdhsa_next_free_sgpr 26
		.amdhsa_reserve_vcc 1
		.amdhsa_reserve_flat_scratch 0
		.amdhsa_float_round_mode_32 0
		.amdhsa_float_round_mode_16_64 0
		.amdhsa_float_denorm_mode_32 3
		.amdhsa_float_denorm_mode_16_64 3
		.amdhsa_dx10_clamp 1
		.amdhsa_ieee_mode 1
		.amdhsa_fp16_overflow 0
		.amdhsa_workgroup_processor_mode 1
		.amdhsa_memory_ordered 1
		.amdhsa_forward_progress 1
		.amdhsa_shared_vgpr_count 0
		.amdhsa_exception_fp_ieee_invalid_op 0
		.amdhsa_exception_fp_denorm_src 0
		.amdhsa_exception_fp_ieee_div_zero 0
		.amdhsa_exception_fp_ieee_overflow 0
		.amdhsa_exception_fp_ieee_underflow 0
		.amdhsa_exception_fp_ieee_inexact 0
		.amdhsa_exception_int_div_zero 0
	.end_amdhsa_kernel
	.section	.text._ZL29rocblas_internal_gemmt_kernelIiLi16ELi32ELi8ELc78ELc67ELc85ELb0ELb0EfPKfS1_PfEviT_T9_T10_S3_lS5_S3_lS4_T11_S3_li,"axG",@progbits,_ZL29rocblas_internal_gemmt_kernelIiLi16ELi32ELi8ELc78ELc67ELc85ELb0ELb0EfPKfS1_PfEviT_T9_T10_S3_lS5_S3_lS4_T11_S3_li,comdat
.Lfunc_end2:
	.size	_ZL29rocblas_internal_gemmt_kernelIiLi16ELi32ELi8ELc78ELc67ELc85ELb0ELb0EfPKfS1_PfEviT_T9_T10_S3_lS5_S3_lS4_T11_S3_li, .Lfunc_end2-_ZL29rocblas_internal_gemmt_kernelIiLi16ELi32ELi8ELc78ELc67ELc85ELb0ELb0EfPKfS1_PfEviT_T9_T10_S3_lS5_S3_lS4_T11_S3_li
                                        ; -- End function
	.set _ZL29rocblas_internal_gemmt_kernelIiLi16ELi32ELi8ELc78ELc67ELc85ELb0ELb0EfPKfS1_PfEviT_T9_T10_S3_lS5_S3_lS4_T11_S3_li.num_vgpr, 42
	.set _ZL29rocblas_internal_gemmt_kernelIiLi16ELi32ELi8ELc78ELc67ELc85ELb0ELb0EfPKfS1_PfEviT_T9_T10_S3_lS5_S3_lS4_T11_S3_li.num_agpr, 0
	.set _ZL29rocblas_internal_gemmt_kernelIiLi16ELi32ELi8ELc78ELc67ELc85ELb0ELb0EfPKfS1_PfEviT_T9_T10_S3_lS5_S3_lS4_T11_S3_li.numbered_sgpr, 26
	.set _ZL29rocblas_internal_gemmt_kernelIiLi16ELi32ELi8ELc78ELc67ELc85ELb0ELb0EfPKfS1_PfEviT_T9_T10_S3_lS5_S3_lS4_T11_S3_li.num_named_barrier, 0
	.set _ZL29rocblas_internal_gemmt_kernelIiLi16ELi32ELi8ELc78ELc67ELc85ELb0ELb0EfPKfS1_PfEviT_T9_T10_S3_lS5_S3_lS4_T11_S3_li.private_seg_size, 0
	.set _ZL29rocblas_internal_gemmt_kernelIiLi16ELi32ELi8ELc78ELc67ELc85ELb0ELb0EfPKfS1_PfEviT_T9_T10_S3_lS5_S3_lS4_T11_S3_li.uses_vcc, 1
	.set _ZL29rocblas_internal_gemmt_kernelIiLi16ELi32ELi8ELc78ELc67ELc85ELb0ELb0EfPKfS1_PfEviT_T9_T10_S3_lS5_S3_lS4_T11_S3_li.uses_flat_scratch, 0
	.set _ZL29rocblas_internal_gemmt_kernelIiLi16ELi32ELi8ELc78ELc67ELc85ELb0ELb0EfPKfS1_PfEviT_T9_T10_S3_lS5_S3_lS4_T11_S3_li.has_dyn_sized_stack, 0
	.set _ZL29rocblas_internal_gemmt_kernelIiLi16ELi32ELi8ELc78ELc67ELc85ELb0ELb0EfPKfS1_PfEviT_T9_T10_S3_lS5_S3_lS4_T11_S3_li.has_recursion, 0
	.set _ZL29rocblas_internal_gemmt_kernelIiLi16ELi32ELi8ELc78ELc67ELc85ELb0ELb0EfPKfS1_PfEviT_T9_T10_S3_lS5_S3_lS4_T11_S3_li.has_indirect_call, 0
	.section	.AMDGPU.csdata,"",@progbits
; Kernel info:
; codeLenInByte = 1436
; TotalNumSgprs: 28
; NumVgprs: 42
; ScratchSize: 0
; MemoryBound: 0
; FloatMode: 240
; IeeeMode: 1
; LDSByteSize: 2048 bytes/workgroup (compile time only)
; SGPRBlocks: 0
; VGPRBlocks: 5
; NumSGPRsForWavesPerEU: 28
; NumVGPRsForWavesPerEU: 42
; Occupancy: 16
; WaveLimiterHint : 0
; COMPUTE_PGM_RSRC2:SCRATCH_EN: 0
; COMPUTE_PGM_RSRC2:USER_SGPR: 6
; COMPUTE_PGM_RSRC2:TRAP_HANDLER: 0
; COMPUTE_PGM_RSRC2:TGID_X_EN: 1
; COMPUTE_PGM_RSRC2:TGID_Y_EN: 1
; COMPUTE_PGM_RSRC2:TGID_Z_EN: 1
; COMPUTE_PGM_RSRC2:TIDIG_COMP_CNT: 1
	.section	.text._ZL29rocblas_internal_gemmt_kernelIiLi16ELi32ELi8ELc84ELc78ELc85ELb0ELb0EfPKfS1_PfEviT_T9_T10_S3_lS5_S3_lS4_T11_S3_li,"axG",@progbits,_ZL29rocblas_internal_gemmt_kernelIiLi16ELi32ELi8ELc84ELc78ELc85ELb0ELb0EfPKfS1_PfEviT_T9_T10_S3_lS5_S3_lS4_T11_S3_li,comdat
	.globl	_ZL29rocblas_internal_gemmt_kernelIiLi16ELi32ELi8ELc84ELc78ELc85ELb0ELb0EfPKfS1_PfEviT_T9_T10_S3_lS5_S3_lS4_T11_S3_li ; -- Begin function _ZL29rocblas_internal_gemmt_kernelIiLi16ELi32ELi8ELc84ELc78ELc85ELb0ELb0EfPKfS1_PfEviT_T9_T10_S3_lS5_S3_lS4_T11_S3_li
	.p2align	8
	.type	_ZL29rocblas_internal_gemmt_kernelIiLi16ELi32ELi8ELc84ELc78ELc85ELb0ELb0EfPKfS1_PfEviT_T9_T10_S3_lS5_S3_lS4_T11_S3_li,@function
_ZL29rocblas_internal_gemmt_kernelIiLi16ELi32ELi8ELc84ELc78ELc85ELb0ELb0EfPKfS1_PfEviT_T9_T10_S3_lS5_S3_lS4_T11_S3_li: ; @_ZL29rocblas_internal_gemmt_kernelIiLi16ELi32ELi8ELc84ELc78ELc85ELb0ELb0EfPKfS1_PfEviT_T9_T10_S3_lS5_S3_lS4_T11_S3_li
; %bb.0:
	s_clause 0x1
	s_load_dwordx4 s[12:15], s[4:5], 0x38
	s_load_dwordx4 s[0:3], s[4:5], 0x8
	s_waitcnt lgkmcnt(0)
	s_load_dword s9, s[14:15], 0x0
	s_load_dwordx2 s[10:11], s[4:5], 0x0
	s_load_dword s20, s[0:1], 0x0
	s_waitcnt lgkmcnt(0)
	v_cmp_neq_f32_e64 s0, s9, 1.0
	s_and_b32 vcc_lo, exec_lo, s0
	s_cbranch_vccnz .LBB3_2
; %bb.1:
	v_cmp_neq_f32_e64 s0, s20, 0
	s_cmp_lg_u32 s11, 0
	s_cselect_b32 s1, -1, 0
	s_and_b32 s0, s1, s0
.LBB3_2:
	s_andn2_b32 vcc_lo, exec_lo, s0
	s_cbranch_vccnz .LBB3_26
; %bb.3:
	s_load_dwordx2 s[14:15], s[4:5], 0x48
	s_lshl_b32 s6, s6, 5
	s_lshl_b32 s7, s7, 5
	v_cmp_eq_f32_e64 s0, s20, 0
	s_cmp_lt_i32 s11, 1
	v_mov_b32_e32 v11, 0
	s_cselect_b32 s1, -1, 0
	v_mov_b32_e32 v8, 0
	v_mov_b32_e32 v7, 0
	;; [unrolled: 1-line block ×3, first 2 shown]
	s_or_b32 s0, s0, s1
	s_mov_b32 s21, 0
	s_and_b32 vcc_lo, exec_lo, s0
	s_cbranch_vccnz .LBB3_10
; %bb.4:
	s_load_dword s0, s[4:5], 0x18
	v_lshl_add_u32 v2, v1, 4, v0
	s_clause 0x1
	s_load_dwordx4 s[16:19], s[4:5], 0x20
	s_load_dword s1, s[4:5], 0x30
	v_and_b32_e32 v9, 7, v0
	v_lshlrev_b32_e32 v10, 2, v0
	v_lshl_add_u32 v12, v1, 5, 0x400
	v_and_b32_e32 v4, 31, v2
	v_lshrrev_b32_e32 v3, 3, v2
	v_lshrrev_b32_e32 v13, 5, v2
	v_lshlrev_b32_e32 v7, 2, v9
	v_add_nc_u32_e32 v2, s6, v4
	v_add_nc_u32_e32 v5, s7, v3
	v_or_b32_e32 v6, s6, v4
	v_lshl_or_b32 v8, v3, 5, v7
	v_lshlrev_b32_e32 v4, 2, v4
	v_lshlrev_b32_e32 v11, 2, v13
	v_cmp_gt_i32_e32 vcc_lo, s10, v6
	v_add_nc_u32_e32 v15, 0x400, v8
	s_waitcnt lgkmcnt(0)
	v_mad_i64_i32 v[2:3], null, s0, v2, 0
	v_lshl_or_b32 v14, v13, 7, v4
	v_cmp_gt_i32_e64 s0, s10, v5
	s_mul_i32 s17, s17, s8
	s_mul_hi_u32 s22, s16, s8
	v_mad_i64_i32 v[4:5], null, s1, v5, 0
	v_lshlrev_b64 v[2:3], 2, v[2:3]
	s_mul_i32 s16, s16, s8
	s_add_i32 s17, s22, s17
	v_mov_b32_e32 v6, 0
	s_lshl_b64 s[16:17], s[16:17], 2
	v_add_co_u32 v8, s1, v2, s16
	v_add_co_ci_u32_e64 v16, null, s17, v3, s1
	s_mul_i32 s1, s13, s8
	s_mul_hi_u32 s13, s12, s8
	v_lshlrev_b64 v[2:3], 2, v[4:5]
	s_add_i32 s13, s13, s1
	s_mul_i32 s12, s12, s8
	s_lshl_b64 s[12:13], s[12:13], 2
	v_add_co_u32 v2, s1, v2, s12
	v_add_co_ci_u32_e64 v3, null, s13, v3, s1
	v_add_co_u32 v4, s1, v8, v11
	v_add_co_ci_u32_e64 v5, null, 0, v16, s1
	;; [unrolled: 2-line block ×5, first 2 shown]
	v_mov_b32_e32 v7, 0
	v_mov_b32_e32 v8, 0
	;; [unrolled: 1-line block ×3, first 2 shown]
	s_branch .LBB3_6
.LBB3_5:                                ;   in Loop: Header=BB3_6 Depth=1
	s_or_b32 exec_lo, exec_lo, s1
	s_waitcnt vmcnt(0)
	ds_write_b32 v15, v17
	s_waitcnt lgkmcnt(0)
	s_barrier
	buffer_gl0_inv
	ds_read_b128 v[16:19], v12
	ds_read2_b32 v[32:33], v10 offset1:16
	ds_read_b128 v[20:23], v12 offset:512
	ds_read2_b32 v[34:35], v10 offset0:32 offset1:48
	ds_read2_b32 v[36:37], v10 offset0:64 offset1:80
	;; [unrolled: 1-line block ×3, first 2 shown]
	ds_read_b128 v[24:27], v12 offset:16
	ds_read2_b32 v[40:41], v10 offset0:128 offset1:144
	ds_read_b128 v[28:31], v12 offset:528
	v_add_co_u32 v2, s1, v2, 32
	v_add_co_ci_u32_e64 v3, null, 0, v3, s1
	v_add_co_u32 v4, s1, v4, 32
	v_add_co_ci_u32_e64 v5, null, 0, v5, s1
	s_add_i32 s21, s21, 8
	s_cmp_lt_i32 s21, s11
	s_waitcnt lgkmcnt(7)
	v_fmac_f32_e32 v11, v32, v16
	v_fmac_f32_e32 v8, v33, v16
	s_waitcnt lgkmcnt(6)
	v_fmac_f32_e32 v7, v32, v20
	v_fmac_f32_e32 v6, v33, v20
	ds_read2_b32 v[32:33], v10 offset0:160 offset1:176
	s_waitcnt lgkmcnt(6)
	v_fmac_f32_e32 v11, v34, v17
	v_fmac_f32_e32 v8, v35, v17
	v_fmac_f32_e32 v7, v34, v21
	v_fmac_f32_e32 v6, v35, v21
	ds_read2_b32 v[16:17], v10 offset0:192 offset1:208
	s_waitcnt lgkmcnt(6)
	v_fmac_f32_e32 v11, v36, v18
	v_fmac_f32_e32 v8, v37, v18
	;; [unrolled: 6-line block ×3, first 2 shown]
	v_fmac_f32_e32 v7, v38, v23
	v_fmac_f32_e32 v6, v39, v23
	s_waitcnt lgkmcnt(0)
	v_fmac_f32_e32 v11, v40, v24
	v_fmac_f32_e32 v8, v41, v24
	;; [unrolled: 1-line block ×4, first 2 shown]
	s_barrier
	v_fmac_f32_e32 v11, v32, v25
	v_fmac_f32_e32 v8, v33, v25
	;; [unrolled: 1-line block ×4, first 2 shown]
	buffer_gl0_inv
	v_fmac_f32_e32 v11, v16, v26
	v_fmac_f32_e32 v8, v17, v26
	;; [unrolled: 1-line block ×8, first 2 shown]
	s_cbranch_scc0 .LBB3_10
.LBB3_6:                                ; =>This Inner Loop Header: Depth=1
	v_add_nc_u32_e32 v16, s21, v13
	v_cmp_gt_i32_e64 s1, s11, v16
	v_mov_b32_e32 v16, 0
	s_and_b32 s2, vcc_lo, s1
	s_and_saveexec_b32 s1, s2
	s_cbranch_execz .LBB3_8
; %bb.7:                                ;   in Loop: Header=BB3_6 Depth=1
	global_load_dword v16, v[2:3], off
.LBB3_8:                                ;   in Loop: Header=BB3_6 Depth=1
	s_or_b32 exec_lo, exec_lo, s1
	v_add_nc_u32_e32 v17, s21, v9
	s_waitcnt vmcnt(0)
	ds_write_b32 v14, v16
	v_cmp_gt_i32_e64 s1, s11, v17
	v_mov_b32_e32 v17, 0
	s_and_b32 s2, s1, s0
	s_and_saveexec_b32 s1, s2
	s_cbranch_execz .LBB3_5
; %bb.9:                                ;   in Loop: Header=BB3_6 Depth=1
	global_load_dword v17, v[4:5], off
	s_branch .LBB3_5
.LBB3_10:
	s_clause 0x1
	s_load_dword s2, s[4:5], 0x50
	s_load_dwordx2 s[4:5], s[4:5], 0x58
	v_add_nc_u32_e32 v10, s7, v1
	v_add_nc_u32_e32 v0, s6, v0
	v_cmp_gt_i32_e64 s0, s10, v10
	v_cmp_le_i32_e32 vcc_lo, v0, v10
	s_waitcnt lgkmcnt(0)
	v_mad_i64_i32 v[1:2], null, v10, s2, 0
	s_mul_i32 s1, s5, s8
	s_mul_hi_u32 s3, s4, s8
	s_mul_i32 s4, s4, s8
	s_add_i32 s5, s3, s1
	s_lshl_b64 s[4:5], s[4:5], 2
	v_lshlrev_b64 v[2:3], 2, v[1:2]
	s_add_u32 s3, s14, s4
	s_addc_u32 s4, s15, s5
	v_cmp_neq_f32_e64 s5, s9, 0
	v_ashrrev_i32_e32 v1, 31, v0
	s_and_b32 s6, s0, vcc_lo
	v_add_co_u32 v4, s1, s3, v2
	v_add_co_ci_u32_e64 v5, null, s4, v3, s1
	v_cndmask_b32_e64 v9, 0, 1, s5
	s_and_saveexec_b32 s1, s6
	s_cbranch_execz .LBB3_14
; %bb.11:
	v_lshlrev_b64 v[2:3], 2, v[0:1]
	v_mul_f32_e32 v11, s20, v11
	v_add_co_u32 v2, vcc_lo, v4, v2
	v_add_co_ci_u32_e64 v3, null, v5, v3, vcc_lo
	s_andn2_b32 vcc_lo, exec_lo, s5
	s_cbranch_vccnz .LBB3_13
; %bb.12:
	global_load_dword v12, v[2:3], off
	s_waitcnt vmcnt(0)
	v_fmac_f32_e32 v11, s9, v12
.LBB3_13:
	global_store_dword v[2:3], v11, off
.LBB3_14:
	s_or_b32 exec_lo, exec_lo, s1
	v_add_nc_u32_e32 v2, 16, v0
	v_cmp_le_i32_e32 vcc_lo, v2, v10
	v_ashrrev_i32_e32 v3, 31, v2
	s_and_b32 s0, s0, vcc_lo
	s_and_saveexec_b32 s1, s0
	s_cbranch_execz .LBB3_18
; %bb.15:
	v_lshlrev_b64 v[11:12], 2, v[2:3]
	v_cmp_ne_u32_e32 vcc_lo, 1, v9
	v_mul_f32_e32 v8, s20, v8
	v_add_co_u32 v4, s0, v4, v11
	v_add_co_ci_u32_e64 v5, null, v5, v12, s0
	s_cbranch_vccnz .LBB3_17
; %bb.16:
	global_load_dword v11, v[4:5], off
	s_waitcnt vmcnt(0)
	v_fmac_f32_e32 v8, s9, v11
.LBB3_17:
	global_store_dword v[4:5], v8, off
.LBB3_18:
	s_or_b32 exec_lo, exec_lo, s1
	v_add_nc_u32_e32 v8, 16, v10
	v_mad_i64_i32 v[4:5], null, v8, s2, 0
	v_cmp_gt_i32_e64 s0, s10, v8
	v_cmp_le_i32_e32 vcc_lo, v0, v8
	v_lshlrev_b64 v[4:5], 2, v[4:5]
	v_add_co_u32 v4, s1, s3, v4
	v_add_co_ci_u32_e64 v5, null, s4, v5, s1
	s_and_b32 s1, s0, vcc_lo
	s_and_saveexec_b32 s2, s1
	s_cbranch_execz .LBB3_22
; %bb.19:
	v_lshlrev_b64 v[0:1], 2, v[0:1]
	v_cmp_ne_u32_e32 vcc_lo, 1, v9
	v_mul_f32_e32 v7, s20, v7
	v_add_co_u32 v0, s1, v4, v0
	v_add_co_ci_u32_e64 v1, null, v5, v1, s1
	s_cbranch_vccnz .LBB3_21
; %bb.20:
	global_load_dword v10, v[0:1], off
	s_waitcnt vmcnt(0)
	v_fmac_f32_e32 v7, s9, v10
.LBB3_21:
	global_store_dword v[0:1], v7, off
.LBB3_22:
	s_or_b32 exec_lo, exec_lo, s2
	v_cmp_le_i32_e32 vcc_lo, v2, v8
	s_and_b32 s0, s0, vcc_lo
	s_and_saveexec_b32 s1, s0
	s_cbranch_execz .LBB3_26
; %bb.23:
	v_lshlrev_b64 v[0:1], 2, v[2:3]
	v_cmp_ne_u32_e32 vcc_lo, 1, v9
	v_mul_f32_e32 v2, s20, v6
	v_add_co_u32 v0, s0, v4, v0
	v_add_co_ci_u32_e64 v1, null, v5, v1, s0
	s_cbranch_vccnz .LBB3_25
; %bb.24:
	global_load_dword v3, v[0:1], off
	s_waitcnt vmcnt(0)
	v_fmac_f32_e32 v2, s9, v3
.LBB3_25:
	global_store_dword v[0:1], v2, off
.LBB3_26:
	s_endpgm
	.section	.rodata,"a",@progbits
	.p2align	6, 0x0
	.amdhsa_kernel _ZL29rocblas_internal_gemmt_kernelIiLi16ELi32ELi8ELc84ELc78ELc85ELb0ELb0EfPKfS1_PfEviT_T9_T10_S3_lS5_S3_lS4_T11_S3_li
		.amdhsa_group_segment_fixed_size 2048
		.amdhsa_private_segment_fixed_size 0
		.amdhsa_kernarg_size 100
		.amdhsa_user_sgpr_count 6
		.amdhsa_user_sgpr_private_segment_buffer 1
		.amdhsa_user_sgpr_dispatch_ptr 0
		.amdhsa_user_sgpr_queue_ptr 0
		.amdhsa_user_sgpr_kernarg_segment_ptr 1
		.amdhsa_user_sgpr_dispatch_id 0
		.amdhsa_user_sgpr_flat_scratch_init 0
		.amdhsa_user_sgpr_private_segment_size 0
		.amdhsa_wavefront_size32 1
		.amdhsa_uses_dynamic_stack 0
		.amdhsa_system_sgpr_private_segment_wavefront_offset 0
		.amdhsa_system_sgpr_workgroup_id_x 1
		.amdhsa_system_sgpr_workgroup_id_y 1
		.amdhsa_system_sgpr_workgroup_id_z 1
		.amdhsa_system_sgpr_workgroup_info 0
		.amdhsa_system_vgpr_workitem_id 1
		.amdhsa_next_free_vgpr 42
		.amdhsa_next_free_sgpr 23
		.amdhsa_reserve_vcc 1
		.amdhsa_reserve_flat_scratch 0
		.amdhsa_float_round_mode_32 0
		.amdhsa_float_round_mode_16_64 0
		.amdhsa_float_denorm_mode_32 3
		.amdhsa_float_denorm_mode_16_64 3
		.amdhsa_dx10_clamp 1
		.amdhsa_ieee_mode 1
		.amdhsa_fp16_overflow 0
		.amdhsa_workgroup_processor_mode 1
		.amdhsa_memory_ordered 1
		.amdhsa_forward_progress 1
		.amdhsa_shared_vgpr_count 0
		.amdhsa_exception_fp_ieee_invalid_op 0
		.amdhsa_exception_fp_denorm_src 0
		.amdhsa_exception_fp_ieee_div_zero 0
		.amdhsa_exception_fp_ieee_overflow 0
		.amdhsa_exception_fp_ieee_underflow 0
		.amdhsa_exception_fp_ieee_inexact 0
		.amdhsa_exception_int_div_zero 0
	.end_amdhsa_kernel
	.section	.text._ZL29rocblas_internal_gemmt_kernelIiLi16ELi32ELi8ELc84ELc78ELc85ELb0ELb0EfPKfS1_PfEviT_T9_T10_S3_lS5_S3_lS4_T11_S3_li,"axG",@progbits,_ZL29rocblas_internal_gemmt_kernelIiLi16ELi32ELi8ELc84ELc78ELc85ELb0ELb0EfPKfS1_PfEviT_T9_T10_S3_lS5_S3_lS4_T11_S3_li,comdat
.Lfunc_end3:
	.size	_ZL29rocblas_internal_gemmt_kernelIiLi16ELi32ELi8ELc84ELc78ELc85ELb0ELb0EfPKfS1_PfEviT_T9_T10_S3_lS5_S3_lS4_T11_S3_li, .Lfunc_end3-_ZL29rocblas_internal_gemmt_kernelIiLi16ELi32ELi8ELc84ELc78ELc85ELb0ELb0EfPKfS1_PfEviT_T9_T10_S3_lS5_S3_lS4_T11_S3_li
                                        ; -- End function
	.set _ZL29rocblas_internal_gemmt_kernelIiLi16ELi32ELi8ELc84ELc78ELc85ELb0ELb0EfPKfS1_PfEviT_T9_T10_S3_lS5_S3_lS4_T11_S3_li.num_vgpr, 42
	.set _ZL29rocblas_internal_gemmt_kernelIiLi16ELi32ELi8ELc84ELc78ELc85ELb0ELb0EfPKfS1_PfEviT_T9_T10_S3_lS5_S3_lS4_T11_S3_li.num_agpr, 0
	.set _ZL29rocblas_internal_gemmt_kernelIiLi16ELi32ELi8ELc84ELc78ELc85ELb0ELb0EfPKfS1_PfEviT_T9_T10_S3_lS5_S3_lS4_T11_S3_li.numbered_sgpr, 23
	.set _ZL29rocblas_internal_gemmt_kernelIiLi16ELi32ELi8ELc84ELc78ELc85ELb0ELb0EfPKfS1_PfEviT_T9_T10_S3_lS5_S3_lS4_T11_S3_li.num_named_barrier, 0
	.set _ZL29rocblas_internal_gemmt_kernelIiLi16ELi32ELi8ELc84ELc78ELc85ELb0ELb0EfPKfS1_PfEviT_T9_T10_S3_lS5_S3_lS4_T11_S3_li.private_seg_size, 0
	.set _ZL29rocblas_internal_gemmt_kernelIiLi16ELi32ELi8ELc84ELc78ELc85ELb0ELb0EfPKfS1_PfEviT_T9_T10_S3_lS5_S3_lS4_T11_S3_li.uses_vcc, 1
	.set _ZL29rocblas_internal_gemmt_kernelIiLi16ELi32ELi8ELc84ELc78ELc85ELb0ELb0EfPKfS1_PfEviT_T9_T10_S3_lS5_S3_lS4_T11_S3_li.uses_flat_scratch, 0
	.set _ZL29rocblas_internal_gemmt_kernelIiLi16ELi32ELi8ELc84ELc78ELc85ELb0ELb0EfPKfS1_PfEviT_T9_T10_S3_lS5_S3_lS4_T11_S3_li.has_dyn_sized_stack, 0
	.set _ZL29rocblas_internal_gemmt_kernelIiLi16ELi32ELi8ELc84ELc78ELc85ELb0ELb0EfPKfS1_PfEviT_T9_T10_S3_lS5_S3_lS4_T11_S3_li.has_recursion, 0
	.set _ZL29rocblas_internal_gemmt_kernelIiLi16ELi32ELi8ELc84ELc78ELc85ELb0ELb0EfPKfS1_PfEviT_T9_T10_S3_lS5_S3_lS4_T11_S3_li.has_indirect_call, 0
	.section	.AMDGPU.csdata,"",@progbits
; Kernel info:
; codeLenInByte = 1400
; TotalNumSgprs: 25
; NumVgprs: 42
; ScratchSize: 0
; MemoryBound: 0
; FloatMode: 240
; IeeeMode: 1
; LDSByteSize: 2048 bytes/workgroup (compile time only)
; SGPRBlocks: 0
; VGPRBlocks: 5
; NumSGPRsForWavesPerEU: 25
; NumVGPRsForWavesPerEU: 42
; Occupancy: 16
; WaveLimiterHint : 0
; COMPUTE_PGM_RSRC2:SCRATCH_EN: 0
; COMPUTE_PGM_RSRC2:USER_SGPR: 6
; COMPUTE_PGM_RSRC2:TRAP_HANDLER: 0
; COMPUTE_PGM_RSRC2:TGID_X_EN: 1
; COMPUTE_PGM_RSRC2:TGID_Y_EN: 1
; COMPUTE_PGM_RSRC2:TGID_Z_EN: 1
; COMPUTE_PGM_RSRC2:TIDIG_COMP_CNT: 1
	.section	.text._ZL29rocblas_internal_gemmt_kernelIiLi16ELi32ELi8ELc84ELc84ELc85ELb0ELb0EfPKfS1_PfEviT_T9_T10_S3_lS5_S3_lS4_T11_S3_li,"axG",@progbits,_ZL29rocblas_internal_gemmt_kernelIiLi16ELi32ELi8ELc84ELc84ELc85ELb0ELb0EfPKfS1_PfEviT_T9_T10_S3_lS5_S3_lS4_T11_S3_li,comdat
	.globl	_ZL29rocblas_internal_gemmt_kernelIiLi16ELi32ELi8ELc84ELc84ELc85ELb0ELb0EfPKfS1_PfEviT_T9_T10_S3_lS5_S3_lS4_T11_S3_li ; -- Begin function _ZL29rocblas_internal_gemmt_kernelIiLi16ELi32ELi8ELc84ELc84ELc85ELb0ELb0EfPKfS1_PfEviT_T9_T10_S3_lS5_S3_lS4_T11_S3_li
	.p2align	8
	.type	_ZL29rocblas_internal_gemmt_kernelIiLi16ELi32ELi8ELc84ELc84ELc85ELb0ELb0EfPKfS1_PfEviT_T9_T10_S3_lS5_S3_lS4_T11_S3_li,@function
_ZL29rocblas_internal_gemmt_kernelIiLi16ELi32ELi8ELc84ELc84ELc85ELb0ELb0EfPKfS1_PfEviT_T9_T10_S3_lS5_S3_lS4_T11_S3_li: ; @_ZL29rocblas_internal_gemmt_kernelIiLi16ELi32ELi8ELc84ELc84ELc85ELb0ELb0EfPKfS1_PfEviT_T9_T10_S3_lS5_S3_lS4_T11_S3_li
; %bb.0:
	s_clause 0x1
	s_load_dwordx4 s[12:15], s[4:5], 0x38
	s_load_dwordx4 s[0:3], s[4:5], 0x8
	s_waitcnt lgkmcnt(0)
	s_load_dword s9, s[14:15], 0x0
	s_load_dwordx2 s[10:11], s[4:5], 0x0
	s_load_dword s20, s[0:1], 0x0
	s_waitcnt lgkmcnt(0)
	v_cmp_neq_f32_e64 s0, s9, 1.0
	s_and_b32 vcc_lo, exec_lo, s0
	s_cbranch_vccnz .LBB4_2
; %bb.1:
	v_cmp_neq_f32_e64 s0, s20, 0
	s_cmp_lg_u32 s11, 0
	s_cselect_b32 s1, -1, 0
	s_and_b32 s0, s1, s0
.LBB4_2:
	s_andn2_b32 vcc_lo, exec_lo, s0
	s_cbranch_vccnz .LBB4_26
; %bb.3:
	s_load_dwordx2 s[14:15], s[4:5], 0x48
	s_lshl_b32 s6, s6, 5
	s_lshl_b32 s7, s7, 5
	v_cmp_eq_f32_e64 s0, s20, 0
	s_cmp_lt_i32 s11, 1
	v_mov_b32_e32 v13, 0
	s_cselect_b32 s1, -1, 0
	v_mov_b32_e32 v8, 0
	v_mov_b32_e32 v7, 0
	;; [unrolled: 1-line block ×3, first 2 shown]
	s_or_b32 s0, s0, s1
	s_mov_b32 s21, 0
	s_and_b32 vcc_lo, exec_lo, s0
	s_cbranch_vccnz .LBB4_10
; %bb.4:
	s_load_dword s0, s[4:5], 0x18
	v_lshl_add_u32 v2, v1, 4, v0
	s_clause 0x1
	s_load_dwordx4 s[16:19], s[4:5], 0x20
	s_load_dword s22, s[4:5], 0x30
	v_and_b32_e32 v9, 7, v0
	v_lshlrev_b32_e32 v10, 2, v0
	v_lshl_add_u32 v11, v1, 5, 0x400
	v_and_b32_e32 v3, 31, v2
	v_lshrrev_b32_e32 v4, 3, v2
	v_lshlrev_b32_e32 v5, 2, v9
	v_lshrrev_b32_e32 v12, 5, v2
	v_add_nc_u32_e32 v7, s6, v3
	v_add_nc_u32_e32 v2, s7, v4
	v_lshl_or_b32 v8, v4, 5, v5
	v_or_b32_e32 v6, s6, v3
	v_lshlrev_b32_e32 v3, 2, v3
	v_lshlrev_b32_e32 v16, 2, v12
	v_add_nc_u32_e32 v15, 0x400, v8
	v_cmp_gt_i32_e32 vcc_lo, s10, v6
	s_waitcnt lgkmcnt(0)
	v_mad_i64_i32 v[4:5], null, s0, v7, 0
	s_mul_i32 s1, s17, s8
	s_mul_hi_u32 s17, s16, s8
	v_mad_i64_i32 v[6:7], null, s22, v9, 0
	s_mul_i32 s16, s16, s8
	s_add_i32 s17, s17, s1
	v_lshlrev_b64 v[4:5], 2, v[4:5]
	s_lshl_b64 s[16:17], s[16:17], 2
	v_lshl_or_b32 v14, v12, 7, v3
	v_ashrrev_i32_e32 v3, 31, v2
	v_cmp_gt_i32_e64 s0, s10, v2
	s_ashr_i32 s23, s22, 31
	v_add_co_u32 v8, s1, v4, s16
	v_add_co_ci_u32_e64 v13, null, s17, v5, s1
	s_mul_i32 s1, s13, s8
	s_mul_hi_u32 s13, s12, s8
	v_lshlrev_b64 v[4:5], 2, v[6:7]
	s_add_i32 s13, s13, s1
	s_mul_i32 s12, s12, s8
	v_lshlrev_b64 v[2:3], 2, v[2:3]
	s_lshl_b64 s[12:13], s[12:13], 2
	v_mov_b32_e32 v6, 0
	v_add_co_u32 v4, s1, s12, v4
	v_add_co_ci_u32_e64 v5, null, s13, v5, s1
	v_add_co_u32 v7, s1, v8, v16
	v_add_co_ci_u32_e64 v8, null, 0, v13, s1
	;; [unrolled: 2-line block ×5, first 2 shown]
	v_mov_b32_e32 v7, 0
	v_mov_b32_e32 v8, 0
	;; [unrolled: 1-line block ×3, first 2 shown]
	s_lshl_b64 s[2:3], s[22:23], 5
	s_branch .LBB4_6
.LBB4_5:                                ;   in Loop: Header=BB4_6 Depth=1
	s_or_b32 exec_lo, exec_lo, s1
	s_waitcnt vmcnt(0)
	ds_write_b32 v15, v17
	s_waitcnt lgkmcnt(0)
	s_barrier
	buffer_gl0_inv
	ds_read_b128 v[16:19], v11
	ds_read2_b32 v[32:33], v10 offset1:16
	ds_read_b128 v[20:23], v11 offset:512
	ds_read2_b32 v[34:35], v10 offset0:32 offset1:48
	ds_read2_b32 v[36:37], v10 offset0:64 offset1:80
	ds_read2_b32 v[38:39], v10 offset0:96 offset1:112
	ds_read_b128 v[24:27], v11 offset:16
	ds_read2_b32 v[40:41], v10 offset0:128 offset1:144
	ds_read_b128 v[28:31], v11 offset:528
	v_add_co_u32 v2, s1, v2, 32
	v_add_co_ci_u32_e64 v3, null, 0, v3, s1
	v_add_co_u32 v4, s1, v4, s2
	v_add_co_ci_u32_e64 v5, null, s3, v5, s1
	s_add_i32 s21, s21, 8
	s_cmp_lt_i32 s21, s11
	s_waitcnt lgkmcnt(7)
	v_fmac_f32_e32 v13, v32, v16
	v_fmac_f32_e32 v8, v33, v16
	s_waitcnt lgkmcnt(6)
	v_fmac_f32_e32 v7, v32, v20
	v_fmac_f32_e32 v6, v33, v20
	ds_read2_b32 v[32:33], v10 offset0:160 offset1:176
	s_waitcnt lgkmcnt(6)
	v_fmac_f32_e32 v13, v34, v17
	v_fmac_f32_e32 v8, v35, v17
	v_fmac_f32_e32 v7, v34, v21
	v_fmac_f32_e32 v6, v35, v21
	ds_read2_b32 v[16:17], v10 offset0:192 offset1:208
	s_waitcnt lgkmcnt(6)
	v_fmac_f32_e32 v13, v36, v18
	v_fmac_f32_e32 v8, v37, v18
	;; [unrolled: 6-line block ×3, first 2 shown]
	v_fmac_f32_e32 v7, v38, v23
	v_fmac_f32_e32 v6, v39, v23
	s_waitcnt lgkmcnt(0)
	v_fmac_f32_e32 v13, v40, v24
	v_fmac_f32_e32 v8, v41, v24
	;; [unrolled: 1-line block ×4, first 2 shown]
	s_barrier
	v_fmac_f32_e32 v13, v32, v25
	v_fmac_f32_e32 v8, v33, v25
	;; [unrolled: 1-line block ×4, first 2 shown]
	buffer_gl0_inv
	v_fmac_f32_e32 v13, v16, v26
	v_fmac_f32_e32 v8, v17, v26
	;; [unrolled: 1-line block ×8, first 2 shown]
	s_cbranch_scc0 .LBB4_10
.LBB4_6:                                ; =>This Inner Loop Header: Depth=1
	v_add_nc_u32_e32 v16, s21, v12
	v_cmp_gt_i32_e64 s1, s11, v16
	v_mov_b32_e32 v16, 0
	s_and_b32 s12, vcc_lo, s1
	s_and_saveexec_b32 s1, s12
	s_cbranch_execz .LBB4_8
; %bb.7:                                ;   in Loop: Header=BB4_6 Depth=1
	global_load_dword v16, v[2:3], off
.LBB4_8:                                ;   in Loop: Header=BB4_6 Depth=1
	s_or_b32 exec_lo, exec_lo, s1
	v_add_nc_u32_e32 v17, s21, v9
	s_waitcnt vmcnt(0)
	ds_write_b32 v14, v16
	v_cmp_gt_i32_e64 s1, s11, v17
	v_mov_b32_e32 v17, 0
	s_and_b32 s12, s1, s0
	s_and_saveexec_b32 s1, s12
	s_cbranch_execz .LBB4_5
; %bb.9:                                ;   in Loop: Header=BB4_6 Depth=1
	global_load_dword v17, v[4:5], off
	s_branch .LBB4_5
.LBB4_10:
	s_clause 0x1
	s_load_dword s2, s[4:5], 0x50
	s_load_dwordx2 s[4:5], s[4:5], 0x58
	v_add_nc_u32_e32 v10, s7, v1
	v_add_nc_u32_e32 v0, s6, v0
	v_cmp_gt_i32_e64 s0, s10, v10
	v_cmp_le_i32_e32 vcc_lo, v0, v10
	s_waitcnt lgkmcnt(0)
	v_mad_i64_i32 v[1:2], null, v10, s2, 0
	s_mul_i32 s1, s5, s8
	s_mul_hi_u32 s3, s4, s8
	s_mul_i32 s4, s4, s8
	s_add_i32 s5, s3, s1
	s_lshl_b64 s[4:5], s[4:5], 2
	v_lshlrev_b64 v[2:3], 2, v[1:2]
	s_add_u32 s3, s14, s4
	s_addc_u32 s4, s15, s5
	v_cmp_neq_f32_e64 s5, s9, 0
	v_ashrrev_i32_e32 v1, 31, v0
	s_and_b32 s6, s0, vcc_lo
	v_add_co_u32 v4, s1, s3, v2
	v_add_co_ci_u32_e64 v5, null, s4, v3, s1
	v_cndmask_b32_e64 v9, 0, 1, s5
	s_and_saveexec_b32 s1, s6
	s_cbranch_execz .LBB4_14
; %bb.11:
	v_lshlrev_b64 v[2:3], 2, v[0:1]
	v_mul_f32_e32 v11, s20, v13
	v_add_co_u32 v2, vcc_lo, v4, v2
	v_add_co_ci_u32_e64 v3, null, v5, v3, vcc_lo
	s_andn2_b32 vcc_lo, exec_lo, s5
	s_cbranch_vccnz .LBB4_13
; %bb.12:
	global_load_dword v12, v[2:3], off
	s_waitcnt vmcnt(0)
	v_fmac_f32_e32 v11, s9, v12
.LBB4_13:
	global_store_dword v[2:3], v11, off
.LBB4_14:
	s_or_b32 exec_lo, exec_lo, s1
	v_add_nc_u32_e32 v2, 16, v0
	v_cmp_le_i32_e32 vcc_lo, v2, v10
	v_ashrrev_i32_e32 v3, 31, v2
	s_and_b32 s0, s0, vcc_lo
	s_and_saveexec_b32 s1, s0
	s_cbranch_execz .LBB4_18
; %bb.15:
	v_lshlrev_b64 v[11:12], 2, v[2:3]
	v_cmp_ne_u32_e32 vcc_lo, 1, v9
	v_mul_f32_e32 v8, s20, v8
	v_add_co_u32 v4, s0, v4, v11
	v_add_co_ci_u32_e64 v5, null, v5, v12, s0
	s_cbranch_vccnz .LBB4_17
; %bb.16:
	global_load_dword v11, v[4:5], off
	s_waitcnt vmcnt(0)
	v_fmac_f32_e32 v8, s9, v11
.LBB4_17:
	global_store_dword v[4:5], v8, off
.LBB4_18:
	s_or_b32 exec_lo, exec_lo, s1
	v_add_nc_u32_e32 v8, 16, v10
	v_mad_i64_i32 v[4:5], null, v8, s2, 0
	v_cmp_gt_i32_e64 s0, s10, v8
	v_cmp_le_i32_e32 vcc_lo, v0, v8
	v_lshlrev_b64 v[4:5], 2, v[4:5]
	v_add_co_u32 v4, s1, s3, v4
	v_add_co_ci_u32_e64 v5, null, s4, v5, s1
	s_and_b32 s1, s0, vcc_lo
	s_and_saveexec_b32 s2, s1
	s_cbranch_execz .LBB4_22
; %bb.19:
	v_lshlrev_b64 v[0:1], 2, v[0:1]
	v_cmp_ne_u32_e32 vcc_lo, 1, v9
	v_mul_f32_e32 v7, s20, v7
	v_add_co_u32 v0, s1, v4, v0
	v_add_co_ci_u32_e64 v1, null, v5, v1, s1
	s_cbranch_vccnz .LBB4_21
; %bb.20:
	global_load_dword v10, v[0:1], off
	s_waitcnt vmcnt(0)
	v_fmac_f32_e32 v7, s9, v10
.LBB4_21:
	global_store_dword v[0:1], v7, off
.LBB4_22:
	s_or_b32 exec_lo, exec_lo, s2
	v_cmp_le_i32_e32 vcc_lo, v2, v8
	s_and_b32 s0, s0, vcc_lo
	s_and_saveexec_b32 s1, s0
	s_cbranch_execz .LBB4_26
; %bb.23:
	v_lshlrev_b64 v[0:1], 2, v[2:3]
	v_cmp_ne_u32_e32 vcc_lo, 1, v9
	v_mul_f32_e32 v2, s20, v6
	v_add_co_u32 v0, s0, v4, v0
	v_add_co_ci_u32_e64 v1, null, v5, v1, s0
	s_cbranch_vccnz .LBB4_25
; %bb.24:
	global_load_dword v3, v[0:1], off
	s_waitcnt vmcnt(0)
	v_fmac_f32_e32 v2, s9, v3
.LBB4_25:
	global_store_dword v[0:1], v2, off
.LBB4_26:
	s_endpgm
	.section	.rodata,"a",@progbits
	.p2align	6, 0x0
	.amdhsa_kernel _ZL29rocblas_internal_gemmt_kernelIiLi16ELi32ELi8ELc84ELc84ELc85ELb0ELb0EfPKfS1_PfEviT_T9_T10_S3_lS5_S3_lS4_T11_S3_li
		.amdhsa_group_segment_fixed_size 2048
		.amdhsa_private_segment_fixed_size 0
		.amdhsa_kernarg_size 100
		.amdhsa_user_sgpr_count 6
		.amdhsa_user_sgpr_private_segment_buffer 1
		.amdhsa_user_sgpr_dispatch_ptr 0
		.amdhsa_user_sgpr_queue_ptr 0
		.amdhsa_user_sgpr_kernarg_segment_ptr 1
		.amdhsa_user_sgpr_dispatch_id 0
		.amdhsa_user_sgpr_flat_scratch_init 0
		.amdhsa_user_sgpr_private_segment_size 0
		.amdhsa_wavefront_size32 1
		.amdhsa_uses_dynamic_stack 0
		.amdhsa_system_sgpr_private_segment_wavefront_offset 0
		.amdhsa_system_sgpr_workgroup_id_x 1
		.amdhsa_system_sgpr_workgroup_id_y 1
		.amdhsa_system_sgpr_workgroup_id_z 1
		.amdhsa_system_sgpr_workgroup_info 0
		.amdhsa_system_vgpr_workitem_id 1
		.amdhsa_next_free_vgpr 42
		.amdhsa_next_free_sgpr 24
		.amdhsa_reserve_vcc 1
		.amdhsa_reserve_flat_scratch 0
		.amdhsa_float_round_mode_32 0
		.amdhsa_float_round_mode_16_64 0
		.amdhsa_float_denorm_mode_32 3
		.amdhsa_float_denorm_mode_16_64 3
		.amdhsa_dx10_clamp 1
		.amdhsa_ieee_mode 1
		.amdhsa_fp16_overflow 0
		.amdhsa_workgroup_processor_mode 1
		.amdhsa_memory_ordered 1
		.amdhsa_forward_progress 1
		.amdhsa_shared_vgpr_count 0
		.amdhsa_exception_fp_ieee_invalid_op 0
		.amdhsa_exception_fp_denorm_src 0
		.amdhsa_exception_fp_ieee_div_zero 0
		.amdhsa_exception_fp_ieee_overflow 0
		.amdhsa_exception_fp_ieee_underflow 0
		.amdhsa_exception_fp_ieee_inexact 0
		.amdhsa_exception_int_div_zero 0
	.end_amdhsa_kernel
	.section	.text._ZL29rocblas_internal_gemmt_kernelIiLi16ELi32ELi8ELc84ELc84ELc85ELb0ELb0EfPKfS1_PfEviT_T9_T10_S3_lS5_S3_lS4_T11_S3_li,"axG",@progbits,_ZL29rocblas_internal_gemmt_kernelIiLi16ELi32ELi8ELc84ELc84ELc85ELb0ELb0EfPKfS1_PfEviT_T9_T10_S3_lS5_S3_lS4_T11_S3_li,comdat
.Lfunc_end4:
	.size	_ZL29rocblas_internal_gemmt_kernelIiLi16ELi32ELi8ELc84ELc84ELc85ELb0ELb0EfPKfS1_PfEviT_T9_T10_S3_lS5_S3_lS4_T11_S3_li, .Lfunc_end4-_ZL29rocblas_internal_gemmt_kernelIiLi16ELi32ELi8ELc84ELc84ELc85ELb0ELb0EfPKfS1_PfEviT_T9_T10_S3_lS5_S3_lS4_T11_S3_li
                                        ; -- End function
	.set _ZL29rocblas_internal_gemmt_kernelIiLi16ELi32ELi8ELc84ELc84ELc85ELb0ELb0EfPKfS1_PfEviT_T9_T10_S3_lS5_S3_lS4_T11_S3_li.num_vgpr, 42
	.set _ZL29rocblas_internal_gemmt_kernelIiLi16ELi32ELi8ELc84ELc84ELc85ELb0ELb0EfPKfS1_PfEviT_T9_T10_S3_lS5_S3_lS4_T11_S3_li.num_agpr, 0
	.set _ZL29rocblas_internal_gemmt_kernelIiLi16ELi32ELi8ELc84ELc84ELc85ELb0ELb0EfPKfS1_PfEviT_T9_T10_S3_lS5_S3_lS4_T11_S3_li.numbered_sgpr, 24
	.set _ZL29rocblas_internal_gemmt_kernelIiLi16ELi32ELi8ELc84ELc84ELc85ELb0ELb0EfPKfS1_PfEviT_T9_T10_S3_lS5_S3_lS4_T11_S3_li.num_named_barrier, 0
	.set _ZL29rocblas_internal_gemmt_kernelIiLi16ELi32ELi8ELc84ELc84ELc85ELb0ELb0EfPKfS1_PfEviT_T9_T10_S3_lS5_S3_lS4_T11_S3_li.private_seg_size, 0
	.set _ZL29rocblas_internal_gemmt_kernelIiLi16ELi32ELi8ELc84ELc84ELc85ELb0ELb0EfPKfS1_PfEviT_T9_T10_S3_lS5_S3_lS4_T11_S3_li.uses_vcc, 1
	.set _ZL29rocblas_internal_gemmt_kernelIiLi16ELi32ELi8ELc84ELc84ELc85ELb0ELb0EfPKfS1_PfEviT_T9_T10_S3_lS5_S3_lS4_T11_S3_li.uses_flat_scratch, 0
	.set _ZL29rocblas_internal_gemmt_kernelIiLi16ELi32ELi8ELc84ELc84ELc85ELb0ELb0EfPKfS1_PfEviT_T9_T10_S3_lS5_S3_lS4_T11_S3_li.has_dyn_sized_stack, 0
	.set _ZL29rocblas_internal_gemmt_kernelIiLi16ELi32ELi8ELc84ELc84ELc85ELb0ELb0EfPKfS1_PfEviT_T9_T10_S3_lS5_S3_lS4_T11_S3_li.has_recursion, 0
	.set _ZL29rocblas_internal_gemmt_kernelIiLi16ELi32ELi8ELc84ELc84ELc85ELb0ELb0EfPKfS1_PfEviT_T9_T10_S3_lS5_S3_lS4_T11_S3_li.has_indirect_call, 0
	.section	.AMDGPU.csdata,"",@progbits
; Kernel info:
; codeLenInByte = 1420
; TotalNumSgprs: 26
; NumVgprs: 42
; ScratchSize: 0
; MemoryBound: 0
; FloatMode: 240
; IeeeMode: 1
; LDSByteSize: 2048 bytes/workgroup (compile time only)
; SGPRBlocks: 0
; VGPRBlocks: 5
; NumSGPRsForWavesPerEU: 26
; NumVGPRsForWavesPerEU: 42
; Occupancy: 16
; WaveLimiterHint : 0
; COMPUTE_PGM_RSRC2:SCRATCH_EN: 0
; COMPUTE_PGM_RSRC2:USER_SGPR: 6
; COMPUTE_PGM_RSRC2:TRAP_HANDLER: 0
; COMPUTE_PGM_RSRC2:TGID_X_EN: 1
; COMPUTE_PGM_RSRC2:TGID_Y_EN: 1
; COMPUTE_PGM_RSRC2:TGID_Z_EN: 1
; COMPUTE_PGM_RSRC2:TIDIG_COMP_CNT: 1
	.section	.text._ZL29rocblas_internal_gemmt_kernelIiLi16ELi32ELi8ELc84ELc67ELc85ELb0ELb0EfPKfS1_PfEviT_T9_T10_S3_lS5_S3_lS4_T11_S3_li,"axG",@progbits,_ZL29rocblas_internal_gemmt_kernelIiLi16ELi32ELi8ELc84ELc67ELc85ELb0ELb0EfPKfS1_PfEviT_T9_T10_S3_lS5_S3_lS4_T11_S3_li,comdat
	.globl	_ZL29rocblas_internal_gemmt_kernelIiLi16ELi32ELi8ELc84ELc67ELc85ELb0ELb0EfPKfS1_PfEviT_T9_T10_S3_lS5_S3_lS4_T11_S3_li ; -- Begin function _ZL29rocblas_internal_gemmt_kernelIiLi16ELi32ELi8ELc84ELc67ELc85ELb0ELb0EfPKfS1_PfEviT_T9_T10_S3_lS5_S3_lS4_T11_S3_li
	.p2align	8
	.type	_ZL29rocblas_internal_gemmt_kernelIiLi16ELi32ELi8ELc84ELc67ELc85ELb0ELb0EfPKfS1_PfEviT_T9_T10_S3_lS5_S3_lS4_T11_S3_li,@function
_ZL29rocblas_internal_gemmt_kernelIiLi16ELi32ELi8ELc84ELc67ELc85ELb0ELb0EfPKfS1_PfEviT_T9_T10_S3_lS5_S3_lS4_T11_S3_li: ; @_ZL29rocblas_internal_gemmt_kernelIiLi16ELi32ELi8ELc84ELc67ELc85ELb0ELb0EfPKfS1_PfEviT_T9_T10_S3_lS5_S3_lS4_T11_S3_li
; %bb.0:
	s_clause 0x1
	s_load_dwordx4 s[12:15], s[4:5], 0x38
	s_load_dwordx4 s[0:3], s[4:5], 0x8
	s_waitcnt lgkmcnt(0)
	s_load_dword s9, s[14:15], 0x0
	s_load_dwordx2 s[10:11], s[4:5], 0x0
	s_load_dword s20, s[0:1], 0x0
	s_waitcnt lgkmcnt(0)
	v_cmp_neq_f32_e64 s0, s9, 1.0
	s_and_b32 vcc_lo, exec_lo, s0
	s_cbranch_vccnz .LBB5_2
; %bb.1:
	v_cmp_neq_f32_e64 s0, s20, 0
	s_cmp_lg_u32 s11, 0
	s_cselect_b32 s1, -1, 0
	s_and_b32 s0, s1, s0
.LBB5_2:
	s_andn2_b32 vcc_lo, exec_lo, s0
	s_cbranch_vccnz .LBB5_26
; %bb.3:
	s_load_dwordx2 s[14:15], s[4:5], 0x48
	s_lshl_b32 s6, s6, 5
	s_lshl_b32 s7, s7, 5
	v_cmp_eq_f32_e64 s0, s20, 0
	s_cmp_lt_i32 s11, 1
	v_mov_b32_e32 v13, 0
	s_cselect_b32 s1, -1, 0
	v_mov_b32_e32 v8, 0
	v_mov_b32_e32 v7, 0
	;; [unrolled: 1-line block ×3, first 2 shown]
	s_or_b32 s0, s0, s1
	s_mov_b32 s21, 0
	s_and_b32 vcc_lo, exec_lo, s0
	s_cbranch_vccnz .LBB5_10
; %bb.4:
	s_load_dword s0, s[4:5], 0x18
	v_lshl_add_u32 v2, v1, 4, v0
	s_clause 0x1
	s_load_dwordx4 s[16:19], s[4:5], 0x20
	s_load_dword s22, s[4:5], 0x30
	v_and_b32_e32 v9, 7, v0
	v_lshlrev_b32_e32 v10, 2, v0
	v_lshl_add_u32 v11, v1, 5, 0x400
	v_and_b32_e32 v3, 31, v2
	v_lshrrev_b32_e32 v4, 3, v2
	v_lshlrev_b32_e32 v5, 2, v9
	v_lshrrev_b32_e32 v12, 5, v2
	v_add_nc_u32_e32 v7, s6, v3
	v_add_nc_u32_e32 v2, s7, v4
	v_lshl_or_b32 v8, v4, 5, v5
	v_or_b32_e32 v6, s6, v3
	v_lshlrev_b32_e32 v3, 2, v3
	v_lshlrev_b32_e32 v16, 2, v12
	v_add_nc_u32_e32 v15, 0x400, v8
	v_cmp_gt_i32_e32 vcc_lo, s10, v6
	s_waitcnt lgkmcnt(0)
	v_mad_i64_i32 v[4:5], null, s0, v7, 0
	s_mul_i32 s1, s17, s8
	s_mul_hi_u32 s17, s16, s8
	v_mad_i64_i32 v[6:7], null, s22, v9, 0
	s_mul_i32 s16, s16, s8
	s_add_i32 s17, s17, s1
	v_lshlrev_b64 v[4:5], 2, v[4:5]
	s_lshl_b64 s[16:17], s[16:17], 2
	v_lshl_or_b32 v14, v12, 7, v3
	v_ashrrev_i32_e32 v3, 31, v2
	v_cmp_gt_i32_e64 s0, s10, v2
	s_ashr_i32 s23, s22, 31
	v_add_co_u32 v8, s1, v4, s16
	v_add_co_ci_u32_e64 v13, null, s17, v5, s1
	s_mul_i32 s1, s13, s8
	s_mul_hi_u32 s13, s12, s8
	v_lshlrev_b64 v[4:5], 2, v[6:7]
	s_add_i32 s13, s13, s1
	s_mul_i32 s12, s12, s8
	v_lshlrev_b64 v[2:3], 2, v[2:3]
	s_lshl_b64 s[12:13], s[12:13], 2
	v_mov_b32_e32 v6, 0
	v_add_co_u32 v4, s1, s12, v4
	v_add_co_ci_u32_e64 v5, null, s13, v5, s1
	v_add_co_u32 v7, s1, v8, v16
	v_add_co_ci_u32_e64 v8, null, 0, v13, s1
	;; [unrolled: 2-line block ×5, first 2 shown]
	v_mov_b32_e32 v7, 0
	v_mov_b32_e32 v8, 0
	v_mov_b32_e32 v13, 0
	s_lshl_b64 s[2:3], s[22:23], 5
	s_branch .LBB5_6
.LBB5_5:                                ;   in Loop: Header=BB5_6 Depth=1
	s_or_b32 exec_lo, exec_lo, s1
	s_waitcnt vmcnt(0)
	ds_write_b32 v15, v17
	s_waitcnt lgkmcnt(0)
	s_barrier
	buffer_gl0_inv
	ds_read_b128 v[16:19], v11
	ds_read2_b32 v[32:33], v10 offset1:16
	ds_read_b128 v[20:23], v11 offset:512
	ds_read2_b32 v[34:35], v10 offset0:32 offset1:48
	ds_read2_b32 v[36:37], v10 offset0:64 offset1:80
	;; [unrolled: 1-line block ×3, first 2 shown]
	ds_read_b128 v[24:27], v11 offset:16
	ds_read2_b32 v[40:41], v10 offset0:128 offset1:144
	ds_read_b128 v[28:31], v11 offset:528
	v_add_co_u32 v2, s1, v2, 32
	v_add_co_ci_u32_e64 v3, null, 0, v3, s1
	v_add_co_u32 v4, s1, v4, s2
	v_add_co_ci_u32_e64 v5, null, s3, v5, s1
	s_add_i32 s21, s21, 8
	s_cmp_lt_i32 s21, s11
	s_waitcnt lgkmcnt(7)
	v_fmac_f32_e32 v13, v32, v16
	v_fmac_f32_e32 v8, v33, v16
	s_waitcnt lgkmcnt(6)
	v_fmac_f32_e32 v7, v32, v20
	v_fmac_f32_e32 v6, v33, v20
	ds_read2_b32 v[32:33], v10 offset0:160 offset1:176
	s_waitcnt lgkmcnt(6)
	v_fmac_f32_e32 v13, v34, v17
	v_fmac_f32_e32 v8, v35, v17
	v_fmac_f32_e32 v7, v34, v21
	v_fmac_f32_e32 v6, v35, v21
	ds_read2_b32 v[16:17], v10 offset0:192 offset1:208
	s_waitcnt lgkmcnt(6)
	v_fmac_f32_e32 v13, v36, v18
	v_fmac_f32_e32 v8, v37, v18
	;; [unrolled: 6-line block ×3, first 2 shown]
	v_fmac_f32_e32 v7, v38, v23
	v_fmac_f32_e32 v6, v39, v23
	s_waitcnt lgkmcnt(0)
	v_fmac_f32_e32 v13, v40, v24
	v_fmac_f32_e32 v8, v41, v24
	;; [unrolled: 1-line block ×4, first 2 shown]
	s_barrier
	v_fmac_f32_e32 v13, v32, v25
	v_fmac_f32_e32 v8, v33, v25
	;; [unrolled: 1-line block ×4, first 2 shown]
	buffer_gl0_inv
	v_fmac_f32_e32 v13, v16, v26
	v_fmac_f32_e32 v8, v17, v26
	;; [unrolled: 1-line block ×8, first 2 shown]
	s_cbranch_scc0 .LBB5_10
.LBB5_6:                                ; =>This Inner Loop Header: Depth=1
	v_add_nc_u32_e32 v16, s21, v12
	v_cmp_gt_i32_e64 s1, s11, v16
	v_mov_b32_e32 v16, 0
	s_and_b32 s12, vcc_lo, s1
	s_and_saveexec_b32 s1, s12
	s_cbranch_execz .LBB5_8
; %bb.7:                                ;   in Loop: Header=BB5_6 Depth=1
	global_load_dword v16, v[2:3], off
.LBB5_8:                                ;   in Loop: Header=BB5_6 Depth=1
	s_or_b32 exec_lo, exec_lo, s1
	v_add_nc_u32_e32 v17, s21, v9
	s_waitcnt vmcnt(0)
	ds_write_b32 v14, v16
	v_cmp_gt_i32_e64 s1, s11, v17
	v_mov_b32_e32 v17, 0
	s_and_b32 s12, s1, s0
	s_and_saveexec_b32 s1, s12
	s_cbranch_execz .LBB5_5
; %bb.9:                                ;   in Loop: Header=BB5_6 Depth=1
	global_load_dword v17, v[4:5], off
	s_branch .LBB5_5
.LBB5_10:
	s_clause 0x1
	s_load_dword s2, s[4:5], 0x50
	s_load_dwordx2 s[4:5], s[4:5], 0x58
	v_add_nc_u32_e32 v10, s7, v1
	v_add_nc_u32_e32 v0, s6, v0
	v_cmp_gt_i32_e64 s0, s10, v10
	v_cmp_le_i32_e32 vcc_lo, v0, v10
	s_waitcnt lgkmcnt(0)
	v_mad_i64_i32 v[1:2], null, v10, s2, 0
	s_mul_i32 s1, s5, s8
	s_mul_hi_u32 s3, s4, s8
	s_mul_i32 s4, s4, s8
	s_add_i32 s5, s3, s1
	s_lshl_b64 s[4:5], s[4:5], 2
	v_lshlrev_b64 v[2:3], 2, v[1:2]
	s_add_u32 s3, s14, s4
	s_addc_u32 s4, s15, s5
	v_cmp_neq_f32_e64 s5, s9, 0
	v_ashrrev_i32_e32 v1, 31, v0
	s_and_b32 s6, s0, vcc_lo
	v_add_co_u32 v4, s1, s3, v2
	v_add_co_ci_u32_e64 v5, null, s4, v3, s1
	v_cndmask_b32_e64 v9, 0, 1, s5
	s_and_saveexec_b32 s1, s6
	s_cbranch_execz .LBB5_14
; %bb.11:
	v_lshlrev_b64 v[2:3], 2, v[0:1]
	v_mul_f32_e32 v11, s20, v13
	v_add_co_u32 v2, vcc_lo, v4, v2
	v_add_co_ci_u32_e64 v3, null, v5, v3, vcc_lo
	s_andn2_b32 vcc_lo, exec_lo, s5
	s_cbranch_vccnz .LBB5_13
; %bb.12:
	global_load_dword v12, v[2:3], off
	s_waitcnt vmcnt(0)
	v_fmac_f32_e32 v11, s9, v12
.LBB5_13:
	global_store_dword v[2:3], v11, off
.LBB5_14:
	s_or_b32 exec_lo, exec_lo, s1
	v_add_nc_u32_e32 v2, 16, v0
	v_cmp_le_i32_e32 vcc_lo, v2, v10
	v_ashrrev_i32_e32 v3, 31, v2
	s_and_b32 s0, s0, vcc_lo
	s_and_saveexec_b32 s1, s0
	s_cbranch_execz .LBB5_18
; %bb.15:
	v_lshlrev_b64 v[11:12], 2, v[2:3]
	v_cmp_ne_u32_e32 vcc_lo, 1, v9
	v_mul_f32_e32 v8, s20, v8
	v_add_co_u32 v4, s0, v4, v11
	v_add_co_ci_u32_e64 v5, null, v5, v12, s0
	s_cbranch_vccnz .LBB5_17
; %bb.16:
	global_load_dword v11, v[4:5], off
	s_waitcnt vmcnt(0)
	v_fmac_f32_e32 v8, s9, v11
.LBB5_17:
	global_store_dword v[4:5], v8, off
.LBB5_18:
	s_or_b32 exec_lo, exec_lo, s1
	v_add_nc_u32_e32 v8, 16, v10
	v_mad_i64_i32 v[4:5], null, v8, s2, 0
	v_cmp_gt_i32_e64 s0, s10, v8
	v_cmp_le_i32_e32 vcc_lo, v0, v8
	v_lshlrev_b64 v[4:5], 2, v[4:5]
	v_add_co_u32 v4, s1, s3, v4
	v_add_co_ci_u32_e64 v5, null, s4, v5, s1
	s_and_b32 s1, s0, vcc_lo
	s_and_saveexec_b32 s2, s1
	s_cbranch_execz .LBB5_22
; %bb.19:
	v_lshlrev_b64 v[0:1], 2, v[0:1]
	v_cmp_ne_u32_e32 vcc_lo, 1, v9
	v_mul_f32_e32 v7, s20, v7
	v_add_co_u32 v0, s1, v4, v0
	v_add_co_ci_u32_e64 v1, null, v5, v1, s1
	s_cbranch_vccnz .LBB5_21
; %bb.20:
	global_load_dword v10, v[0:1], off
	s_waitcnt vmcnt(0)
	v_fmac_f32_e32 v7, s9, v10
.LBB5_21:
	global_store_dword v[0:1], v7, off
.LBB5_22:
	s_or_b32 exec_lo, exec_lo, s2
	v_cmp_le_i32_e32 vcc_lo, v2, v8
	s_and_b32 s0, s0, vcc_lo
	s_and_saveexec_b32 s1, s0
	s_cbranch_execz .LBB5_26
; %bb.23:
	v_lshlrev_b64 v[0:1], 2, v[2:3]
	v_cmp_ne_u32_e32 vcc_lo, 1, v9
	v_mul_f32_e32 v2, s20, v6
	v_add_co_u32 v0, s0, v4, v0
	v_add_co_ci_u32_e64 v1, null, v5, v1, s0
	s_cbranch_vccnz .LBB5_25
; %bb.24:
	global_load_dword v3, v[0:1], off
	s_waitcnt vmcnt(0)
	v_fmac_f32_e32 v2, s9, v3
.LBB5_25:
	global_store_dword v[0:1], v2, off
.LBB5_26:
	s_endpgm
	.section	.rodata,"a",@progbits
	.p2align	6, 0x0
	.amdhsa_kernel _ZL29rocblas_internal_gemmt_kernelIiLi16ELi32ELi8ELc84ELc67ELc85ELb0ELb0EfPKfS1_PfEviT_T9_T10_S3_lS5_S3_lS4_T11_S3_li
		.amdhsa_group_segment_fixed_size 2048
		.amdhsa_private_segment_fixed_size 0
		.amdhsa_kernarg_size 100
		.amdhsa_user_sgpr_count 6
		.amdhsa_user_sgpr_private_segment_buffer 1
		.amdhsa_user_sgpr_dispatch_ptr 0
		.amdhsa_user_sgpr_queue_ptr 0
		.amdhsa_user_sgpr_kernarg_segment_ptr 1
		.amdhsa_user_sgpr_dispatch_id 0
		.amdhsa_user_sgpr_flat_scratch_init 0
		.amdhsa_user_sgpr_private_segment_size 0
		.amdhsa_wavefront_size32 1
		.amdhsa_uses_dynamic_stack 0
		.amdhsa_system_sgpr_private_segment_wavefront_offset 0
		.amdhsa_system_sgpr_workgroup_id_x 1
		.amdhsa_system_sgpr_workgroup_id_y 1
		.amdhsa_system_sgpr_workgroup_id_z 1
		.amdhsa_system_sgpr_workgroup_info 0
		.amdhsa_system_vgpr_workitem_id 1
		.amdhsa_next_free_vgpr 42
		.amdhsa_next_free_sgpr 24
		.amdhsa_reserve_vcc 1
		.amdhsa_reserve_flat_scratch 0
		.amdhsa_float_round_mode_32 0
		.amdhsa_float_round_mode_16_64 0
		.amdhsa_float_denorm_mode_32 3
		.amdhsa_float_denorm_mode_16_64 3
		.amdhsa_dx10_clamp 1
		.amdhsa_ieee_mode 1
		.amdhsa_fp16_overflow 0
		.amdhsa_workgroup_processor_mode 1
		.amdhsa_memory_ordered 1
		.amdhsa_forward_progress 1
		.amdhsa_shared_vgpr_count 0
		.amdhsa_exception_fp_ieee_invalid_op 0
		.amdhsa_exception_fp_denorm_src 0
		.amdhsa_exception_fp_ieee_div_zero 0
		.amdhsa_exception_fp_ieee_overflow 0
		.amdhsa_exception_fp_ieee_underflow 0
		.amdhsa_exception_fp_ieee_inexact 0
		.amdhsa_exception_int_div_zero 0
	.end_amdhsa_kernel
	.section	.text._ZL29rocblas_internal_gemmt_kernelIiLi16ELi32ELi8ELc84ELc67ELc85ELb0ELb0EfPKfS1_PfEviT_T9_T10_S3_lS5_S3_lS4_T11_S3_li,"axG",@progbits,_ZL29rocblas_internal_gemmt_kernelIiLi16ELi32ELi8ELc84ELc67ELc85ELb0ELb0EfPKfS1_PfEviT_T9_T10_S3_lS5_S3_lS4_T11_S3_li,comdat
.Lfunc_end5:
	.size	_ZL29rocblas_internal_gemmt_kernelIiLi16ELi32ELi8ELc84ELc67ELc85ELb0ELb0EfPKfS1_PfEviT_T9_T10_S3_lS5_S3_lS4_T11_S3_li, .Lfunc_end5-_ZL29rocblas_internal_gemmt_kernelIiLi16ELi32ELi8ELc84ELc67ELc85ELb0ELb0EfPKfS1_PfEviT_T9_T10_S3_lS5_S3_lS4_T11_S3_li
                                        ; -- End function
	.set _ZL29rocblas_internal_gemmt_kernelIiLi16ELi32ELi8ELc84ELc67ELc85ELb0ELb0EfPKfS1_PfEviT_T9_T10_S3_lS5_S3_lS4_T11_S3_li.num_vgpr, 42
	.set _ZL29rocblas_internal_gemmt_kernelIiLi16ELi32ELi8ELc84ELc67ELc85ELb0ELb0EfPKfS1_PfEviT_T9_T10_S3_lS5_S3_lS4_T11_S3_li.num_agpr, 0
	.set _ZL29rocblas_internal_gemmt_kernelIiLi16ELi32ELi8ELc84ELc67ELc85ELb0ELb0EfPKfS1_PfEviT_T9_T10_S3_lS5_S3_lS4_T11_S3_li.numbered_sgpr, 24
	.set _ZL29rocblas_internal_gemmt_kernelIiLi16ELi32ELi8ELc84ELc67ELc85ELb0ELb0EfPKfS1_PfEviT_T9_T10_S3_lS5_S3_lS4_T11_S3_li.num_named_barrier, 0
	.set _ZL29rocblas_internal_gemmt_kernelIiLi16ELi32ELi8ELc84ELc67ELc85ELb0ELb0EfPKfS1_PfEviT_T9_T10_S3_lS5_S3_lS4_T11_S3_li.private_seg_size, 0
	.set _ZL29rocblas_internal_gemmt_kernelIiLi16ELi32ELi8ELc84ELc67ELc85ELb0ELb0EfPKfS1_PfEviT_T9_T10_S3_lS5_S3_lS4_T11_S3_li.uses_vcc, 1
	.set _ZL29rocblas_internal_gemmt_kernelIiLi16ELi32ELi8ELc84ELc67ELc85ELb0ELb0EfPKfS1_PfEviT_T9_T10_S3_lS5_S3_lS4_T11_S3_li.uses_flat_scratch, 0
	.set _ZL29rocblas_internal_gemmt_kernelIiLi16ELi32ELi8ELc84ELc67ELc85ELb0ELb0EfPKfS1_PfEviT_T9_T10_S3_lS5_S3_lS4_T11_S3_li.has_dyn_sized_stack, 0
	.set _ZL29rocblas_internal_gemmt_kernelIiLi16ELi32ELi8ELc84ELc67ELc85ELb0ELb0EfPKfS1_PfEviT_T9_T10_S3_lS5_S3_lS4_T11_S3_li.has_recursion, 0
	.set _ZL29rocblas_internal_gemmt_kernelIiLi16ELi32ELi8ELc84ELc67ELc85ELb0ELb0EfPKfS1_PfEviT_T9_T10_S3_lS5_S3_lS4_T11_S3_li.has_indirect_call, 0
	.section	.AMDGPU.csdata,"",@progbits
; Kernel info:
; codeLenInByte = 1420
; TotalNumSgprs: 26
; NumVgprs: 42
; ScratchSize: 0
; MemoryBound: 0
; FloatMode: 240
; IeeeMode: 1
; LDSByteSize: 2048 bytes/workgroup (compile time only)
; SGPRBlocks: 0
; VGPRBlocks: 5
; NumSGPRsForWavesPerEU: 26
; NumVGPRsForWavesPerEU: 42
; Occupancy: 16
; WaveLimiterHint : 0
; COMPUTE_PGM_RSRC2:SCRATCH_EN: 0
; COMPUTE_PGM_RSRC2:USER_SGPR: 6
; COMPUTE_PGM_RSRC2:TRAP_HANDLER: 0
; COMPUTE_PGM_RSRC2:TGID_X_EN: 1
; COMPUTE_PGM_RSRC2:TGID_Y_EN: 1
; COMPUTE_PGM_RSRC2:TGID_Z_EN: 1
; COMPUTE_PGM_RSRC2:TIDIG_COMP_CNT: 1
	.section	.text._ZL29rocblas_internal_gemmt_kernelIiLi16ELi32ELi8ELc67ELc78ELc85ELb0ELb0EfPKfS1_PfEviT_T9_T10_S3_lS5_S3_lS4_T11_S3_li,"axG",@progbits,_ZL29rocblas_internal_gemmt_kernelIiLi16ELi32ELi8ELc67ELc78ELc85ELb0ELb0EfPKfS1_PfEviT_T9_T10_S3_lS5_S3_lS4_T11_S3_li,comdat
	.globl	_ZL29rocblas_internal_gemmt_kernelIiLi16ELi32ELi8ELc67ELc78ELc85ELb0ELb0EfPKfS1_PfEviT_T9_T10_S3_lS5_S3_lS4_T11_S3_li ; -- Begin function _ZL29rocblas_internal_gemmt_kernelIiLi16ELi32ELi8ELc67ELc78ELc85ELb0ELb0EfPKfS1_PfEviT_T9_T10_S3_lS5_S3_lS4_T11_S3_li
	.p2align	8
	.type	_ZL29rocblas_internal_gemmt_kernelIiLi16ELi32ELi8ELc67ELc78ELc85ELb0ELb0EfPKfS1_PfEviT_T9_T10_S3_lS5_S3_lS4_T11_S3_li,@function
_ZL29rocblas_internal_gemmt_kernelIiLi16ELi32ELi8ELc67ELc78ELc85ELb0ELb0EfPKfS1_PfEviT_T9_T10_S3_lS5_S3_lS4_T11_S3_li: ; @_ZL29rocblas_internal_gemmt_kernelIiLi16ELi32ELi8ELc67ELc78ELc85ELb0ELb0EfPKfS1_PfEviT_T9_T10_S3_lS5_S3_lS4_T11_S3_li
; %bb.0:
	s_clause 0x1
	s_load_dwordx4 s[12:15], s[4:5], 0x38
	s_load_dwordx4 s[0:3], s[4:5], 0x8
	s_waitcnt lgkmcnt(0)
	s_load_dword s9, s[14:15], 0x0
	s_load_dwordx2 s[10:11], s[4:5], 0x0
	s_load_dword s20, s[0:1], 0x0
	s_waitcnt lgkmcnt(0)
	v_cmp_neq_f32_e64 s0, s9, 1.0
	s_and_b32 vcc_lo, exec_lo, s0
	s_cbranch_vccnz .LBB6_2
; %bb.1:
	v_cmp_neq_f32_e64 s0, s20, 0
	s_cmp_lg_u32 s11, 0
	s_cselect_b32 s1, -1, 0
	s_and_b32 s0, s1, s0
.LBB6_2:
	s_andn2_b32 vcc_lo, exec_lo, s0
	s_cbranch_vccnz .LBB6_26
; %bb.3:
	s_load_dwordx2 s[14:15], s[4:5], 0x48
	s_lshl_b32 s6, s6, 5
	s_lshl_b32 s7, s7, 5
	v_cmp_eq_f32_e64 s0, s20, 0
	s_cmp_lt_i32 s11, 1
	v_mov_b32_e32 v11, 0
	s_cselect_b32 s1, -1, 0
	v_mov_b32_e32 v8, 0
	v_mov_b32_e32 v7, 0
	;; [unrolled: 1-line block ×3, first 2 shown]
	s_or_b32 s0, s0, s1
	s_mov_b32 s21, 0
	s_and_b32 vcc_lo, exec_lo, s0
	s_cbranch_vccnz .LBB6_10
; %bb.4:
	s_load_dword s0, s[4:5], 0x18
	v_lshl_add_u32 v2, v1, 4, v0
	s_clause 0x1
	s_load_dwordx4 s[16:19], s[4:5], 0x20
	s_load_dword s1, s[4:5], 0x30
	v_and_b32_e32 v9, 7, v0
	v_lshlrev_b32_e32 v10, 2, v0
	v_lshl_add_u32 v12, v1, 5, 0x400
	v_and_b32_e32 v4, 31, v2
	v_lshrrev_b32_e32 v3, 3, v2
	v_lshrrev_b32_e32 v13, 5, v2
	v_lshlrev_b32_e32 v7, 2, v9
	v_add_nc_u32_e32 v2, s6, v4
	v_add_nc_u32_e32 v5, s7, v3
	v_or_b32_e32 v6, s6, v4
	v_lshl_or_b32 v8, v3, 5, v7
	v_lshlrev_b32_e32 v4, 2, v4
	v_lshlrev_b32_e32 v11, 2, v13
	v_cmp_gt_i32_e32 vcc_lo, s10, v6
	v_add_nc_u32_e32 v15, 0x400, v8
	s_waitcnt lgkmcnt(0)
	v_mad_i64_i32 v[2:3], null, s0, v2, 0
	v_lshl_or_b32 v14, v13, 7, v4
	v_cmp_gt_i32_e64 s0, s10, v5
	s_mul_i32 s17, s17, s8
	s_mul_hi_u32 s22, s16, s8
	v_mad_i64_i32 v[4:5], null, s1, v5, 0
	v_lshlrev_b64 v[2:3], 2, v[2:3]
	s_mul_i32 s16, s16, s8
	s_add_i32 s17, s22, s17
	v_mov_b32_e32 v6, 0
	s_lshl_b64 s[16:17], s[16:17], 2
	v_add_co_u32 v8, s1, v2, s16
	v_add_co_ci_u32_e64 v16, null, s17, v3, s1
	s_mul_i32 s1, s13, s8
	s_mul_hi_u32 s13, s12, s8
	v_lshlrev_b64 v[2:3], 2, v[4:5]
	s_add_i32 s13, s13, s1
	s_mul_i32 s12, s12, s8
	s_lshl_b64 s[12:13], s[12:13], 2
	v_add_co_u32 v2, s1, v2, s12
	v_add_co_ci_u32_e64 v3, null, s13, v3, s1
	v_add_co_u32 v4, s1, v8, v11
	v_add_co_ci_u32_e64 v5, null, 0, v16, s1
	;; [unrolled: 2-line block ×5, first 2 shown]
	v_mov_b32_e32 v7, 0
	v_mov_b32_e32 v8, 0
	;; [unrolled: 1-line block ×3, first 2 shown]
	s_branch .LBB6_6
.LBB6_5:                                ;   in Loop: Header=BB6_6 Depth=1
	s_or_b32 exec_lo, exec_lo, s1
	s_waitcnt vmcnt(0)
	ds_write_b32 v15, v17
	s_waitcnt lgkmcnt(0)
	s_barrier
	buffer_gl0_inv
	ds_read_b128 v[16:19], v12
	ds_read2_b32 v[32:33], v10 offset1:16
	ds_read_b128 v[20:23], v12 offset:512
	ds_read2_b32 v[34:35], v10 offset0:32 offset1:48
	ds_read2_b32 v[36:37], v10 offset0:64 offset1:80
	;; [unrolled: 1-line block ×3, first 2 shown]
	ds_read_b128 v[24:27], v12 offset:16
	ds_read2_b32 v[40:41], v10 offset0:128 offset1:144
	ds_read_b128 v[28:31], v12 offset:528
	v_add_co_u32 v2, s1, v2, 32
	v_add_co_ci_u32_e64 v3, null, 0, v3, s1
	v_add_co_u32 v4, s1, v4, 32
	v_add_co_ci_u32_e64 v5, null, 0, v5, s1
	s_add_i32 s21, s21, 8
	s_cmp_lt_i32 s21, s11
	s_waitcnt lgkmcnt(7)
	v_fmac_f32_e32 v11, v32, v16
	v_fmac_f32_e32 v8, v33, v16
	s_waitcnt lgkmcnt(6)
	v_fmac_f32_e32 v7, v32, v20
	v_fmac_f32_e32 v6, v33, v20
	ds_read2_b32 v[32:33], v10 offset0:160 offset1:176
	s_waitcnt lgkmcnt(6)
	v_fmac_f32_e32 v11, v34, v17
	v_fmac_f32_e32 v8, v35, v17
	v_fmac_f32_e32 v7, v34, v21
	v_fmac_f32_e32 v6, v35, v21
	ds_read2_b32 v[16:17], v10 offset0:192 offset1:208
	s_waitcnt lgkmcnt(6)
	v_fmac_f32_e32 v11, v36, v18
	v_fmac_f32_e32 v8, v37, v18
	;; [unrolled: 6-line block ×3, first 2 shown]
	v_fmac_f32_e32 v7, v38, v23
	v_fmac_f32_e32 v6, v39, v23
	s_waitcnt lgkmcnt(0)
	v_fmac_f32_e32 v11, v40, v24
	v_fmac_f32_e32 v8, v41, v24
	v_fmac_f32_e32 v7, v40, v28
	v_fmac_f32_e32 v6, v41, v28
	s_barrier
	v_fmac_f32_e32 v11, v32, v25
	v_fmac_f32_e32 v8, v33, v25
	;; [unrolled: 1-line block ×4, first 2 shown]
	buffer_gl0_inv
	v_fmac_f32_e32 v11, v16, v26
	v_fmac_f32_e32 v8, v17, v26
	;; [unrolled: 1-line block ×8, first 2 shown]
	s_cbranch_scc0 .LBB6_10
.LBB6_6:                                ; =>This Inner Loop Header: Depth=1
	v_add_nc_u32_e32 v16, s21, v13
	v_cmp_gt_i32_e64 s1, s11, v16
	v_mov_b32_e32 v16, 0
	s_and_b32 s2, vcc_lo, s1
	s_and_saveexec_b32 s1, s2
	s_cbranch_execz .LBB6_8
; %bb.7:                                ;   in Loop: Header=BB6_6 Depth=1
	global_load_dword v16, v[2:3], off
.LBB6_8:                                ;   in Loop: Header=BB6_6 Depth=1
	s_or_b32 exec_lo, exec_lo, s1
	v_add_nc_u32_e32 v17, s21, v9
	s_waitcnt vmcnt(0)
	ds_write_b32 v14, v16
	v_cmp_gt_i32_e64 s1, s11, v17
	v_mov_b32_e32 v17, 0
	s_and_b32 s2, s1, s0
	s_and_saveexec_b32 s1, s2
	s_cbranch_execz .LBB6_5
; %bb.9:                                ;   in Loop: Header=BB6_6 Depth=1
	global_load_dword v17, v[4:5], off
	s_branch .LBB6_5
.LBB6_10:
	s_clause 0x1
	s_load_dword s2, s[4:5], 0x50
	s_load_dwordx2 s[4:5], s[4:5], 0x58
	v_add_nc_u32_e32 v10, s7, v1
	v_add_nc_u32_e32 v0, s6, v0
	v_cmp_gt_i32_e64 s0, s10, v10
	v_cmp_le_i32_e32 vcc_lo, v0, v10
	s_waitcnt lgkmcnt(0)
	v_mad_i64_i32 v[1:2], null, v10, s2, 0
	s_mul_i32 s1, s5, s8
	s_mul_hi_u32 s3, s4, s8
	s_mul_i32 s4, s4, s8
	s_add_i32 s5, s3, s1
	s_lshl_b64 s[4:5], s[4:5], 2
	v_lshlrev_b64 v[2:3], 2, v[1:2]
	s_add_u32 s3, s14, s4
	s_addc_u32 s4, s15, s5
	v_cmp_neq_f32_e64 s5, s9, 0
	v_ashrrev_i32_e32 v1, 31, v0
	s_and_b32 s6, s0, vcc_lo
	v_add_co_u32 v4, s1, s3, v2
	v_add_co_ci_u32_e64 v5, null, s4, v3, s1
	v_cndmask_b32_e64 v9, 0, 1, s5
	s_and_saveexec_b32 s1, s6
	s_cbranch_execz .LBB6_14
; %bb.11:
	v_lshlrev_b64 v[2:3], 2, v[0:1]
	v_mul_f32_e32 v11, s20, v11
	v_add_co_u32 v2, vcc_lo, v4, v2
	v_add_co_ci_u32_e64 v3, null, v5, v3, vcc_lo
	s_andn2_b32 vcc_lo, exec_lo, s5
	s_cbranch_vccnz .LBB6_13
; %bb.12:
	global_load_dword v12, v[2:3], off
	s_waitcnt vmcnt(0)
	v_fmac_f32_e32 v11, s9, v12
.LBB6_13:
	global_store_dword v[2:3], v11, off
.LBB6_14:
	s_or_b32 exec_lo, exec_lo, s1
	v_add_nc_u32_e32 v2, 16, v0
	v_cmp_le_i32_e32 vcc_lo, v2, v10
	v_ashrrev_i32_e32 v3, 31, v2
	s_and_b32 s0, s0, vcc_lo
	s_and_saveexec_b32 s1, s0
	s_cbranch_execz .LBB6_18
; %bb.15:
	v_lshlrev_b64 v[11:12], 2, v[2:3]
	v_cmp_ne_u32_e32 vcc_lo, 1, v9
	v_mul_f32_e32 v8, s20, v8
	v_add_co_u32 v4, s0, v4, v11
	v_add_co_ci_u32_e64 v5, null, v5, v12, s0
	s_cbranch_vccnz .LBB6_17
; %bb.16:
	global_load_dword v11, v[4:5], off
	s_waitcnt vmcnt(0)
	v_fmac_f32_e32 v8, s9, v11
.LBB6_17:
	global_store_dword v[4:5], v8, off
.LBB6_18:
	s_or_b32 exec_lo, exec_lo, s1
	v_add_nc_u32_e32 v8, 16, v10
	v_mad_i64_i32 v[4:5], null, v8, s2, 0
	v_cmp_gt_i32_e64 s0, s10, v8
	v_cmp_le_i32_e32 vcc_lo, v0, v8
	v_lshlrev_b64 v[4:5], 2, v[4:5]
	v_add_co_u32 v4, s1, s3, v4
	v_add_co_ci_u32_e64 v5, null, s4, v5, s1
	s_and_b32 s1, s0, vcc_lo
	s_and_saveexec_b32 s2, s1
	s_cbranch_execz .LBB6_22
; %bb.19:
	v_lshlrev_b64 v[0:1], 2, v[0:1]
	v_cmp_ne_u32_e32 vcc_lo, 1, v9
	v_mul_f32_e32 v7, s20, v7
	v_add_co_u32 v0, s1, v4, v0
	v_add_co_ci_u32_e64 v1, null, v5, v1, s1
	s_cbranch_vccnz .LBB6_21
; %bb.20:
	global_load_dword v10, v[0:1], off
	s_waitcnt vmcnt(0)
	v_fmac_f32_e32 v7, s9, v10
.LBB6_21:
	global_store_dword v[0:1], v7, off
.LBB6_22:
	s_or_b32 exec_lo, exec_lo, s2
	v_cmp_le_i32_e32 vcc_lo, v2, v8
	s_and_b32 s0, s0, vcc_lo
	s_and_saveexec_b32 s1, s0
	s_cbranch_execz .LBB6_26
; %bb.23:
	v_lshlrev_b64 v[0:1], 2, v[2:3]
	v_cmp_ne_u32_e32 vcc_lo, 1, v9
	v_mul_f32_e32 v2, s20, v6
	v_add_co_u32 v0, s0, v4, v0
	v_add_co_ci_u32_e64 v1, null, v5, v1, s0
	s_cbranch_vccnz .LBB6_25
; %bb.24:
	global_load_dword v3, v[0:1], off
	s_waitcnt vmcnt(0)
	v_fmac_f32_e32 v2, s9, v3
.LBB6_25:
	global_store_dword v[0:1], v2, off
.LBB6_26:
	s_endpgm
	.section	.rodata,"a",@progbits
	.p2align	6, 0x0
	.amdhsa_kernel _ZL29rocblas_internal_gemmt_kernelIiLi16ELi32ELi8ELc67ELc78ELc85ELb0ELb0EfPKfS1_PfEviT_T9_T10_S3_lS5_S3_lS4_T11_S3_li
		.amdhsa_group_segment_fixed_size 2048
		.amdhsa_private_segment_fixed_size 0
		.amdhsa_kernarg_size 100
		.amdhsa_user_sgpr_count 6
		.amdhsa_user_sgpr_private_segment_buffer 1
		.amdhsa_user_sgpr_dispatch_ptr 0
		.amdhsa_user_sgpr_queue_ptr 0
		.amdhsa_user_sgpr_kernarg_segment_ptr 1
		.amdhsa_user_sgpr_dispatch_id 0
		.amdhsa_user_sgpr_flat_scratch_init 0
		.amdhsa_user_sgpr_private_segment_size 0
		.amdhsa_wavefront_size32 1
		.amdhsa_uses_dynamic_stack 0
		.amdhsa_system_sgpr_private_segment_wavefront_offset 0
		.amdhsa_system_sgpr_workgroup_id_x 1
		.amdhsa_system_sgpr_workgroup_id_y 1
		.amdhsa_system_sgpr_workgroup_id_z 1
		.amdhsa_system_sgpr_workgroup_info 0
		.amdhsa_system_vgpr_workitem_id 1
		.amdhsa_next_free_vgpr 42
		.amdhsa_next_free_sgpr 23
		.amdhsa_reserve_vcc 1
		.amdhsa_reserve_flat_scratch 0
		.amdhsa_float_round_mode_32 0
		.amdhsa_float_round_mode_16_64 0
		.amdhsa_float_denorm_mode_32 3
		.amdhsa_float_denorm_mode_16_64 3
		.amdhsa_dx10_clamp 1
		.amdhsa_ieee_mode 1
		.amdhsa_fp16_overflow 0
		.amdhsa_workgroup_processor_mode 1
		.amdhsa_memory_ordered 1
		.amdhsa_forward_progress 1
		.amdhsa_shared_vgpr_count 0
		.amdhsa_exception_fp_ieee_invalid_op 0
		.amdhsa_exception_fp_denorm_src 0
		.amdhsa_exception_fp_ieee_div_zero 0
		.amdhsa_exception_fp_ieee_overflow 0
		.amdhsa_exception_fp_ieee_underflow 0
		.amdhsa_exception_fp_ieee_inexact 0
		.amdhsa_exception_int_div_zero 0
	.end_amdhsa_kernel
	.section	.text._ZL29rocblas_internal_gemmt_kernelIiLi16ELi32ELi8ELc67ELc78ELc85ELb0ELb0EfPKfS1_PfEviT_T9_T10_S3_lS5_S3_lS4_T11_S3_li,"axG",@progbits,_ZL29rocblas_internal_gemmt_kernelIiLi16ELi32ELi8ELc67ELc78ELc85ELb0ELb0EfPKfS1_PfEviT_T9_T10_S3_lS5_S3_lS4_T11_S3_li,comdat
.Lfunc_end6:
	.size	_ZL29rocblas_internal_gemmt_kernelIiLi16ELi32ELi8ELc67ELc78ELc85ELb0ELb0EfPKfS1_PfEviT_T9_T10_S3_lS5_S3_lS4_T11_S3_li, .Lfunc_end6-_ZL29rocblas_internal_gemmt_kernelIiLi16ELi32ELi8ELc67ELc78ELc85ELb0ELb0EfPKfS1_PfEviT_T9_T10_S3_lS5_S3_lS4_T11_S3_li
                                        ; -- End function
	.set _ZL29rocblas_internal_gemmt_kernelIiLi16ELi32ELi8ELc67ELc78ELc85ELb0ELb0EfPKfS1_PfEviT_T9_T10_S3_lS5_S3_lS4_T11_S3_li.num_vgpr, 42
	.set _ZL29rocblas_internal_gemmt_kernelIiLi16ELi32ELi8ELc67ELc78ELc85ELb0ELb0EfPKfS1_PfEviT_T9_T10_S3_lS5_S3_lS4_T11_S3_li.num_agpr, 0
	.set _ZL29rocblas_internal_gemmt_kernelIiLi16ELi32ELi8ELc67ELc78ELc85ELb0ELb0EfPKfS1_PfEviT_T9_T10_S3_lS5_S3_lS4_T11_S3_li.numbered_sgpr, 23
	.set _ZL29rocblas_internal_gemmt_kernelIiLi16ELi32ELi8ELc67ELc78ELc85ELb0ELb0EfPKfS1_PfEviT_T9_T10_S3_lS5_S3_lS4_T11_S3_li.num_named_barrier, 0
	.set _ZL29rocblas_internal_gemmt_kernelIiLi16ELi32ELi8ELc67ELc78ELc85ELb0ELb0EfPKfS1_PfEviT_T9_T10_S3_lS5_S3_lS4_T11_S3_li.private_seg_size, 0
	.set _ZL29rocblas_internal_gemmt_kernelIiLi16ELi32ELi8ELc67ELc78ELc85ELb0ELb0EfPKfS1_PfEviT_T9_T10_S3_lS5_S3_lS4_T11_S3_li.uses_vcc, 1
	.set _ZL29rocblas_internal_gemmt_kernelIiLi16ELi32ELi8ELc67ELc78ELc85ELb0ELb0EfPKfS1_PfEviT_T9_T10_S3_lS5_S3_lS4_T11_S3_li.uses_flat_scratch, 0
	.set _ZL29rocblas_internal_gemmt_kernelIiLi16ELi32ELi8ELc67ELc78ELc85ELb0ELb0EfPKfS1_PfEviT_T9_T10_S3_lS5_S3_lS4_T11_S3_li.has_dyn_sized_stack, 0
	.set _ZL29rocblas_internal_gemmt_kernelIiLi16ELi32ELi8ELc67ELc78ELc85ELb0ELb0EfPKfS1_PfEviT_T9_T10_S3_lS5_S3_lS4_T11_S3_li.has_recursion, 0
	.set _ZL29rocblas_internal_gemmt_kernelIiLi16ELi32ELi8ELc67ELc78ELc85ELb0ELb0EfPKfS1_PfEviT_T9_T10_S3_lS5_S3_lS4_T11_S3_li.has_indirect_call, 0
	.section	.AMDGPU.csdata,"",@progbits
; Kernel info:
; codeLenInByte = 1400
; TotalNumSgprs: 25
; NumVgprs: 42
; ScratchSize: 0
; MemoryBound: 0
; FloatMode: 240
; IeeeMode: 1
; LDSByteSize: 2048 bytes/workgroup (compile time only)
; SGPRBlocks: 0
; VGPRBlocks: 5
; NumSGPRsForWavesPerEU: 25
; NumVGPRsForWavesPerEU: 42
; Occupancy: 16
; WaveLimiterHint : 0
; COMPUTE_PGM_RSRC2:SCRATCH_EN: 0
; COMPUTE_PGM_RSRC2:USER_SGPR: 6
; COMPUTE_PGM_RSRC2:TRAP_HANDLER: 0
; COMPUTE_PGM_RSRC2:TGID_X_EN: 1
; COMPUTE_PGM_RSRC2:TGID_Y_EN: 1
; COMPUTE_PGM_RSRC2:TGID_Z_EN: 1
; COMPUTE_PGM_RSRC2:TIDIG_COMP_CNT: 1
	.section	.text._ZL29rocblas_internal_gemmt_kernelIiLi16ELi32ELi8ELc67ELc84ELc85ELb0ELb0EfPKfS1_PfEviT_T9_T10_S3_lS5_S3_lS4_T11_S3_li,"axG",@progbits,_ZL29rocblas_internal_gemmt_kernelIiLi16ELi32ELi8ELc67ELc84ELc85ELb0ELb0EfPKfS1_PfEviT_T9_T10_S3_lS5_S3_lS4_T11_S3_li,comdat
	.globl	_ZL29rocblas_internal_gemmt_kernelIiLi16ELi32ELi8ELc67ELc84ELc85ELb0ELb0EfPKfS1_PfEviT_T9_T10_S3_lS5_S3_lS4_T11_S3_li ; -- Begin function _ZL29rocblas_internal_gemmt_kernelIiLi16ELi32ELi8ELc67ELc84ELc85ELb0ELb0EfPKfS1_PfEviT_T9_T10_S3_lS5_S3_lS4_T11_S3_li
	.p2align	8
	.type	_ZL29rocblas_internal_gemmt_kernelIiLi16ELi32ELi8ELc67ELc84ELc85ELb0ELb0EfPKfS1_PfEviT_T9_T10_S3_lS5_S3_lS4_T11_S3_li,@function
_ZL29rocblas_internal_gemmt_kernelIiLi16ELi32ELi8ELc67ELc84ELc85ELb0ELb0EfPKfS1_PfEviT_T9_T10_S3_lS5_S3_lS4_T11_S3_li: ; @_ZL29rocblas_internal_gemmt_kernelIiLi16ELi32ELi8ELc67ELc84ELc85ELb0ELb0EfPKfS1_PfEviT_T9_T10_S3_lS5_S3_lS4_T11_S3_li
; %bb.0:
	s_clause 0x1
	s_load_dwordx4 s[12:15], s[4:5], 0x38
	s_load_dwordx4 s[0:3], s[4:5], 0x8
	s_waitcnt lgkmcnt(0)
	s_load_dword s9, s[14:15], 0x0
	s_load_dwordx2 s[10:11], s[4:5], 0x0
	s_load_dword s20, s[0:1], 0x0
	s_waitcnt lgkmcnt(0)
	v_cmp_neq_f32_e64 s0, s9, 1.0
	s_and_b32 vcc_lo, exec_lo, s0
	s_cbranch_vccnz .LBB7_2
; %bb.1:
	v_cmp_neq_f32_e64 s0, s20, 0
	s_cmp_lg_u32 s11, 0
	s_cselect_b32 s1, -1, 0
	s_and_b32 s0, s1, s0
.LBB7_2:
	s_andn2_b32 vcc_lo, exec_lo, s0
	s_cbranch_vccnz .LBB7_26
; %bb.3:
	s_load_dwordx2 s[14:15], s[4:5], 0x48
	s_lshl_b32 s6, s6, 5
	s_lshl_b32 s7, s7, 5
	v_cmp_eq_f32_e64 s0, s20, 0
	s_cmp_lt_i32 s11, 1
	v_mov_b32_e32 v13, 0
	s_cselect_b32 s1, -1, 0
	v_mov_b32_e32 v8, 0
	v_mov_b32_e32 v7, 0
	;; [unrolled: 1-line block ×3, first 2 shown]
	s_or_b32 s0, s0, s1
	s_mov_b32 s21, 0
	s_and_b32 vcc_lo, exec_lo, s0
	s_cbranch_vccnz .LBB7_10
; %bb.4:
	s_load_dword s0, s[4:5], 0x18
	v_lshl_add_u32 v2, v1, 4, v0
	s_clause 0x1
	s_load_dwordx4 s[16:19], s[4:5], 0x20
	s_load_dword s22, s[4:5], 0x30
	v_and_b32_e32 v9, 7, v0
	v_lshlrev_b32_e32 v10, 2, v0
	v_lshl_add_u32 v11, v1, 5, 0x400
	v_and_b32_e32 v3, 31, v2
	v_lshrrev_b32_e32 v4, 3, v2
	v_lshlrev_b32_e32 v5, 2, v9
	v_lshrrev_b32_e32 v12, 5, v2
	v_add_nc_u32_e32 v7, s6, v3
	v_add_nc_u32_e32 v2, s7, v4
	v_lshl_or_b32 v8, v4, 5, v5
	v_or_b32_e32 v6, s6, v3
	v_lshlrev_b32_e32 v3, 2, v3
	v_lshlrev_b32_e32 v16, 2, v12
	v_add_nc_u32_e32 v15, 0x400, v8
	v_cmp_gt_i32_e32 vcc_lo, s10, v6
	s_waitcnt lgkmcnt(0)
	v_mad_i64_i32 v[4:5], null, s0, v7, 0
	s_mul_i32 s1, s17, s8
	s_mul_hi_u32 s17, s16, s8
	v_mad_i64_i32 v[6:7], null, s22, v9, 0
	s_mul_i32 s16, s16, s8
	s_add_i32 s17, s17, s1
	v_lshlrev_b64 v[4:5], 2, v[4:5]
	s_lshl_b64 s[16:17], s[16:17], 2
	v_lshl_or_b32 v14, v12, 7, v3
	v_ashrrev_i32_e32 v3, 31, v2
	v_cmp_gt_i32_e64 s0, s10, v2
	s_ashr_i32 s23, s22, 31
	v_add_co_u32 v8, s1, v4, s16
	v_add_co_ci_u32_e64 v13, null, s17, v5, s1
	s_mul_i32 s1, s13, s8
	s_mul_hi_u32 s13, s12, s8
	v_lshlrev_b64 v[4:5], 2, v[6:7]
	s_add_i32 s13, s13, s1
	s_mul_i32 s12, s12, s8
	v_lshlrev_b64 v[2:3], 2, v[2:3]
	s_lshl_b64 s[12:13], s[12:13], 2
	v_mov_b32_e32 v6, 0
	v_add_co_u32 v4, s1, s12, v4
	v_add_co_ci_u32_e64 v5, null, s13, v5, s1
	v_add_co_u32 v7, s1, v8, v16
	v_add_co_ci_u32_e64 v8, null, 0, v13, s1
	;; [unrolled: 2-line block ×5, first 2 shown]
	v_mov_b32_e32 v7, 0
	v_mov_b32_e32 v8, 0
	v_mov_b32_e32 v13, 0
	s_lshl_b64 s[2:3], s[22:23], 5
	s_branch .LBB7_6
.LBB7_5:                                ;   in Loop: Header=BB7_6 Depth=1
	s_or_b32 exec_lo, exec_lo, s1
	s_waitcnt vmcnt(0)
	ds_write_b32 v15, v17
	s_waitcnt lgkmcnt(0)
	s_barrier
	buffer_gl0_inv
	ds_read_b128 v[16:19], v11
	ds_read2_b32 v[32:33], v10 offset1:16
	ds_read_b128 v[20:23], v11 offset:512
	ds_read2_b32 v[34:35], v10 offset0:32 offset1:48
	ds_read2_b32 v[36:37], v10 offset0:64 offset1:80
	;; [unrolled: 1-line block ×3, first 2 shown]
	ds_read_b128 v[24:27], v11 offset:16
	ds_read2_b32 v[40:41], v10 offset0:128 offset1:144
	ds_read_b128 v[28:31], v11 offset:528
	v_add_co_u32 v2, s1, v2, 32
	v_add_co_ci_u32_e64 v3, null, 0, v3, s1
	v_add_co_u32 v4, s1, v4, s2
	v_add_co_ci_u32_e64 v5, null, s3, v5, s1
	s_add_i32 s21, s21, 8
	s_cmp_lt_i32 s21, s11
	s_waitcnt lgkmcnt(7)
	v_fmac_f32_e32 v13, v32, v16
	v_fmac_f32_e32 v8, v33, v16
	s_waitcnt lgkmcnt(6)
	v_fmac_f32_e32 v7, v32, v20
	v_fmac_f32_e32 v6, v33, v20
	ds_read2_b32 v[32:33], v10 offset0:160 offset1:176
	s_waitcnt lgkmcnt(6)
	v_fmac_f32_e32 v13, v34, v17
	v_fmac_f32_e32 v8, v35, v17
	v_fmac_f32_e32 v7, v34, v21
	v_fmac_f32_e32 v6, v35, v21
	ds_read2_b32 v[16:17], v10 offset0:192 offset1:208
	s_waitcnt lgkmcnt(6)
	v_fmac_f32_e32 v13, v36, v18
	v_fmac_f32_e32 v8, v37, v18
	;; [unrolled: 6-line block ×3, first 2 shown]
	v_fmac_f32_e32 v7, v38, v23
	v_fmac_f32_e32 v6, v39, v23
	s_waitcnt lgkmcnt(0)
	v_fmac_f32_e32 v13, v40, v24
	v_fmac_f32_e32 v8, v41, v24
	v_fmac_f32_e32 v7, v40, v28
	v_fmac_f32_e32 v6, v41, v28
	s_barrier
	v_fmac_f32_e32 v13, v32, v25
	v_fmac_f32_e32 v8, v33, v25
	;; [unrolled: 1-line block ×4, first 2 shown]
	buffer_gl0_inv
	v_fmac_f32_e32 v13, v16, v26
	v_fmac_f32_e32 v8, v17, v26
	;; [unrolled: 1-line block ×8, first 2 shown]
	s_cbranch_scc0 .LBB7_10
.LBB7_6:                                ; =>This Inner Loop Header: Depth=1
	v_add_nc_u32_e32 v16, s21, v12
	v_cmp_gt_i32_e64 s1, s11, v16
	v_mov_b32_e32 v16, 0
	s_and_b32 s12, vcc_lo, s1
	s_and_saveexec_b32 s1, s12
	s_cbranch_execz .LBB7_8
; %bb.7:                                ;   in Loop: Header=BB7_6 Depth=1
	global_load_dword v16, v[2:3], off
.LBB7_8:                                ;   in Loop: Header=BB7_6 Depth=1
	s_or_b32 exec_lo, exec_lo, s1
	v_add_nc_u32_e32 v17, s21, v9
	s_waitcnt vmcnt(0)
	ds_write_b32 v14, v16
	v_cmp_gt_i32_e64 s1, s11, v17
	v_mov_b32_e32 v17, 0
	s_and_b32 s12, s1, s0
	s_and_saveexec_b32 s1, s12
	s_cbranch_execz .LBB7_5
; %bb.9:                                ;   in Loop: Header=BB7_6 Depth=1
	global_load_dword v17, v[4:5], off
	s_branch .LBB7_5
.LBB7_10:
	s_clause 0x1
	s_load_dword s2, s[4:5], 0x50
	s_load_dwordx2 s[4:5], s[4:5], 0x58
	v_add_nc_u32_e32 v10, s7, v1
	v_add_nc_u32_e32 v0, s6, v0
	v_cmp_gt_i32_e64 s0, s10, v10
	v_cmp_le_i32_e32 vcc_lo, v0, v10
	s_waitcnt lgkmcnt(0)
	v_mad_i64_i32 v[1:2], null, v10, s2, 0
	s_mul_i32 s1, s5, s8
	s_mul_hi_u32 s3, s4, s8
	s_mul_i32 s4, s4, s8
	s_add_i32 s5, s3, s1
	s_lshl_b64 s[4:5], s[4:5], 2
	v_lshlrev_b64 v[2:3], 2, v[1:2]
	s_add_u32 s3, s14, s4
	s_addc_u32 s4, s15, s5
	v_cmp_neq_f32_e64 s5, s9, 0
	v_ashrrev_i32_e32 v1, 31, v0
	s_and_b32 s6, s0, vcc_lo
	v_add_co_u32 v4, s1, s3, v2
	v_add_co_ci_u32_e64 v5, null, s4, v3, s1
	v_cndmask_b32_e64 v9, 0, 1, s5
	s_and_saveexec_b32 s1, s6
	s_cbranch_execz .LBB7_14
; %bb.11:
	v_lshlrev_b64 v[2:3], 2, v[0:1]
	v_mul_f32_e32 v11, s20, v13
	v_add_co_u32 v2, vcc_lo, v4, v2
	v_add_co_ci_u32_e64 v3, null, v5, v3, vcc_lo
	s_andn2_b32 vcc_lo, exec_lo, s5
	s_cbranch_vccnz .LBB7_13
; %bb.12:
	global_load_dword v12, v[2:3], off
	s_waitcnt vmcnt(0)
	v_fmac_f32_e32 v11, s9, v12
.LBB7_13:
	global_store_dword v[2:3], v11, off
.LBB7_14:
	s_or_b32 exec_lo, exec_lo, s1
	v_add_nc_u32_e32 v2, 16, v0
	v_cmp_le_i32_e32 vcc_lo, v2, v10
	v_ashrrev_i32_e32 v3, 31, v2
	s_and_b32 s0, s0, vcc_lo
	s_and_saveexec_b32 s1, s0
	s_cbranch_execz .LBB7_18
; %bb.15:
	v_lshlrev_b64 v[11:12], 2, v[2:3]
	v_cmp_ne_u32_e32 vcc_lo, 1, v9
	v_mul_f32_e32 v8, s20, v8
	v_add_co_u32 v4, s0, v4, v11
	v_add_co_ci_u32_e64 v5, null, v5, v12, s0
	s_cbranch_vccnz .LBB7_17
; %bb.16:
	global_load_dword v11, v[4:5], off
	s_waitcnt vmcnt(0)
	v_fmac_f32_e32 v8, s9, v11
.LBB7_17:
	global_store_dword v[4:5], v8, off
.LBB7_18:
	s_or_b32 exec_lo, exec_lo, s1
	v_add_nc_u32_e32 v8, 16, v10
	v_mad_i64_i32 v[4:5], null, v8, s2, 0
	v_cmp_gt_i32_e64 s0, s10, v8
	v_cmp_le_i32_e32 vcc_lo, v0, v8
	v_lshlrev_b64 v[4:5], 2, v[4:5]
	v_add_co_u32 v4, s1, s3, v4
	v_add_co_ci_u32_e64 v5, null, s4, v5, s1
	s_and_b32 s1, s0, vcc_lo
	s_and_saveexec_b32 s2, s1
	s_cbranch_execz .LBB7_22
; %bb.19:
	v_lshlrev_b64 v[0:1], 2, v[0:1]
	v_cmp_ne_u32_e32 vcc_lo, 1, v9
	v_mul_f32_e32 v7, s20, v7
	v_add_co_u32 v0, s1, v4, v0
	v_add_co_ci_u32_e64 v1, null, v5, v1, s1
	s_cbranch_vccnz .LBB7_21
; %bb.20:
	global_load_dword v10, v[0:1], off
	s_waitcnt vmcnt(0)
	v_fmac_f32_e32 v7, s9, v10
.LBB7_21:
	global_store_dword v[0:1], v7, off
.LBB7_22:
	s_or_b32 exec_lo, exec_lo, s2
	v_cmp_le_i32_e32 vcc_lo, v2, v8
	s_and_b32 s0, s0, vcc_lo
	s_and_saveexec_b32 s1, s0
	s_cbranch_execz .LBB7_26
; %bb.23:
	v_lshlrev_b64 v[0:1], 2, v[2:3]
	v_cmp_ne_u32_e32 vcc_lo, 1, v9
	v_mul_f32_e32 v2, s20, v6
	v_add_co_u32 v0, s0, v4, v0
	v_add_co_ci_u32_e64 v1, null, v5, v1, s0
	s_cbranch_vccnz .LBB7_25
; %bb.24:
	global_load_dword v3, v[0:1], off
	s_waitcnt vmcnt(0)
	v_fmac_f32_e32 v2, s9, v3
.LBB7_25:
	global_store_dword v[0:1], v2, off
.LBB7_26:
	s_endpgm
	.section	.rodata,"a",@progbits
	.p2align	6, 0x0
	.amdhsa_kernel _ZL29rocblas_internal_gemmt_kernelIiLi16ELi32ELi8ELc67ELc84ELc85ELb0ELb0EfPKfS1_PfEviT_T9_T10_S3_lS5_S3_lS4_T11_S3_li
		.amdhsa_group_segment_fixed_size 2048
		.amdhsa_private_segment_fixed_size 0
		.amdhsa_kernarg_size 100
		.amdhsa_user_sgpr_count 6
		.amdhsa_user_sgpr_private_segment_buffer 1
		.amdhsa_user_sgpr_dispatch_ptr 0
		.amdhsa_user_sgpr_queue_ptr 0
		.amdhsa_user_sgpr_kernarg_segment_ptr 1
		.amdhsa_user_sgpr_dispatch_id 0
		.amdhsa_user_sgpr_flat_scratch_init 0
		.amdhsa_user_sgpr_private_segment_size 0
		.amdhsa_wavefront_size32 1
		.amdhsa_uses_dynamic_stack 0
		.amdhsa_system_sgpr_private_segment_wavefront_offset 0
		.amdhsa_system_sgpr_workgroup_id_x 1
		.amdhsa_system_sgpr_workgroup_id_y 1
		.amdhsa_system_sgpr_workgroup_id_z 1
		.amdhsa_system_sgpr_workgroup_info 0
		.amdhsa_system_vgpr_workitem_id 1
		.amdhsa_next_free_vgpr 42
		.amdhsa_next_free_sgpr 24
		.amdhsa_reserve_vcc 1
		.amdhsa_reserve_flat_scratch 0
		.amdhsa_float_round_mode_32 0
		.amdhsa_float_round_mode_16_64 0
		.amdhsa_float_denorm_mode_32 3
		.amdhsa_float_denorm_mode_16_64 3
		.amdhsa_dx10_clamp 1
		.amdhsa_ieee_mode 1
		.amdhsa_fp16_overflow 0
		.amdhsa_workgroup_processor_mode 1
		.amdhsa_memory_ordered 1
		.amdhsa_forward_progress 1
		.amdhsa_shared_vgpr_count 0
		.amdhsa_exception_fp_ieee_invalid_op 0
		.amdhsa_exception_fp_denorm_src 0
		.amdhsa_exception_fp_ieee_div_zero 0
		.amdhsa_exception_fp_ieee_overflow 0
		.amdhsa_exception_fp_ieee_underflow 0
		.amdhsa_exception_fp_ieee_inexact 0
		.amdhsa_exception_int_div_zero 0
	.end_amdhsa_kernel
	.section	.text._ZL29rocblas_internal_gemmt_kernelIiLi16ELi32ELi8ELc67ELc84ELc85ELb0ELb0EfPKfS1_PfEviT_T9_T10_S3_lS5_S3_lS4_T11_S3_li,"axG",@progbits,_ZL29rocblas_internal_gemmt_kernelIiLi16ELi32ELi8ELc67ELc84ELc85ELb0ELb0EfPKfS1_PfEviT_T9_T10_S3_lS5_S3_lS4_T11_S3_li,comdat
.Lfunc_end7:
	.size	_ZL29rocblas_internal_gemmt_kernelIiLi16ELi32ELi8ELc67ELc84ELc85ELb0ELb0EfPKfS1_PfEviT_T9_T10_S3_lS5_S3_lS4_T11_S3_li, .Lfunc_end7-_ZL29rocblas_internal_gemmt_kernelIiLi16ELi32ELi8ELc67ELc84ELc85ELb0ELb0EfPKfS1_PfEviT_T9_T10_S3_lS5_S3_lS4_T11_S3_li
                                        ; -- End function
	.set _ZL29rocblas_internal_gemmt_kernelIiLi16ELi32ELi8ELc67ELc84ELc85ELb0ELb0EfPKfS1_PfEviT_T9_T10_S3_lS5_S3_lS4_T11_S3_li.num_vgpr, 42
	.set _ZL29rocblas_internal_gemmt_kernelIiLi16ELi32ELi8ELc67ELc84ELc85ELb0ELb0EfPKfS1_PfEviT_T9_T10_S3_lS5_S3_lS4_T11_S3_li.num_agpr, 0
	.set _ZL29rocblas_internal_gemmt_kernelIiLi16ELi32ELi8ELc67ELc84ELc85ELb0ELb0EfPKfS1_PfEviT_T9_T10_S3_lS5_S3_lS4_T11_S3_li.numbered_sgpr, 24
	.set _ZL29rocblas_internal_gemmt_kernelIiLi16ELi32ELi8ELc67ELc84ELc85ELb0ELb0EfPKfS1_PfEviT_T9_T10_S3_lS5_S3_lS4_T11_S3_li.num_named_barrier, 0
	.set _ZL29rocblas_internal_gemmt_kernelIiLi16ELi32ELi8ELc67ELc84ELc85ELb0ELb0EfPKfS1_PfEviT_T9_T10_S3_lS5_S3_lS4_T11_S3_li.private_seg_size, 0
	.set _ZL29rocblas_internal_gemmt_kernelIiLi16ELi32ELi8ELc67ELc84ELc85ELb0ELb0EfPKfS1_PfEviT_T9_T10_S3_lS5_S3_lS4_T11_S3_li.uses_vcc, 1
	.set _ZL29rocblas_internal_gemmt_kernelIiLi16ELi32ELi8ELc67ELc84ELc85ELb0ELb0EfPKfS1_PfEviT_T9_T10_S3_lS5_S3_lS4_T11_S3_li.uses_flat_scratch, 0
	.set _ZL29rocblas_internal_gemmt_kernelIiLi16ELi32ELi8ELc67ELc84ELc85ELb0ELb0EfPKfS1_PfEviT_T9_T10_S3_lS5_S3_lS4_T11_S3_li.has_dyn_sized_stack, 0
	.set _ZL29rocblas_internal_gemmt_kernelIiLi16ELi32ELi8ELc67ELc84ELc85ELb0ELb0EfPKfS1_PfEviT_T9_T10_S3_lS5_S3_lS4_T11_S3_li.has_recursion, 0
	.set _ZL29rocblas_internal_gemmt_kernelIiLi16ELi32ELi8ELc67ELc84ELc85ELb0ELb0EfPKfS1_PfEviT_T9_T10_S3_lS5_S3_lS4_T11_S3_li.has_indirect_call, 0
	.section	.AMDGPU.csdata,"",@progbits
; Kernel info:
; codeLenInByte = 1420
; TotalNumSgprs: 26
; NumVgprs: 42
; ScratchSize: 0
; MemoryBound: 0
; FloatMode: 240
; IeeeMode: 1
; LDSByteSize: 2048 bytes/workgroup (compile time only)
; SGPRBlocks: 0
; VGPRBlocks: 5
; NumSGPRsForWavesPerEU: 26
; NumVGPRsForWavesPerEU: 42
; Occupancy: 16
; WaveLimiterHint : 0
; COMPUTE_PGM_RSRC2:SCRATCH_EN: 0
; COMPUTE_PGM_RSRC2:USER_SGPR: 6
; COMPUTE_PGM_RSRC2:TRAP_HANDLER: 0
; COMPUTE_PGM_RSRC2:TGID_X_EN: 1
; COMPUTE_PGM_RSRC2:TGID_Y_EN: 1
; COMPUTE_PGM_RSRC2:TGID_Z_EN: 1
; COMPUTE_PGM_RSRC2:TIDIG_COMP_CNT: 1
	.section	.text._ZL29rocblas_internal_gemmt_kernelIiLi16ELi32ELi8ELc67ELc67ELc85ELb0ELb0EfPKfS1_PfEviT_T9_T10_S3_lS5_S3_lS4_T11_S3_li,"axG",@progbits,_ZL29rocblas_internal_gemmt_kernelIiLi16ELi32ELi8ELc67ELc67ELc85ELb0ELb0EfPKfS1_PfEviT_T9_T10_S3_lS5_S3_lS4_T11_S3_li,comdat
	.globl	_ZL29rocblas_internal_gemmt_kernelIiLi16ELi32ELi8ELc67ELc67ELc85ELb0ELb0EfPKfS1_PfEviT_T9_T10_S3_lS5_S3_lS4_T11_S3_li ; -- Begin function _ZL29rocblas_internal_gemmt_kernelIiLi16ELi32ELi8ELc67ELc67ELc85ELb0ELb0EfPKfS1_PfEviT_T9_T10_S3_lS5_S3_lS4_T11_S3_li
	.p2align	8
	.type	_ZL29rocblas_internal_gemmt_kernelIiLi16ELi32ELi8ELc67ELc67ELc85ELb0ELb0EfPKfS1_PfEviT_T9_T10_S3_lS5_S3_lS4_T11_S3_li,@function
_ZL29rocblas_internal_gemmt_kernelIiLi16ELi32ELi8ELc67ELc67ELc85ELb0ELb0EfPKfS1_PfEviT_T9_T10_S3_lS5_S3_lS4_T11_S3_li: ; @_ZL29rocblas_internal_gemmt_kernelIiLi16ELi32ELi8ELc67ELc67ELc85ELb0ELb0EfPKfS1_PfEviT_T9_T10_S3_lS5_S3_lS4_T11_S3_li
; %bb.0:
	s_clause 0x1
	s_load_dwordx4 s[12:15], s[4:5], 0x38
	s_load_dwordx4 s[0:3], s[4:5], 0x8
	s_waitcnt lgkmcnt(0)
	s_load_dword s9, s[14:15], 0x0
	s_load_dwordx2 s[10:11], s[4:5], 0x0
	s_load_dword s20, s[0:1], 0x0
	s_waitcnt lgkmcnt(0)
	v_cmp_neq_f32_e64 s0, s9, 1.0
	s_and_b32 vcc_lo, exec_lo, s0
	s_cbranch_vccnz .LBB8_2
; %bb.1:
	v_cmp_neq_f32_e64 s0, s20, 0
	s_cmp_lg_u32 s11, 0
	s_cselect_b32 s1, -1, 0
	s_and_b32 s0, s1, s0
.LBB8_2:
	s_andn2_b32 vcc_lo, exec_lo, s0
	s_cbranch_vccnz .LBB8_26
; %bb.3:
	s_load_dwordx2 s[14:15], s[4:5], 0x48
	s_lshl_b32 s6, s6, 5
	s_lshl_b32 s7, s7, 5
	v_cmp_eq_f32_e64 s0, s20, 0
	s_cmp_lt_i32 s11, 1
	v_mov_b32_e32 v13, 0
	s_cselect_b32 s1, -1, 0
	v_mov_b32_e32 v8, 0
	v_mov_b32_e32 v7, 0
	v_mov_b32_e32 v6, 0
	s_or_b32 s0, s0, s1
	s_mov_b32 s21, 0
	s_and_b32 vcc_lo, exec_lo, s0
	s_cbranch_vccnz .LBB8_10
; %bb.4:
	s_load_dword s0, s[4:5], 0x18
	v_lshl_add_u32 v2, v1, 4, v0
	s_clause 0x1
	s_load_dwordx4 s[16:19], s[4:5], 0x20
	s_load_dword s22, s[4:5], 0x30
	v_and_b32_e32 v9, 7, v0
	v_lshlrev_b32_e32 v10, 2, v0
	v_lshl_add_u32 v11, v1, 5, 0x400
	v_and_b32_e32 v3, 31, v2
	v_lshrrev_b32_e32 v4, 3, v2
	v_lshlrev_b32_e32 v5, 2, v9
	v_lshrrev_b32_e32 v12, 5, v2
	v_add_nc_u32_e32 v7, s6, v3
	v_add_nc_u32_e32 v2, s7, v4
	v_lshl_or_b32 v8, v4, 5, v5
	v_or_b32_e32 v6, s6, v3
	v_lshlrev_b32_e32 v3, 2, v3
	v_lshlrev_b32_e32 v16, 2, v12
	v_add_nc_u32_e32 v15, 0x400, v8
	v_cmp_gt_i32_e32 vcc_lo, s10, v6
	s_waitcnt lgkmcnt(0)
	v_mad_i64_i32 v[4:5], null, s0, v7, 0
	s_mul_i32 s1, s17, s8
	s_mul_hi_u32 s17, s16, s8
	v_mad_i64_i32 v[6:7], null, s22, v9, 0
	s_mul_i32 s16, s16, s8
	s_add_i32 s17, s17, s1
	v_lshlrev_b64 v[4:5], 2, v[4:5]
	s_lshl_b64 s[16:17], s[16:17], 2
	v_lshl_or_b32 v14, v12, 7, v3
	v_ashrrev_i32_e32 v3, 31, v2
	v_cmp_gt_i32_e64 s0, s10, v2
	s_ashr_i32 s23, s22, 31
	v_add_co_u32 v8, s1, v4, s16
	v_add_co_ci_u32_e64 v13, null, s17, v5, s1
	s_mul_i32 s1, s13, s8
	s_mul_hi_u32 s13, s12, s8
	v_lshlrev_b64 v[4:5], 2, v[6:7]
	s_add_i32 s13, s13, s1
	s_mul_i32 s12, s12, s8
	v_lshlrev_b64 v[2:3], 2, v[2:3]
	s_lshl_b64 s[12:13], s[12:13], 2
	v_mov_b32_e32 v6, 0
	v_add_co_u32 v4, s1, s12, v4
	v_add_co_ci_u32_e64 v5, null, s13, v5, s1
	v_add_co_u32 v7, s1, v8, v16
	v_add_co_ci_u32_e64 v8, null, 0, v13, s1
	;; [unrolled: 2-line block ×5, first 2 shown]
	v_mov_b32_e32 v7, 0
	v_mov_b32_e32 v8, 0
	v_mov_b32_e32 v13, 0
	s_lshl_b64 s[2:3], s[22:23], 5
	s_branch .LBB8_6
.LBB8_5:                                ;   in Loop: Header=BB8_6 Depth=1
	s_or_b32 exec_lo, exec_lo, s1
	s_waitcnt vmcnt(0)
	ds_write_b32 v15, v17
	s_waitcnt lgkmcnt(0)
	s_barrier
	buffer_gl0_inv
	ds_read_b128 v[16:19], v11
	ds_read2_b32 v[32:33], v10 offset1:16
	ds_read_b128 v[20:23], v11 offset:512
	ds_read2_b32 v[34:35], v10 offset0:32 offset1:48
	ds_read2_b32 v[36:37], v10 offset0:64 offset1:80
	;; [unrolled: 1-line block ×3, first 2 shown]
	ds_read_b128 v[24:27], v11 offset:16
	ds_read2_b32 v[40:41], v10 offset0:128 offset1:144
	ds_read_b128 v[28:31], v11 offset:528
	v_add_co_u32 v2, s1, v2, 32
	v_add_co_ci_u32_e64 v3, null, 0, v3, s1
	v_add_co_u32 v4, s1, v4, s2
	v_add_co_ci_u32_e64 v5, null, s3, v5, s1
	s_add_i32 s21, s21, 8
	s_cmp_lt_i32 s21, s11
	s_waitcnt lgkmcnt(7)
	v_fmac_f32_e32 v13, v32, v16
	v_fmac_f32_e32 v8, v33, v16
	s_waitcnt lgkmcnt(6)
	v_fmac_f32_e32 v7, v32, v20
	v_fmac_f32_e32 v6, v33, v20
	ds_read2_b32 v[32:33], v10 offset0:160 offset1:176
	s_waitcnt lgkmcnt(6)
	v_fmac_f32_e32 v13, v34, v17
	v_fmac_f32_e32 v8, v35, v17
	v_fmac_f32_e32 v7, v34, v21
	v_fmac_f32_e32 v6, v35, v21
	ds_read2_b32 v[16:17], v10 offset0:192 offset1:208
	s_waitcnt lgkmcnt(6)
	v_fmac_f32_e32 v13, v36, v18
	v_fmac_f32_e32 v8, v37, v18
	;; [unrolled: 6-line block ×3, first 2 shown]
	v_fmac_f32_e32 v7, v38, v23
	v_fmac_f32_e32 v6, v39, v23
	s_waitcnt lgkmcnt(0)
	v_fmac_f32_e32 v13, v40, v24
	v_fmac_f32_e32 v8, v41, v24
	v_fmac_f32_e32 v7, v40, v28
	v_fmac_f32_e32 v6, v41, v28
	s_barrier
	v_fmac_f32_e32 v13, v32, v25
	v_fmac_f32_e32 v8, v33, v25
	;; [unrolled: 1-line block ×4, first 2 shown]
	buffer_gl0_inv
	v_fmac_f32_e32 v13, v16, v26
	v_fmac_f32_e32 v8, v17, v26
	v_fmac_f32_e32 v7, v16, v30
	v_fmac_f32_e32 v6, v17, v30
	v_fmac_f32_e32 v13, v20, v27
	v_fmac_f32_e32 v8, v21, v27
	v_fmac_f32_e32 v7, v20, v31
	v_fmac_f32_e32 v6, v21, v31
	s_cbranch_scc0 .LBB8_10
.LBB8_6:                                ; =>This Inner Loop Header: Depth=1
	v_add_nc_u32_e32 v16, s21, v12
	v_cmp_gt_i32_e64 s1, s11, v16
	v_mov_b32_e32 v16, 0
	s_and_b32 s12, vcc_lo, s1
	s_and_saveexec_b32 s1, s12
	s_cbranch_execz .LBB8_8
; %bb.7:                                ;   in Loop: Header=BB8_6 Depth=1
	global_load_dword v16, v[2:3], off
.LBB8_8:                                ;   in Loop: Header=BB8_6 Depth=1
	s_or_b32 exec_lo, exec_lo, s1
	v_add_nc_u32_e32 v17, s21, v9
	s_waitcnt vmcnt(0)
	ds_write_b32 v14, v16
	v_cmp_gt_i32_e64 s1, s11, v17
	v_mov_b32_e32 v17, 0
	s_and_b32 s12, s1, s0
	s_and_saveexec_b32 s1, s12
	s_cbranch_execz .LBB8_5
; %bb.9:                                ;   in Loop: Header=BB8_6 Depth=1
	global_load_dword v17, v[4:5], off
	s_branch .LBB8_5
.LBB8_10:
	s_clause 0x1
	s_load_dword s2, s[4:5], 0x50
	s_load_dwordx2 s[4:5], s[4:5], 0x58
	v_add_nc_u32_e32 v10, s7, v1
	v_add_nc_u32_e32 v0, s6, v0
	v_cmp_gt_i32_e64 s0, s10, v10
	v_cmp_le_i32_e32 vcc_lo, v0, v10
	s_waitcnt lgkmcnt(0)
	v_mad_i64_i32 v[1:2], null, v10, s2, 0
	s_mul_i32 s1, s5, s8
	s_mul_hi_u32 s3, s4, s8
	s_mul_i32 s4, s4, s8
	s_add_i32 s5, s3, s1
	s_lshl_b64 s[4:5], s[4:5], 2
	v_lshlrev_b64 v[2:3], 2, v[1:2]
	s_add_u32 s3, s14, s4
	s_addc_u32 s4, s15, s5
	v_cmp_neq_f32_e64 s5, s9, 0
	v_ashrrev_i32_e32 v1, 31, v0
	s_and_b32 s6, s0, vcc_lo
	v_add_co_u32 v4, s1, s3, v2
	v_add_co_ci_u32_e64 v5, null, s4, v3, s1
	v_cndmask_b32_e64 v9, 0, 1, s5
	s_and_saveexec_b32 s1, s6
	s_cbranch_execz .LBB8_14
; %bb.11:
	v_lshlrev_b64 v[2:3], 2, v[0:1]
	v_mul_f32_e32 v11, s20, v13
	v_add_co_u32 v2, vcc_lo, v4, v2
	v_add_co_ci_u32_e64 v3, null, v5, v3, vcc_lo
	s_andn2_b32 vcc_lo, exec_lo, s5
	s_cbranch_vccnz .LBB8_13
; %bb.12:
	global_load_dword v12, v[2:3], off
	s_waitcnt vmcnt(0)
	v_fmac_f32_e32 v11, s9, v12
.LBB8_13:
	global_store_dword v[2:3], v11, off
.LBB8_14:
	s_or_b32 exec_lo, exec_lo, s1
	v_add_nc_u32_e32 v2, 16, v0
	v_cmp_le_i32_e32 vcc_lo, v2, v10
	v_ashrrev_i32_e32 v3, 31, v2
	s_and_b32 s0, s0, vcc_lo
	s_and_saveexec_b32 s1, s0
	s_cbranch_execz .LBB8_18
; %bb.15:
	v_lshlrev_b64 v[11:12], 2, v[2:3]
	v_cmp_ne_u32_e32 vcc_lo, 1, v9
	v_mul_f32_e32 v8, s20, v8
	v_add_co_u32 v4, s0, v4, v11
	v_add_co_ci_u32_e64 v5, null, v5, v12, s0
	s_cbranch_vccnz .LBB8_17
; %bb.16:
	global_load_dword v11, v[4:5], off
	s_waitcnt vmcnt(0)
	v_fmac_f32_e32 v8, s9, v11
.LBB8_17:
	global_store_dword v[4:5], v8, off
.LBB8_18:
	s_or_b32 exec_lo, exec_lo, s1
	v_add_nc_u32_e32 v8, 16, v10
	v_mad_i64_i32 v[4:5], null, v8, s2, 0
	v_cmp_gt_i32_e64 s0, s10, v8
	v_cmp_le_i32_e32 vcc_lo, v0, v8
	v_lshlrev_b64 v[4:5], 2, v[4:5]
	v_add_co_u32 v4, s1, s3, v4
	v_add_co_ci_u32_e64 v5, null, s4, v5, s1
	s_and_b32 s1, s0, vcc_lo
	s_and_saveexec_b32 s2, s1
	s_cbranch_execz .LBB8_22
; %bb.19:
	v_lshlrev_b64 v[0:1], 2, v[0:1]
	v_cmp_ne_u32_e32 vcc_lo, 1, v9
	v_mul_f32_e32 v7, s20, v7
	v_add_co_u32 v0, s1, v4, v0
	v_add_co_ci_u32_e64 v1, null, v5, v1, s1
	s_cbranch_vccnz .LBB8_21
; %bb.20:
	global_load_dword v10, v[0:1], off
	s_waitcnt vmcnt(0)
	v_fmac_f32_e32 v7, s9, v10
.LBB8_21:
	global_store_dword v[0:1], v7, off
.LBB8_22:
	s_or_b32 exec_lo, exec_lo, s2
	v_cmp_le_i32_e32 vcc_lo, v2, v8
	s_and_b32 s0, s0, vcc_lo
	s_and_saveexec_b32 s1, s0
	s_cbranch_execz .LBB8_26
; %bb.23:
	v_lshlrev_b64 v[0:1], 2, v[2:3]
	v_cmp_ne_u32_e32 vcc_lo, 1, v9
	v_mul_f32_e32 v2, s20, v6
	v_add_co_u32 v0, s0, v4, v0
	v_add_co_ci_u32_e64 v1, null, v5, v1, s0
	s_cbranch_vccnz .LBB8_25
; %bb.24:
	global_load_dword v3, v[0:1], off
	s_waitcnt vmcnt(0)
	v_fmac_f32_e32 v2, s9, v3
.LBB8_25:
	global_store_dword v[0:1], v2, off
.LBB8_26:
	s_endpgm
	.section	.rodata,"a",@progbits
	.p2align	6, 0x0
	.amdhsa_kernel _ZL29rocblas_internal_gemmt_kernelIiLi16ELi32ELi8ELc67ELc67ELc85ELb0ELb0EfPKfS1_PfEviT_T9_T10_S3_lS5_S3_lS4_T11_S3_li
		.amdhsa_group_segment_fixed_size 2048
		.amdhsa_private_segment_fixed_size 0
		.amdhsa_kernarg_size 100
		.amdhsa_user_sgpr_count 6
		.amdhsa_user_sgpr_private_segment_buffer 1
		.amdhsa_user_sgpr_dispatch_ptr 0
		.amdhsa_user_sgpr_queue_ptr 0
		.amdhsa_user_sgpr_kernarg_segment_ptr 1
		.amdhsa_user_sgpr_dispatch_id 0
		.amdhsa_user_sgpr_flat_scratch_init 0
		.amdhsa_user_sgpr_private_segment_size 0
		.amdhsa_wavefront_size32 1
		.amdhsa_uses_dynamic_stack 0
		.amdhsa_system_sgpr_private_segment_wavefront_offset 0
		.amdhsa_system_sgpr_workgroup_id_x 1
		.amdhsa_system_sgpr_workgroup_id_y 1
		.amdhsa_system_sgpr_workgroup_id_z 1
		.amdhsa_system_sgpr_workgroup_info 0
		.amdhsa_system_vgpr_workitem_id 1
		.amdhsa_next_free_vgpr 42
		.amdhsa_next_free_sgpr 24
		.amdhsa_reserve_vcc 1
		.amdhsa_reserve_flat_scratch 0
		.amdhsa_float_round_mode_32 0
		.amdhsa_float_round_mode_16_64 0
		.amdhsa_float_denorm_mode_32 3
		.amdhsa_float_denorm_mode_16_64 3
		.amdhsa_dx10_clamp 1
		.amdhsa_ieee_mode 1
		.amdhsa_fp16_overflow 0
		.amdhsa_workgroup_processor_mode 1
		.amdhsa_memory_ordered 1
		.amdhsa_forward_progress 1
		.amdhsa_shared_vgpr_count 0
		.amdhsa_exception_fp_ieee_invalid_op 0
		.amdhsa_exception_fp_denorm_src 0
		.amdhsa_exception_fp_ieee_div_zero 0
		.amdhsa_exception_fp_ieee_overflow 0
		.amdhsa_exception_fp_ieee_underflow 0
		.amdhsa_exception_fp_ieee_inexact 0
		.amdhsa_exception_int_div_zero 0
	.end_amdhsa_kernel
	.section	.text._ZL29rocblas_internal_gemmt_kernelIiLi16ELi32ELi8ELc67ELc67ELc85ELb0ELb0EfPKfS1_PfEviT_T9_T10_S3_lS5_S3_lS4_T11_S3_li,"axG",@progbits,_ZL29rocblas_internal_gemmt_kernelIiLi16ELi32ELi8ELc67ELc67ELc85ELb0ELb0EfPKfS1_PfEviT_T9_T10_S3_lS5_S3_lS4_T11_S3_li,comdat
.Lfunc_end8:
	.size	_ZL29rocblas_internal_gemmt_kernelIiLi16ELi32ELi8ELc67ELc67ELc85ELb0ELb0EfPKfS1_PfEviT_T9_T10_S3_lS5_S3_lS4_T11_S3_li, .Lfunc_end8-_ZL29rocblas_internal_gemmt_kernelIiLi16ELi32ELi8ELc67ELc67ELc85ELb0ELb0EfPKfS1_PfEviT_T9_T10_S3_lS5_S3_lS4_T11_S3_li
                                        ; -- End function
	.set _ZL29rocblas_internal_gemmt_kernelIiLi16ELi32ELi8ELc67ELc67ELc85ELb0ELb0EfPKfS1_PfEviT_T9_T10_S3_lS5_S3_lS4_T11_S3_li.num_vgpr, 42
	.set _ZL29rocblas_internal_gemmt_kernelIiLi16ELi32ELi8ELc67ELc67ELc85ELb0ELb0EfPKfS1_PfEviT_T9_T10_S3_lS5_S3_lS4_T11_S3_li.num_agpr, 0
	.set _ZL29rocblas_internal_gemmt_kernelIiLi16ELi32ELi8ELc67ELc67ELc85ELb0ELb0EfPKfS1_PfEviT_T9_T10_S3_lS5_S3_lS4_T11_S3_li.numbered_sgpr, 24
	.set _ZL29rocblas_internal_gemmt_kernelIiLi16ELi32ELi8ELc67ELc67ELc85ELb0ELb0EfPKfS1_PfEviT_T9_T10_S3_lS5_S3_lS4_T11_S3_li.num_named_barrier, 0
	.set _ZL29rocblas_internal_gemmt_kernelIiLi16ELi32ELi8ELc67ELc67ELc85ELb0ELb0EfPKfS1_PfEviT_T9_T10_S3_lS5_S3_lS4_T11_S3_li.private_seg_size, 0
	.set _ZL29rocblas_internal_gemmt_kernelIiLi16ELi32ELi8ELc67ELc67ELc85ELb0ELb0EfPKfS1_PfEviT_T9_T10_S3_lS5_S3_lS4_T11_S3_li.uses_vcc, 1
	.set _ZL29rocblas_internal_gemmt_kernelIiLi16ELi32ELi8ELc67ELc67ELc85ELb0ELb0EfPKfS1_PfEviT_T9_T10_S3_lS5_S3_lS4_T11_S3_li.uses_flat_scratch, 0
	.set _ZL29rocblas_internal_gemmt_kernelIiLi16ELi32ELi8ELc67ELc67ELc85ELb0ELb0EfPKfS1_PfEviT_T9_T10_S3_lS5_S3_lS4_T11_S3_li.has_dyn_sized_stack, 0
	.set _ZL29rocblas_internal_gemmt_kernelIiLi16ELi32ELi8ELc67ELc67ELc85ELb0ELb0EfPKfS1_PfEviT_T9_T10_S3_lS5_S3_lS4_T11_S3_li.has_recursion, 0
	.set _ZL29rocblas_internal_gemmt_kernelIiLi16ELi32ELi8ELc67ELc67ELc85ELb0ELb0EfPKfS1_PfEviT_T9_T10_S3_lS5_S3_lS4_T11_S3_li.has_indirect_call, 0
	.section	.AMDGPU.csdata,"",@progbits
; Kernel info:
; codeLenInByte = 1420
; TotalNumSgprs: 26
; NumVgprs: 42
; ScratchSize: 0
; MemoryBound: 0
; FloatMode: 240
; IeeeMode: 1
; LDSByteSize: 2048 bytes/workgroup (compile time only)
; SGPRBlocks: 0
; VGPRBlocks: 5
; NumSGPRsForWavesPerEU: 26
; NumVGPRsForWavesPerEU: 42
; Occupancy: 16
; WaveLimiterHint : 0
; COMPUTE_PGM_RSRC2:SCRATCH_EN: 0
; COMPUTE_PGM_RSRC2:USER_SGPR: 6
; COMPUTE_PGM_RSRC2:TRAP_HANDLER: 0
; COMPUTE_PGM_RSRC2:TGID_X_EN: 1
; COMPUTE_PGM_RSRC2:TGID_Y_EN: 1
; COMPUTE_PGM_RSRC2:TGID_Z_EN: 1
; COMPUTE_PGM_RSRC2:TIDIG_COMP_CNT: 1
	.section	.text._ZL29rocblas_internal_gemmt_kernelIiLi16ELi32ELi8ELc78ELc78ELc76ELb0ELb0EfPKfS1_PfEviT_T9_T10_S3_lS5_S3_lS4_T11_S3_li,"axG",@progbits,_ZL29rocblas_internal_gemmt_kernelIiLi16ELi32ELi8ELc78ELc78ELc76ELb0ELb0EfPKfS1_PfEviT_T9_T10_S3_lS5_S3_lS4_T11_S3_li,comdat
	.globl	_ZL29rocblas_internal_gemmt_kernelIiLi16ELi32ELi8ELc78ELc78ELc76ELb0ELb0EfPKfS1_PfEviT_T9_T10_S3_lS5_S3_lS4_T11_S3_li ; -- Begin function _ZL29rocblas_internal_gemmt_kernelIiLi16ELi32ELi8ELc78ELc78ELc76ELb0ELb0EfPKfS1_PfEviT_T9_T10_S3_lS5_S3_lS4_T11_S3_li
	.p2align	8
	.type	_ZL29rocblas_internal_gemmt_kernelIiLi16ELi32ELi8ELc78ELc78ELc76ELb0ELb0EfPKfS1_PfEviT_T9_T10_S3_lS5_S3_lS4_T11_S3_li,@function
_ZL29rocblas_internal_gemmt_kernelIiLi16ELi32ELi8ELc78ELc78ELc76ELb0ELb0EfPKfS1_PfEviT_T9_T10_S3_lS5_S3_lS4_T11_S3_li: ; @_ZL29rocblas_internal_gemmt_kernelIiLi16ELi32ELi8ELc78ELc78ELc76ELb0ELb0EfPKfS1_PfEviT_T9_T10_S3_lS5_S3_lS4_T11_S3_li
; %bb.0:
	s_clause 0x1
	s_load_dwordx4 s[12:15], s[4:5], 0x38
	s_load_dwordx4 s[0:3], s[4:5], 0x8
	s_waitcnt lgkmcnt(0)
	s_load_dword s9, s[14:15], 0x0
	s_load_dwordx2 s[10:11], s[4:5], 0x0
	s_load_dword s20, s[0:1], 0x0
	s_waitcnt lgkmcnt(0)
	v_cmp_neq_f32_e64 s0, s9, 1.0
	s_and_b32 vcc_lo, exec_lo, s0
	s_cbranch_vccnz .LBB9_2
; %bb.1:
	v_cmp_neq_f32_e64 s0, s20, 0
	s_cmp_lg_u32 s11, 0
	s_cselect_b32 s1, -1, 0
	s_and_b32 s0, s1, s0
.LBB9_2:
	s_andn2_b32 vcc_lo, exec_lo, s0
	s_cbranch_vccnz .LBB9_26
; %bb.3:
	s_load_dwordx2 s[14:15], s[4:5], 0x48
	s_lshl_b32 s21, s6, 5
	s_lshl_b32 s22, s7, 5
	v_cmp_eq_f32_e64 s0, s20, 0
	s_cmp_lt_i32 s11, 1
	v_mov_b32_e32 v13, 0
	s_cselect_b32 s1, -1, 0
	v_mov_b32_e32 v8, 0
	v_mov_b32_e32 v7, 0
	;; [unrolled: 1-line block ×3, first 2 shown]
	s_or_b32 s0, s0, s1
	s_mov_b32 s23, 0
	s_and_b32 vcc_lo, exec_lo, s0
	s_cbranch_vccnz .LBB9_10
; %bb.4:
	s_load_dword s6, s[4:5], 0x18
	v_lshl_add_u32 v2, v1, 4, v0
	s_clause 0x1
	s_load_dwordx4 s[16:19], s[4:5], 0x20
	s_load_dword s1, s[4:5], 0x30
	v_and_b32_e32 v9, 7, v0
	v_lshlrev_b32_e32 v10, 2, v0
	v_lshl_add_u32 v11, v1, 5, 0x400
	v_and_b32_e32 v3, 31, v2
	v_lshrrev_b32_e32 v4, 3, v2
	v_lshlrev_b32_e32 v8, 2, v9
	v_lshrrev_b32_e32 v12, 5, v2
	v_or_b32_e32 v5, s21, v3
	v_add_nc_u32_e32 v6, s22, v4
	v_lshl_or_b32 v13, v4, 5, v8
	v_lshlrev_b32_e32 v7, 2, v3
	v_add_nc_u32_e32 v2, s21, v3
	v_cmp_gt_i32_e32 vcc_lo, s10, v5
	v_cmp_gt_i32_e64 s0, s10, v6
	v_add_nc_u32_e32 v15, 0x400, v13
	v_lshl_or_b32 v14, v12, 7, v7
	s_waitcnt lgkmcnt(0)
	v_mad_i64_i32 v[4:5], null, v12, s6, 0
	s_mul_i32 s7, s17, s8
	s_mul_hi_u32 s17, s16, s8
	v_mad_i64_i32 v[6:7], null, s1, v6, 0
	v_ashrrev_i32_e32 v3, 31, v2
	s_mul_i32 s16, s16, s8
	v_lshlrev_b64 v[4:5], 2, v[4:5]
	s_add_i32 s17, s17, s7
	s_mul_hi_u32 s7, s12, s8
	s_lshl_b64 s[16:17], s[16:17], 2
	v_lshlrev_b64 v[2:3], 2, v[2:3]
	s_mul_i32 s12, s12, s8
	v_add_co_u32 v13, s1, v4, s16
	v_add_co_ci_u32_e64 v16, null, s17, v5, s1
	s_mul_i32 s1, s13, s8
	v_lshlrev_b64 v[4:5], 2, v[6:7]
	s_add_i32 s13, s7, s1
	v_add_co_u32 v2, s1, v13, v2
	s_lshl_b64 s[12:13], s[12:13], 2
	v_add_co_ci_u32_e64 v3, null, v16, v3, s1
	v_add_co_u32 v4, s1, v4, s12
	v_add_co_ci_u32_e64 v5, null, s13, v5, s1
	v_add_co_u32 v2, s1, s2, v2
	;; [unrolled: 2-line block ×3, first 2 shown]
	v_add_co_ci_u32_e64 v5, null, 0, v5, s1
	v_mov_b32_e32 v6, 0
	v_add_co_u32 v4, s1, s18, v4
	v_add_co_ci_u32_e64 v5, null, s19, v5, s1
	v_mov_b32_e32 v7, 0
	v_mov_b32_e32 v8, 0
	;; [unrolled: 1-line block ×3, first 2 shown]
	s_ashr_i32 s7, s6, 31
	s_lshl_b64 s[2:3], s[6:7], 5
	s_branch .LBB9_6
.LBB9_5:                                ;   in Loop: Header=BB9_6 Depth=1
	s_or_b32 exec_lo, exec_lo, s1
	s_waitcnt vmcnt(0)
	ds_write_b32 v15, v17
	s_waitcnt lgkmcnt(0)
	s_barrier
	buffer_gl0_inv
	ds_read_b128 v[16:19], v11
	ds_read2_b32 v[32:33], v10 offset1:16
	ds_read_b128 v[20:23], v11 offset:512
	ds_read2_b32 v[34:35], v10 offset0:32 offset1:48
	ds_read2_b32 v[36:37], v10 offset0:64 offset1:80
	;; [unrolled: 1-line block ×3, first 2 shown]
	ds_read_b128 v[24:27], v11 offset:16
	ds_read2_b32 v[40:41], v10 offset0:128 offset1:144
	ds_read_b128 v[28:31], v11 offset:528
	v_add_co_u32 v2, s1, v2, s2
	v_add_co_ci_u32_e64 v3, null, s3, v3, s1
	v_add_co_u32 v4, s1, v4, 32
	v_add_co_ci_u32_e64 v5, null, 0, v5, s1
	s_add_i32 s23, s23, 8
	s_cmp_lt_i32 s23, s11
	s_waitcnt lgkmcnt(7)
	v_fmac_f32_e32 v13, v32, v16
	v_fmac_f32_e32 v8, v33, v16
	s_waitcnt lgkmcnt(6)
	v_fmac_f32_e32 v7, v32, v20
	v_fmac_f32_e32 v6, v33, v20
	ds_read2_b32 v[32:33], v10 offset0:160 offset1:176
	s_waitcnt lgkmcnt(6)
	v_fmac_f32_e32 v13, v34, v17
	v_fmac_f32_e32 v8, v35, v17
	v_fmac_f32_e32 v7, v34, v21
	v_fmac_f32_e32 v6, v35, v21
	ds_read2_b32 v[16:17], v10 offset0:192 offset1:208
	s_waitcnt lgkmcnt(6)
	v_fmac_f32_e32 v13, v36, v18
	v_fmac_f32_e32 v8, v37, v18
	;; [unrolled: 6-line block ×3, first 2 shown]
	v_fmac_f32_e32 v7, v38, v23
	v_fmac_f32_e32 v6, v39, v23
	s_waitcnt lgkmcnt(0)
	v_fmac_f32_e32 v13, v40, v24
	v_fmac_f32_e32 v8, v41, v24
	;; [unrolled: 1-line block ×4, first 2 shown]
	s_barrier
	v_fmac_f32_e32 v13, v32, v25
	v_fmac_f32_e32 v8, v33, v25
	v_fmac_f32_e32 v7, v32, v29
	v_fmac_f32_e32 v6, v33, v29
	buffer_gl0_inv
	v_fmac_f32_e32 v13, v16, v26
	v_fmac_f32_e32 v8, v17, v26
	;; [unrolled: 1-line block ×8, first 2 shown]
	s_cbranch_scc0 .LBB9_10
.LBB9_6:                                ; =>This Inner Loop Header: Depth=1
	v_add_nc_u32_e32 v16, s23, v12
	v_cmp_gt_i32_e64 s1, s11, v16
	v_mov_b32_e32 v16, 0
	s_and_b32 s6, vcc_lo, s1
	s_and_saveexec_b32 s1, s6
	s_cbranch_execz .LBB9_8
; %bb.7:                                ;   in Loop: Header=BB9_6 Depth=1
	global_load_dword v16, v[2:3], off
.LBB9_8:                                ;   in Loop: Header=BB9_6 Depth=1
	s_or_b32 exec_lo, exec_lo, s1
	v_add_nc_u32_e32 v17, s23, v9
	s_waitcnt vmcnt(0)
	ds_write_b32 v14, v16
	v_cmp_gt_i32_e64 s1, s11, v17
	v_mov_b32_e32 v17, 0
	s_and_b32 s6, s1, s0
	s_and_saveexec_b32 s1, s6
	s_cbranch_execz .LBB9_5
; %bb.9:                                ;   in Loop: Header=BB9_6 Depth=1
	global_load_dword v17, v[4:5], off
	s_branch .LBB9_5
.LBB9_10:
	s_clause 0x1
	s_load_dword s3, s[4:5], 0x50
	s_load_dwordx2 s[4:5], s[4:5], 0x58
	v_add_nc_u32_e32 v10, s22, v1
	v_add_nc_u32_e32 v0, s21, v0
	v_cmp_le_i32_e32 vcc_lo, v10, v0
	v_cmp_gt_i32_e64 s0, s10, v0
	s_waitcnt lgkmcnt(0)
	v_mad_i64_i32 v[1:2], null, v10, s3, 0
	s_mul_i32 s1, s5, s8
	s_mul_hi_u32 s2, s4, s8
	s_mul_i32 s4, s4, s8
	s_add_i32 s5, s2, s1
	v_cmp_neq_f32_e64 s2, s9, 0
	s_lshl_b64 s[4:5], s[4:5], 2
	v_lshlrev_b64 v[2:3], 2, v[1:2]
	s_add_u32 s4, s14, s4
	s_addc_u32 s5, s15, s5
	v_ashrrev_i32_e32 v1, 31, v0
	v_cndmask_b32_e64 v9, 0, 1, s2
	s_and_b32 s6, vcc_lo, s0
	v_add_co_u32 v4, s1, s4, v2
	v_add_co_ci_u32_e64 v5, null, s5, v3, s1
	s_and_saveexec_b32 s1, s6
	s_cbranch_execz .LBB9_14
; %bb.11:
	v_lshlrev_b64 v[2:3], 2, v[0:1]
	v_mul_f32_e32 v11, s20, v13
	v_add_co_u32 v2, vcc_lo, v4, v2
	v_add_co_ci_u32_e64 v3, null, v5, v3, vcc_lo
	s_andn2_b32 vcc_lo, exec_lo, s2
	s_cbranch_vccnz .LBB9_13
; %bb.12:
	global_load_dword v12, v[2:3], off
	s_waitcnt vmcnt(0)
	v_fmac_f32_e32 v11, s9, v12
.LBB9_13:
	global_store_dword v[2:3], v11, off
.LBB9_14:
	s_or_b32 exec_lo, exec_lo, s1
	v_add_nc_u32_e32 v2, 16, v0
	v_cmp_le_i32_e32 vcc_lo, v10, v2
	v_cmp_gt_i32_e64 s1, s10, v2
	v_ashrrev_i32_e32 v3, 31, v2
	s_and_b32 s2, vcc_lo, s1
	s_and_saveexec_b32 s6, s2
	s_cbranch_execz .LBB9_18
; %bb.15:
	v_lshlrev_b64 v[11:12], 2, v[2:3]
	v_cmp_ne_u32_e32 vcc_lo, 1, v9
	v_mul_f32_e32 v8, s20, v8
	v_add_co_u32 v4, s2, v4, v11
	v_add_co_ci_u32_e64 v5, null, v5, v12, s2
	s_cbranch_vccnz .LBB9_17
; %bb.16:
	global_load_dword v11, v[4:5], off
	s_waitcnt vmcnt(0)
	v_fmac_f32_e32 v8, s9, v11
.LBB9_17:
	global_store_dword v[4:5], v8, off
.LBB9_18:
	s_or_b32 exec_lo, exec_lo, s6
	v_add_nc_u32_e32 v8, 16, v10
	v_mad_i64_i32 v[4:5], null, v8, s3, 0
	v_cmp_le_i32_e32 vcc_lo, v8, v0
	s_and_b32 s0, vcc_lo, s0
	v_lshlrev_b64 v[4:5], 2, v[4:5]
	v_add_co_u32 v4, s2, s4, v4
	v_add_co_ci_u32_e64 v5, null, s5, v5, s2
	s_and_saveexec_b32 s2, s0
	s_cbranch_execz .LBB9_22
; %bb.19:
	v_lshlrev_b64 v[0:1], 2, v[0:1]
	v_cmp_ne_u32_e32 vcc_lo, 1, v9
	v_mul_f32_e32 v7, s20, v7
	v_add_co_u32 v0, s0, v4, v0
	v_add_co_ci_u32_e64 v1, null, v5, v1, s0
	s_cbranch_vccnz .LBB9_21
; %bb.20:
	global_load_dword v10, v[0:1], off
	s_waitcnt vmcnt(0)
	v_fmac_f32_e32 v7, s9, v10
.LBB9_21:
	global_store_dword v[0:1], v7, off
.LBB9_22:
	s_or_b32 exec_lo, exec_lo, s2
	v_cmp_le_i32_e32 vcc_lo, v8, v2
	s_and_b32 s0, vcc_lo, s1
	s_and_saveexec_b32 s1, s0
	s_cbranch_execz .LBB9_26
; %bb.23:
	v_lshlrev_b64 v[0:1], 2, v[2:3]
	v_cmp_ne_u32_e32 vcc_lo, 1, v9
	v_mul_f32_e32 v2, s20, v6
	v_add_co_u32 v0, s0, v4, v0
	v_add_co_ci_u32_e64 v1, null, v5, v1, s0
	s_cbranch_vccnz .LBB9_25
; %bb.24:
	global_load_dword v3, v[0:1], off
	s_waitcnt vmcnt(0)
	v_fmac_f32_e32 v2, s9, v3
.LBB9_25:
	global_store_dword v[0:1], v2, off
.LBB9_26:
	s_endpgm
	.section	.rodata,"a",@progbits
	.p2align	6, 0x0
	.amdhsa_kernel _ZL29rocblas_internal_gemmt_kernelIiLi16ELi32ELi8ELc78ELc78ELc76ELb0ELb0EfPKfS1_PfEviT_T9_T10_S3_lS5_S3_lS4_T11_S3_li
		.amdhsa_group_segment_fixed_size 2048
		.amdhsa_private_segment_fixed_size 0
		.amdhsa_kernarg_size 100
		.amdhsa_user_sgpr_count 6
		.amdhsa_user_sgpr_private_segment_buffer 1
		.amdhsa_user_sgpr_dispatch_ptr 0
		.amdhsa_user_sgpr_queue_ptr 0
		.amdhsa_user_sgpr_kernarg_segment_ptr 1
		.amdhsa_user_sgpr_dispatch_id 0
		.amdhsa_user_sgpr_flat_scratch_init 0
		.amdhsa_user_sgpr_private_segment_size 0
		.amdhsa_wavefront_size32 1
		.amdhsa_uses_dynamic_stack 0
		.amdhsa_system_sgpr_private_segment_wavefront_offset 0
		.amdhsa_system_sgpr_workgroup_id_x 1
		.amdhsa_system_sgpr_workgroup_id_y 1
		.amdhsa_system_sgpr_workgroup_id_z 1
		.amdhsa_system_sgpr_workgroup_info 0
		.amdhsa_system_vgpr_workitem_id 1
		.amdhsa_next_free_vgpr 42
		.amdhsa_next_free_sgpr 24
		.amdhsa_reserve_vcc 1
		.amdhsa_reserve_flat_scratch 0
		.amdhsa_float_round_mode_32 0
		.amdhsa_float_round_mode_16_64 0
		.amdhsa_float_denorm_mode_32 3
		.amdhsa_float_denorm_mode_16_64 3
		.amdhsa_dx10_clamp 1
		.amdhsa_ieee_mode 1
		.amdhsa_fp16_overflow 0
		.amdhsa_workgroup_processor_mode 1
		.amdhsa_memory_ordered 1
		.amdhsa_forward_progress 1
		.amdhsa_shared_vgpr_count 0
		.amdhsa_exception_fp_ieee_invalid_op 0
		.amdhsa_exception_fp_denorm_src 0
		.amdhsa_exception_fp_ieee_div_zero 0
		.amdhsa_exception_fp_ieee_overflow 0
		.amdhsa_exception_fp_ieee_underflow 0
		.amdhsa_exception_fp_ieee_inexact 0
		.amdhsa_exception_int_div_zero 0
	.end_amdhsa_kernel
	.section	.text._ZL29rocblas_internal_gemmt_kernelIiLi16ELi32ELi8ELc78ELc78ELc76ELb0ELb0EfPKfS1_PfEviT_T9_T10_S3_lS5_S3_lS4_T11_S3_li,"axG",@progbits,_ZL29rocblas_internal_gemmt_kernelIiLi16ELi32ELi8ELc78ELc78ELc76ELb0ELb0EfPKfS1_PfEviT_T9_T10_S3_lS5_S3_lS4_T11_S3_li,comdat
.Lfunc_end9:
	.size	_ZL29rocblas_internal_gemmt_kernelIiLi16ELi32ELi8ELc78ELc78ELc76ELb0ELb0EfPKfS1_PfEviT_T9_T10_S3_lS5_S3_lS4_T11_S3_li, .Lfunc_end9-_ZL29rocblas_internal_gemmt_kernelIiLi16ELi32ELi8ELc78ELc78ELc76ELb0ELb0EfPKfS1_PfEviT_T9_T10_S3_lS5_S3_lS4_T11_S3_li
                                        ; -- End function
	.set _ZL29rocblas_internal_gemmt_kernelIiLi16ELi32ELi8ELc78ELc78ELc76ELb0ELb0EfPKfS1_PfEviT_T9_T10_S3_lS5_S3_lS4_T11_S3_li.num_vgpr, 42
	.set _ZL29rocblas_internal_gemmt_kernelIiLi16ELi32ELi8ELc78ELc78ELc76ELb0ELb0EfPKfS1_PfEviT_T9_T10_S3_lS5_S3_lS4_T11_S3_li.num_agpr, 0
	.set _ZL29rocblas_internal_gemmt_kernelIiLi16ELi32ELi8ELc78ELc78ELc76ELb0ELb0EfPKfS1_PfEviT_T9_T10_S3_lS5_S3_lS4_T11_S3_li.numbered_sgpr, 24
	.set _ZL29rocblas_internal_gemmt_kernelIiLi16ELi32ELi8ELc78ELc78ELc76ELb0ELb0EfPKfS1_PfEviT_T9_T10_S3_lS5_S3_lS4_T11_S3_li.num_named_barrier, 0
	.set _ZL29rocblas_internal_gemmt_kernelIiLi16ELi32ELi8ELc78ELc78ELc76ELb0ELb0EfPKfS1_PfEviT_T9_T10_S3_lS5_S3_lS4_T11_S3_li.private_seg_size, 0
	.set _ZL29rocblas_internal_gemmt_kernelIiLi16ELi32ELi8ELc78ELc78ELc76ELb0ELb0EfPKfS1_PfEviT_T9_T10_S3_lS5_S3_lS4_T11_S3_li.uses_vcc, 1
	.set _ZL29rocblas_internal_gemmt_kernelIiLi16ELi32ELi8ELc78ELc78ELc76ELb0ELb0EfPKfS1_PfEviT_T9_T10_S3_lS5_S3_lS4_T11_S3_li.uses_flat_scratch, 0
	.set _ZL29rocblas_internal_gemmt_kernelIiLi16ELi32ELi8ELc78ELc78ELc76ELb0ELb0EfPKfS1_PfEviT_T9_T10_S3_lS5_S3_lS4_T11_S3_li.has_dyn_sized_stack, 0
	.set _ZL29rocblas_internal_gemmt_kernelIiLi16ELi32ELi8ELc78ELc78ELc76ELb0ELb0EfPKfS1_PfEviT_T9_T10_S3_lS5_S3_lS4_T11_S3_li.has_recursion, 0
	.set _ZL29rocblas_internal_gemmt_kernelIiLi16ELi32ELi8ELc78ELc78ELc76ELb0ELb0EfPKfS1_PfEviT_T9_T10_S3_lS5_S3_lS4_T11_S3_li.has_indirect_call, 0
	.section	.AMDGPU.csdata,"",@progbits
; Kernel info:
; codeLenInByte = 1416
; TotalNumSgprs: 26
; NumVgprs: 42
; ScratchSize: 0
; MemoryBound: 0
; FloatMode: 240
; IeeeMode: 1
; LDSByteSize: 2048 bytes/workgroup (compile time only)
; SGPRBlocks: 0
; VGPRBlocks: 5
; NumSGPRsForWavesPerEU: 26
; NumVGPRsForWavesPerEU: 42
; Occupancy: 16
; WaveLimiterHint : 0
; COMPUTE_PGM_RSRC2:SCRATCH_EN: 0
; COMPUTE_PGM_RSRC2:USER_SGPR: 6
; COMPUTE_PGM_RSRC2:TRAP_HANDLER: 0
; COMPUTE_PGM_RSRC2:TGID_X_EN: 1
; COMPUTE_PGM_RSRC2:TGID_Y_EN: 1
; COMPUTE_PGM_RSRC2:TGID_Z_EN: 1
; COMPUTE_PGM_RSRC2:TIDIG_COMP_CNT: 1
	.section	.text._ZL29rocblas_internal_gemmt_kernelIiLi16ELi32ELi8ELc78ELc84ELc76ELb0ELb0EfPKfS1_PfEviT_T9_T10_S3_lS5_S3_lS4_T11_S3_li,"axG",@progbits,_ZL29rocblas_internal_gemmt_kernelIiLi16ELi32ELi8ELc78ELc84ELc76ELb0ELb0EfPKfS1_PfEviT_T9_T10_S3_lS5_S3_lS4_T11_S3_li,comdat
	.globl	_ZL29rocblas_internal_gemmt_kernelIiLi16ELi32ELi8ELc78ELc84ELc76ELb0ELb0EfPKfS1_PfEviT_T9_T10_S3_lS5_S3_lS4_T11_S3_li ; -- Begin function _ZL29rocblas_internal_gemmt_kernelIiLi16ELi32ELi8ELc78ELc84ELc76ELb0ELb0EfPKfS1_PfEviT_T9_T10_S3_lS5_S3_lS4_T11_S3_li
	.p2align	8
	.type	_ZL29rocblas_internal_gemmt_kernelIiLi16ELi32ELi8ELc78ELc84ELc76ELb0ELb0EfPKfS1_PfEviT_T9_T10_S3_lS5_S3_lS4_T11_S3_li,@function
_ZL29rocblas_internal_gemmt_kernelIiLi16ELi32ELi8ELc78ELc84ELc76ELb0ELb0EfPKfS1_PfEviT_T9_T10_S3_lS5_S3_lS4_T11_S3_li: ; @_ZL29rocblas_internal_gemmt_kernelIiLi16ELi32ELi8ELc78ELc84ELc76ELb0ELb0EfPKfS1_PfEviT_T9_T10_S3_lS5_S3_lS4_T11_S3_li
; %bb.0:
	s_clause 0x1
	s_load_dwordx4 s[12:15], s[4:5], 0x38
	s_load_dwordx4 s[0:3], s[4:5], 0x8
	s_waitcnt lgkmcnt(0)
	s_load_dword s9, s[14:15], 0x0
	s_load_dwordx2 s[10:11], s[4:5], 0x0
	s_load_dword s22, s[0:1], 0x0
	s_waitcnt lgkmcnt(0)
	v_cmp_neq_f32_e64 s0, s9, 1.0
	s_and_b32 vcc_lo, exec_lo, s0
	s_cbranch_vccnz .LBB10_2
; %bb.1:
	v_cmp_neq_f32_e64 s0, s22, 0
	s_cmp_lg_u32 s11, 0
	s_cselect_b32 s1, -1, 0
	s_and_b32 s0, s1, s0
.LBB10_2:
	s_andn2_b32 vcc_lo, exec_lo, s0
	s_cbranch_vccnz .LBB10_26
; %bb.3:
	s_load_dwordx2 s[14:15], s[4:5], 0x48
	s_lshl_b32 s23, s6, 5
	s_lshl_b32 s24, s7, 5
	v_cmp_eq_f32_e64 s0, s22, 0
	s_cmp_lt_i32 s11, 1
	v_mov_b32_e32 v13, 0
	s_cselect_b32 s1, -1, 0
	v_mov_b32_e32 v8, 0
	v_mov_b32_e32 v7, 0
	;; [unrolled: 1-line block ×3, first 2 shown]
	s_or_b32 s0, s0, s1
	s_mov_b32 s25, 0
	s_and_b32 vcc_lo, exec_lo, s0
	s_cbranch_vccnz .LBB10_10
; %bb.4:
	s_load_dword s6, s[4:5], 0x18
	v_lshl_add_u32 v2, v1, 4, v0
	s_clause 0x1
	s_load_dwordx4 s[16:19], s[4:5], 0x20
	s_load_dword s20, s[4:5], 0x30
	v_and_b32_e32 v9, 7, v0
	v_lshlrev_b32_e32 v10, 2, v0
	v_lshl_add_u32 v11, v1, 5, 0x400
	v_and_b32_e32 v3, 31, v2
	v_lshrrev_b32_e32 v4, 3, v2
	v_lshlrev_b32_e32 v5, 2, v9
	v_lshrrev_b32_e32 v12, 5, v2
	v_or_b32_e32 v6, s23, v3
	v_lshlrev_b32_e32 v7, 2, v3
	v_lshl_or_b32 v8, v4, 5, v5
	v_add_nc_u32_e32 v2, s24, v4
	v_add_nc_u32_e32 v4, s23, v3
	v_cmp_gt_i32_e32 vcc_lo, s10, v6
	v_lshl_or_b32 v14, v12, 7, v7
	v_add_nc_u32_e32 v15, 0x400, v8
	v_ashrrev_i32_e32 v3, 31, v2
	s_waitcnt lgkmcnt(0)
	v_mad_i64_i32 v[5:6], null, v12, s6, 0
	s_mul_i32 s1, s17, s8
	s_mul_hi_u32 s17, s16, s8
	v_mad_i64_i32 v[7:8], null, s20, v9, 0
	s_mul_i32 s16, s16, s8
	s_add_i32 s17, s17, s1
	v_lshlrev_b64 v[5:6], 2, v[5:6]
	s_lshl_b64 s[16:17], s[16:17], 2
	v_cmp_gt_i32_e64 s0, s10, v2
	v_lshlrev_b64 v[2:3], 2, v[2:3]
	s_ashr_i32 s7, s6, 31
	s_ashr_i32 s21, s20, 31
	v_add_co_u32 v13, s1, v5, s16
	v_ashrrev_i32_e32 v5, 31, v4
	v_add_co_ci_u32_e64 v16, null, s17, v6, s1
	s_mul_i32 s1, s13, s8
	s_mul_hi_u32 s13, s12, s8
	v_lshlrev_b64 v[6:7], 2, v[7:8]
	s_add_i32 s13, s13, s1
	s_mul_i32 s12, s12, s8
	v_lshlrev_b64 v[4:5], 2, v[4:5]
	s_lshl_b64 s[12:13], s[12:13], 2
	v_mov_b32_e32 v8, 0
	v_add_co_u32 v6, s1, s12, v6
	v_add_co_ci_u32_e64 v7, null, s13, v7, s1
	v_add_co_u32 v4, s1, v13, v4
	v_add_co_ci_u32_e64 v5, null, v16, v5, s1
	v_add_co_u32 v6, s1, v6, v2
	v_add_co_ci_u32_e64 v7, null, v7, v3, s1
	v_add_co_u32 v2, s1, s2, v4
	v_add_co_ci_u32_e64 v3, null, s3, v5, s1
	v_add_co_u32 v4, s1, s18, v6
	v_add_co_ci_u32_e64 v5, null, s19, v7, s1
	v_mov_b32_e32 v6, 0
	v_mov_b32_e32 v7, 0
	;; [unrolled: 1-line block ×3, first 2 shown]
	s_lshl_b64 s[2:3], s[6:7], 5
	s_lshl_b64 s[6:7], s[20:21], 5
	s_branch .LBB10_6
.LBB10_5:                               ;   in Loop: Header=BB10_6 Depth=1
	s_or_b32 exec_lo, exec_lo, s1
	s_waitcnt vmcnt(0)
	ds_write_b32 v15, v17
	s_waitcnt lgkmcnt(0)
	s_barrier
	buffer_gl0_inv
	ds_read_b128 v[16:19], v11
	ds_read2_b32 v[32:33], v10 offset1:16
	ds_read_b128 v[20:23], v11 offset:512
	ds_read2_b32 v[34:35], v10 offset0:32 offset1:48
	ds_read2_b32 v[36:37], v10 offset0:64 offset1:80
	;; [unrolled: 1-line block ×3, first 2 shown]
	ds_read_b128 v[24:27], v11 offset:16
	ds_read2_b32 v[40:41], v10 offset0:128 offset1:144
	ds_read_b128 v[28:31], v11 offset:528
	v_add_co_u32 v2, s1, v2, s2
	v_add_co_ci_u32_e64 v3, null, s3, v3, s1
	v_add_co_u32 v4, s1, v4, s6
	v_add_co_ci_u32_e64 v5, null, s7, v5, s1
	s_add_i32 s25, s25, 8
	s_cmp_lt_i32 s25, s11
	s_waitcnt lgkmcnt(7)
	v_fmac_f32_e32 v13, v32, v16
	v_fmac_f32_e32 v8, v33, v16
	s_waitcnt lgkmcnt(6)
	v_fmac_f32_e32 v7, v32, v20
	v_fmac_f32_e32 v6, v33, v20
	ds_read2_b32 v[32:33], v10 offset0:160 offset1:176
	s_waitcnt lgkmcnt(6)
	v_fmac_f32_e32 v13, v34, v17
	v_fmac_f32_e32 v8, v35, v17
	v_fmac_f32_e32 v7, v34, v21
	v_fmac_f32_e32 v6, v35, v21
	ds_read2_b32 v[16:17], v10 offset0:192 offset1:208
	s_waitcnt lgkmcnt(6)
	v_fmac_f32_e32 v13, v36, v18
	v_fmac_f32_e32 v8, v37, v18
	;; [unrolled: 6-line block ×3, first 2 shown]
	v_fmac_f32_e32 v7, v38, v23
	v_fmac_f32_e32 v6, v39, v23
	s_waitcnt lgkmcnt(0)
	v_fmac_f32_e32 v13, v40, v24
	v_fmac_f32_e32 v8, v41, v24
	;; [unrolled: 1-line block ×4, first 2 shown]
	s_barrier
	v_fmac_f32_e32 v13, v32, v25
	v_fmac_f32_e32 v8, v33, v25
	;; [unrolled: 1-line block ×4, first 2 shown]
	buffer_gl0_inv
	v_fmac_f32_e32 v13, v16, v26
	v_fmac_f32_e32 v8, v17, v26
	;; [unrolled: 1-line block ×8, first 2 shown]
	s_cbranch_scc0 .LBB10_10
.LBB10_6:                               ; =>This Inner Loop Header: Depth=1
	v_add_nc_u32_e32 v16, s25, v12
	v_cmp_gt_i32_e64 s1, s11, v16
	v_mov_b32_e32 v16, 0
	s_and_b32 s12, vcc_lo, s1
	s_and_saveexec_b32 s1, s12
	s_cbranch_execz .LBB10_8
; %bb.7:                                ;   in Loop: Header=BB10_6 Depth=1
	global_load_dword v16, v[2:3], off
.LBB10_8:                               ;   in Loop: Header=BB10_6 Depth=1
	s_or_b32 exec_lo, exec_lo, s1
	v_add_nc_u32_e32 v17, s25, v9
	s_waitcnt vmcnt(0)
	ds_write_b32 v14, v16
	v_cmp_gt_i32_e64 s1, s11, v17
	v_mov_b32_e32 v17, 0
	s_and_b32 s12, s1, s0
	s_and_saveexec_b32 s1, s12
	s_cbranch_execz .LBB10_5
; %bb.9:                                ;   in Loop: Header=BB10_6 Depth=1
	global_load_dword v17, v[4:5], off
	s_branch .LBB10_5
.LBB10_10:
	s_clause 0x1
	s_load_dword s3, s[4:5], 0x50
	s_load_dwordx2 s[4:5], s[4:5], 0x58
	v_add_nc_u32_e32 v10, s24, v1
	v_add_nc_u32_e32 v0, s23, v0
	v_cmp_le_i32_e32 vcc_lo, v10, v0
	v_cmp_gt_i32_e64 s0, s10, v0
	s_waitcnt lgkmcnt(0)
	v_mad_i64_i32 v[1:2], null, v10, s3, 0
	s_mul_i32 s1, s5, s8
	s_mul_hi_u32 s2, s4, s8
	s_mul_i32 s4, s4, s8
	s_add_i32 s5, s2, s1
	v_cmp_neq_f32_e64 s2, s9, 0
	s_lshl_b64 s[4:5], s[4:5], 2
	v_lshlrev_b64 v[2:3], 2, v[1:2]
	s_add_u32 s4, s14, s4
	s_addc_u32 s5, s15, s5
	v_ashrrev_i32_e32 v1, 31, v0
	v_cndmask_b32_e64 v9, 0, 1, s2
	s_and_b32 s6, vcc_lo, s0
	v_add_co_u32 v4, s1, s4, v2
	v_add_co_ci_u32_e64 v5, null, s5, v3, s1
	s_and_saveexec_b32 s1, s6
	s_cbranch_execz .LBB10_14
; %bb.11:
	v_lshlrev_b64 v[2:3], 2, v[0:1]
	v_mul_f32_e32 v11, s22, v13
	v_add_co_u32 v2, vcc_lo, v4, v2
	v_add_co_ci_u32_e64 v3, null, v5, v3, vcc_lo
	s_andn2_b32 vcc_lo, exec_lo, s2
	s_cbranch_vccnz .LBB10_13
; %bb.12:
	global_load_dword v12, v[2:3], off
	s_waitcnt vmcnt(0)
	v_fmac_f32_e32 v11, s9, v12
.LBB10_13:
	global_store_dword v[2:3], v11, off
.LBB10_14:
	s_or_b32 exec_lo, exec_lo, s1
	v_add_nc_u32_e32 v2, 16, v0
	v_cmp_le_i32_e32 vcc_lo, v10, v2
	v_cmp_gt_i32_e64 s1, s10, v2
	v_ashrrev_i32_e32 v3, 31, v2
	s_and_b32 s2, vcc_lo, s1
	s_and_saveexec_b32 s6, s2
	s_cbranch_execz .LBB10_18
; %bb.15:
	v_lshlrev_b64 v[11:12], 2, v[2:3]
	v_cmp_ne_u32_e32 vcc_lo, 1, v9
	v_mul_f32_e32 v8, s22, v8
	v_add_co_u32 v4, s2, v4, v11
	v_add_co_ci_u32_e64 v5, null, v5, v12, s2
	s_cbranch_vccnz .LBB10_17
; %bb.16:
	global_load_dword v11, v[4:5], off
	s_waitcnt vmcnt(0)
	v_fmac_f32_e32 v8, s9, v11
.LBB10_17:
	global_store_dword v[4:5], v8, off
.LBB10_18:
	s_or_b32 exec_lo, exec_lo, s6
	v_add_nc_u32_e32 v8, 16, v10
	v_mad_i64_i32 v[4:5], null, v8, s3, 0
	v_cmp_le_i32_e32 vcc_lo, v8, v0
	s_and_b32 s0, vcc_lo, s0
	v_lshlrev_b64 v[4:5], 2, v[4:5]
	v_add_co_u32 v4, s2, s4, v4
	v_add_co_ci_u32_e64 v5, null, s5, v5, s2
	s_and_saveexec_b32 s2, s0
	s_cbranch_execz .LBB10_22
; %bb.19:
	v_lshlrev_b64 v[0:1], 2, v[0:1]
	v_cmp_ne_u32_e32 vcc_lo, 1, v9
	v_mul_f32_e32 v7, s22, v7
	v_add_co_u32 v0, s0, v4, v0
	v_add_co_ci_u32_e64 v1, null, v5, v1, s0
	s_cbranch_vccnz .LBB10_21
; %bb.20:
	global_load_dword v10, v[0:1], off
	s_waitcnt vmcnt(0)
	v_fmac_f32_e32 v7, s9, v10
.LBB10_21:
	global_store_dword v[0:1], v7, off
.LBB10_22:
	s_or_b32 exec_lo, exec_lo, s2
	v_cmp_le_i32_e32 vcc_lo, v8, v2
	s_and_b32 s0, vcc_lo, s1
	s_and_saveexec_b32 s1, s0
	s_cbranch_execz .LBB10_26
; %bb.23:
	v_lshlrev_b64 v[0:1], 2, v[2:3]
	v_cmp_ne_u32_e32 vcc_lo, 1, v9
	v_mul_f32_e32 v2, s22, v6
	v_add_co_u32 v0, s0, v4, v0
	v_add_co_ci_u32_e64 v1, null, v5, v1, s0
	s_cbranch_vccnz .LBB10_25
; %bb.24:
	global_load_dword v3, v[0:1], off
	s_waitcnt vmcnt(0)
	v_fmac_f32_e32 v2, s9, v3
.LBB10_25:
	global_store_dword v[0:1], v2, off
.LBB10_26:
	s_endpgm
	.section	.rodata,"a",@progbits
	.p2align	6, 0x0
	.amdhsa_kernel _ZL29rocblas_internal_gemmt_kernelIiLi16ELi32ELi8ELc78ELc84ELc76ELb0ELb0EfPKfS1_PfEviT_T9_T10_S3_lS5_S3_lS4_T11_S3_li
		.amdhsa_group_segment_fixed_size 2048
		.amdhsa_private_segment_fixed_size 0
		.amdhsa_kernarg_size 100
		.amdhsa_user_sgpr_count 6
		.amdhsa_user_sgpr_private_segment_buffer 1
		.amdhsa_user_sgpr_dispatch_ptr 0
		.amdhsa_user_sgpr_queue_ptr 0
		.amdhsa_user_sgpr_kernarg_segment_ptr 1
		.amdhsa_user_sgpr_dispatch_id 0
		.amdhsa_user_sgpr_flat_scratch_init 0
		.amdhsa_user_sgpr_private_segment_size 0
		.amdhsa_wavefront_size32 1
		.amdhsa_uses_dynamic_stack 0
		.amdhsa_system_sgpr_private_segment_wavefront_offset 0
		.amdhsa_system_sgpr_workgroup_id_x 1
		.amdhsa_system_sgpr_workgroup_id_y 1
		.amdhsa_system_sgpr_workgroup_id_z 1
		.amdhsa_system_sgpr_workgroup_info 0
		.amdhsa_system_vgpr_workitem_id 1
		.amdhsa_next_free_vgpr 42
		.amdhsa_next_free_sgpr 26
		.amdhsa_reserve_vcc 1
		.amdhsa_reserve_flat_scratch 0
		.amdhsa_float_round_mode_32 0
		.amdhsa_float_round_mode_16_64 0
		.amdhsa_float_denorm_mode_32 3
		.amdhsa_float_denorm_mode_16_64 3
		.amdhsa_dx10_clamp 1
		.amdhsa_ieee_mode 1
		.amdhsa_fp16_overflow 0
		.amdhsa_workgroup_processor_mode 1
		.amdhsa_memory_ordered 1
		.amdhsa_forward_progress 1
		.amdhsa_shared_vgpr_count 0
		.amdhsa_exception_fp_ieee_invalid_op 0
		.amdhsa_exception_fp_denorm_src 0
		.amdhsa_exception_fp_ieee_div_zero 0
		.amdhsa_exception_fp_ieee_overflow 0
		.amdhsa_exception_fp_ieee_underflow 0
		.amdhsa_exception_fp_ieee_inexact 0
		.amdhsa_exception_int_div_zero 0
	.end_amdhsa_kernel
	.section	.text._ZL29rocblas_internal_gemmt_kernelIiLi16ELi32ELi8ELc78ELc84ELc76ELb0ELb0EfPKfS1_PfEviT_T9_T10_S3_lS5_S3_lS4_T11_S3_li,"axG",@progbits,_ZL29rocblas_internal_gemmt_kernelIiLi16ELi32ELi8ELc78ELc84ELc76ELb0ELb0EfPKfS1_PfEviT_T9_T10_S3_lS5_S3_lS4_T11_S3_li,comdat
.Lfunc_end10:
	.size	_ZL29rocblas_internal_gemmt_kernelIiLi16ELi32ELi8ELc78ELc84ELc76ELb0ELb0EfPKfS1_PfEviT_T9_T10_S3_lS5_S3_lS4_T11_S3_li, .Lfunc_end10-_ZL29rocblas_internal_gemmt_kernelIiLi16ELi32ELi8ELc78ELc84ELc76ELb0ELb0EfPKfS1_PfEviT_T9_T10_S3_lS5_S3_lS4_T11_S3_li
                                        ; -- End function
	.set _ZL29rocblas_internal_gemmt_kernelIiLi16ELi32ELi8ELc78ELc84ELc76ELb0ELb0EfPKfS1_PfEviT_T9_T10_S3_lS5_S3_lS4_T11_S3_li.num_vgpr, 42
	.set _ZL29rocblas_internal_gemmt_kernelIiLi16ELi32ELi8ELc78ELc84ELc76ELb0ELb0EfPKfS1_PfEviT_T9_T10_S3_lS5_S3_lS4_T11_S3_li.num_agpr, 0
	.set _ZL29rocblas_internal_gemmt_kernelIiLi16ELi32ELi8ELc78ELc84ELc76ELb0ELb0EfPKfS1_PfEviT_T9_T10_S3_lS5_S3_lS4_T11_S3_li.numbered_sgpr, 26
	.set _ZL29rocblas_internal_gemmt_kernelIiLi16ELi32ELi8ELc78ELc84ELc76ELb0ELb0EfPKfS1_PfEviT_T9_T10_S3_lS5_S3_lS4_T11_S3_li.num_named_barrier, 0
	.set _ZL29rocblas_internal_gemmt_kernelIiLi16ELi32ELi8ELc78ELc84ELc76ELb0ELb0EfPKfS1_PfEviT_T9_T10_S3_lS5_S3_lS4_T11_S3_li.private_seg_size, 0
	.set _ZL29rocblas_internal_gemmt_kernelIiLi16ELi32ELi8ELc78ELc84ELc76ELb0ELb0EfPKfS1_PfEviT_T9_T10_S3_lS5_S3_lS4_T11_S3_li.uses_vcc, 1
	.set _ZL29rocblas_internal_gemmt_kernelIiLi16ELi32ELi8ELc78ELc84ELc76ELb0ELb0EfPKfS1_PfEviT_T9_T10_S3_lS5_S3_lS4_T11_S3_li.uses_flat_scratch, 0
	.set _ZL29rocblas_internal_gemmt_kernelIiLi16ELi32ELi8ELc78ELc84ELc76ELb0ELb0EfPKfS1_PfEviT_T9_T10_S3_lS5_S3_lS4_T11_S3_li.has_dyn_sized_stack, 0
	.set _ZL29rocblas_internal_gemmt_kernelIiLi16ELi32ELi8ELc78ELc84ELc76ELb0ELb0EfPKfS1_PfEviT_T9_T10_S3_lS5_S3_lS4_T11_S3_li.has_recursion, 0
	.set _ZL29rocblas_internal_gemmt_kernelIiLi16ELi32ELi8ELc78ELc84ELc76ELb0ELb0EfPKfS1_PfEviT_T9_T10_S3_lS5_S3_lS4_T11_S3_li.has_indirect_call, 0
	.section	.AMDGPU.csdata,"",@progbits
; Kernel info:
; codeLenInByte = 1436
; TotalNumSgprs: 28
; NumVgprs: 42
; ScratchSize: 0
; MemoryBound: 0
; FloatMode: 240
; IeeeMode: 1
; LDSByteSize: 2048 bytes/workgroup (compile time only)
; SGPRBlocks: 0
; VGPRBlocks: 5
; NumSGPRsForWavesPerEU: 28
; NumVGPRsForWavesPerEU: 42
; Occupancy: 16
; WaveLimiterHint : 0
; COMPUTE_PGM_RSRC2:SCRATCH_EN: 0
; COMPUTE_PGM_RSRC2:USER_SGPR: 6
; COMPUTE_PGM_RSRC2:TRAP_HANDLER: 0
; COMPUTE_PGM_RSRC2:TGID_X_EN: 1
; COMPUTE_PGM_RSRC2:TGID_Y_EN: 1
; COMPUTE_PGM_RSRC2:TGID_Z_EN: 1
; COMPUTE_PGM_RSRC2:TIDIG_COMP_CNT: 1
	.section	.text._ZL29rocblas_internal_gemmt_kernelIiLi16ELi32ELi8ELc78ELc67ELc76ELb0ELb0EfPKfS1_PfEviT_T9_T10_S3_lS5_S3_lS4_T11_S3_li,"axG",@progbits,_ZL29rocblas_internal_gemmt_kernelIiLi16ELi32ELi8ELc78ELc67ELc76ELb0ELb0EfPKfS1_PfEviT_T9_T10_S3_lS5_S3_lS4_T11_S3_li,comdat
	.globl	_ZL29rocblas_internal_gemmt_kernelIiLi16ELi32ELi8ELc78ELc67ELc76ELb0ELb0EfPKfS1_PfEviT_T9_T10_S3_lS5_S3_lS4_T11_S3_li ; -- Begin function _ZL29rocblas_internal_gemmt_kernelIiLi16ELi32ELi8ELc78ELc67ELc76ELb0ELb0EfPKfS1_PfEviT_T9_T10_S3_lS5_S3_lS4_T11_S3_li
	.p2align	8
	.type	_ZL29rocblas_internal_gemmt_kernelIiLi16ELi32ELi8ELc78ELc67ELc76ELb0ELb0EfPKfS1_PfEviT_T9_T10_S3_lS5_S3_lS4_T11_S3_li,@function
_ZL29rocblas_internal_gemmt_kernelIiLi16ELi32ELi8ELc78ELc67ELc76ELb0ELb0EfPKfS1_PfEviT_T9_T10_S3_lS5_S3_lS4_T11_S3_li: ; @_ZL29rocblas_internal_gemmt_kernelIiLi16ELi32ELi8ELc78ELc67ELc76ELb0ELb0EfPKfS1_PfEviT_T9_T10_S3_lS5_S3_lS4_T11_S3_li
; %bb.0:
	s_clause 0x1
	s_load_dwordx4 s[12:15], s[4:5], 0x38
	s_load_dwordx4 s[0:3], s[4:5], 0x8
	s_waitcnt lgkmcnt(0)
	s_load_dword s9, s[14:15], 0x0
	s_load_dwordx2 s[10:11], s[4:5], 0x0
	s_load_dword s22, s[0:1], 0x0
	s_waitcnt lgkmcnt(0)
	v_cmp_neq_f32_e64 s0, s9, 1.0
	s_and_b32 vcc_lo, exec_lo, s0
	s_cbranch_vccnz .LBB11_2
; %bb.1:
	v_cmp_neq_f32_e64 s0, s22, 0
	s_cmp_lg_u32 s11, 0
	s_cselect_b32 s1, -1, 0
	s_and_b32 s0, s1, s0
.LBB11_2:
	s_andn2_b32 vcc_lo, exec_lo, s0
	s_cbranch_vccnz .LBB11_26
; %bb.3:
	s_load_dwordx2 s[14:15], s[4:5], 0x48
	s_lshl_b32 s23, s6, 5
	s_lshl_b32 s24, s7, 5
	v_cmp_eq_f32_e64 s0, s22, 0
	s_cmp_lt_i32 s11, 1
	v_mov_b32_e32 v13, 0
	s_cselect_b32 s1, -1, 0
	v_mov_b32_e32 v8, 0
	v_mov_b32_e32 v7, 0
	;; [unrolled: 1-line block ×3, first 2 shown]
	s_or_b32 s0, s0, s1
	s_mov_b32 s25, 0
	s_and_b32 vcc_lo, exec_lo, s0
	s_cbranch_vccnz .LBB11_10
; %bb.4:
	s_load_dword s6, s[4:5], 0x18
	v_lshl_add_u32 v2, v1, 4, v0
	s_clause 0x1
	s_load_dwordx4 s[16:19], s[4:5], 0x20
	s_load_dword s20, s[4:5], 0x30
	v_and_b32_e32 v9, 7, v0
	v_lshlrev_b32_e32 v10, 2, v0
	v_lshl_add_u32 v11, v1, 5, 0x400
	v_and_b32_e32 v3, 31, v2
	v_lshrrev_b32_e32 v4, 3, v2
	v_lshlrev_b32_e32 v5, 2, v9
	v_lshrrev_b32_e32 v12, 5, v2
	v_or_b32_e32 v6, s23, v3
	v_lshlrev_b32_e32 v7, 2, v3
	v_lshl_or_b32 v8, v4, 5, v5
	v_add_nc_u32_e32 v2, s24, v4
	v_add_nc_u32_e32 v4, s23, v3
	v_cmp_gt_i32_e32 vcc_lo, s10, v6
	v_lshl_or_b32 v14, v12, 7, v7
	v_add_nc_u32_e32 v15, 0x400, v8
	v_ashrrev_i32_e32 v3, 31, v2
	s_waitcnt lgkmcnt(0)
	v_mad_i64_i32 v[5:6], null, v12, s6, 0
	s_mul_i32 s1, s17, s8
	s_mul_hi_u32 s17, s16, s8
	v_mad_i64_i32 v[7:8], null, s20, v9, 0
	s_mul_i32 s16, s16, s8
	s_add_i32 s17, s17, s1
	v_lshlrev_b64 v[5:6], 2, v[5:6]
	s_lshl_b64 s[16:17], s[16:17], 2
	v_cmp_gt_i32_e64 s0, s10, v2
	v_lshlrev_b64 v[2:3], 2, v[2:3]
	s_ashr_i32 s7, s6, 31
	s_ashr_i32 s21, s20, 31
	v_add_co_u32 v13, s1, v5, s16
	v_ashrrev_i32_e32 v5, 31, v4
	v_add_co_ci_u32_e64 v16, null, s17, v6, s1
	s_mul_i32 s1, s13, s8
	s_mul_hi_u32 s13, s12, s8
	v_lshlrev_b64 v[6:7], 2, v[7:8]
	s_add_i32 s13, s13, s1
	s_mul_i32 s12, s12, s8
	v_lshlrev_b64 v[4:5], 2, v[4:5]
	s_lshl_b64 s[12:13], s[12:13], 2
	v_mov_b32_e32 v8, 0
	v_add_co_u32 v6, s1, s12, v6
	v_add_co_ci_u32_e64 v7, null, s13, v7, s1
	v_add_co_u32 v4, s1, v13, v4
	v_add_co_ci_u32_e64 v5, null, v16, v5, s1
	;; [unrolled: 2-line block ×5, first 2 shown]
	v_mov_b32_e32 v6, 0
	v_mov_b32_e32 v7, 0
	;; [unrolled: 1-line block ×3, first 2 shown]
	s_lshl_b64 s[2:3], s[6:7], 5
	s_lshl_b64 s[6:7], s[20:21], 5
	s_branch .LBB11_6
.LBB11_5:                               ;   in Loop: Header=BB11_6 Depth=1
	s_or_b32 exec_lo, exec_lo, s1
	s_waitcnt vmcnt(0)
	ds_write_b32 v15, v17
	s_waitcnt lgkmcnt(0)
	s_barrier
	buffer_gl0_inv
	ds_read_b128 v[16:19], v11
	ds_read2_b32 v[32:33], v10 offset1:16
	ds_read_b128 v[20:23], v11 offset:512
	ds_read2_b32 v[34:35], v10 offset0:32 offset1:48
	ds_read2_b32 v[36:37], v10 offset0:64 offset1:80
	;; [unrolled: 1-line block ×3, first 2 shown]
	ds_read_b128 v[24:27], v11 offset:16
	ds_read2_b32 v[40:41], v10 offset0:128 offset1:144
	ds_read_b128 v[28:31], v11 offset:528
	v_add_co_u32 v2, s1, v2, s2
	v_add_co_ci_u32_e64 v3, null, s3, v3, s1
	v_add_co_u32 v4, s1, v4, s6
	v_add_co_ci_u32_e64 v5, null, s7, v5, s1
	s_add_i32 s25, s25, 8
	s_cmp_lt_i32 s25, s11
	s_waitcnt lgkmcnt(7)
	v_fmac_f32_e32 v13, v32, v16
	v_fmac_f32_e32 v8, v33, v16
	s_waitcnt lgkmcnt(6)
	v_fmac_f32_e32 v7, v32, v20
	v_fmac_f32_e32 v6, v33, v20
	ds_read2_b32 v[32:33], v10 offset0:160 offset1:176
	s_waitcnt lgkmcnt(6)
	v_fmac_f32_e32 v13, v34, v17
	v_fmac_f32_e32 v8, v35, v17
	v_fmac_f32_e32 v7, v34, v21
	v_fmac_f32_e32 v6, v35, v21
	ds_read2_b32 v[16:17], v10 offset0:192 offset1:208
	s_waitcnt lgkmcnt(6)
	v_fmac_f32_e32 v13, v36, v18
	v_fmac_f32_e32 v8, v37, v18
	;; [unrolled: 6-line block ×3, first 2 shown]
	v_fmac_f32_e32 v7, v38, v23
	v_fmac_f32_e32 v6, v39, v23
	s_waitcnt lgkmcnt(0)
	v_fmac_f32_e32 v13, v40, v24
	v_fmac_f32_e32 v8, v41, v24
	;; [unrolled: 1-line block ×4, first 2 shown]
	s_barrier
	v_fmac_f32_e32 v13, v32, v25
	v_fmac_f32_e32 v8, v33, v25
	;; [unrolled: 1-line block ×4, first 2 shown]
	buffer_gl0_inv
	v_fmac_f32_e32 v13, v16, v26
	v_fmac_f32_e32 v8, v17, v26
	;; [unrolled: 1-line block ×8, first 2 shown]
	s_cbranch_scc0 .LBB11_10
.LBB11_6:                               ; =>This Inner Loop Header: Depth=1
	v_add_nc_u32_e32 v16, s25, v12
	v_cmp_gt_i32_e64 s1, s11, v16
	v_mov_b32_e32 v16, 0
	s_and_b32 s12, vcc_lo, s1
	s_and_saveexec_b32 s1, s12
	s_cbranch_execz .LBB11_8
; %bb.7:                                ;   in Loop: Header=BB11_6 Depth=1
	global_load_dword v16, v[2:3], off
.LBB11_8:                               ;   in Loop: Header=BB11_6 Depth=1
	s_or_b32 exec_lo, exec_lo, s1
	v_add_nc_u32_e32 v17, s25, v9
	s_waitcnt vmcnt(0)
	ds_write_b32 v14, v16
	v_cmp_gt_i32_e64 s1, s11, v17
	v_mov_b32_e32 v17, 0
	s_and_b32 s12, s1, s0
	s_and_saveexec_b32 s1, s12
	s_cbranch_execz .LBB11_5
; %bb.9:                                ;   in Loop: Header=BB11_6 Depth=1
	global_load_dword v17, v[4:5], off
	s_branch .LBB11_5
.LBB11_10:
	s_clause 0x1
	s_load_dword s3, s[4:5], 0x50
	s_load_dwordx2 s[4:5], s[4:5], 0x58
	v_add_nc_u32_e32 v10, s24, v1
	v_add_nc_u32_e32 v0, s23, v0
	v_cmp_le_i32_e32 vcc_lo, v10, v0
	v_cmp_gt_i32_e64 s0, s10, v0
	s_waitcnt lgkmcnt(0)
	v_mad_i64_i32 v[1:2], null, v10, s3, 0
	s_mul_i32 s1, s5, s8
	s_mul_hi_u32 s2, s4, s8
	s_mul_i32 s4, s4, s8
	s_add_i32 s5, s2, s1
	v_cmp_neq_f32_e64 s2, s9, 0
	s_lshl_b64 s[4:5], s[4:5], 2
	v_lshlrev_b64 v[2:3], 2, v[1:2]
	s_add_u32 s4, s14, s4
	s_addc_u32 s5, s15, s5
	v_ashrrev_i32_e32 v1, 31, v0
	v_cndmask_b32_e64 v9, 0, 1, s2
	s_and_b32 s6, vcc_lo, s0
	v_add_co_u32 v4, s1, s4, v2
	v_add_co_ci_u32_e64 v5, null, s5, v3, s1
	s_and_saveexec_b32 s1, s6
	s_cbranch_execz .LBB11_14
; %bb.11:
	v_lshlrev_b64 v[2:3], 2, v[0:1]
	v_mul_f32_e32 v11, s22, v13
	v_add_co_u32 v2, vcc_lo, v4, v2
	v_add_co_ci_u32_e64 v3, null, v5, v3, vcc_lo
	s_andn2_b32 vcc_lo, exec_lo, s2
	s_cbranch_vccnz .LBB11_13
; %bb.12:
	global_load_dword v12, v[2:3], off
	s_waitcnt vmcnt(0)
	v_fmac_f32_e32 v11, s9, v12
.LBB11_13:
	global_store_dword v[2:3], v11, off
.LBB11_14:
	s_or_b32 exec_lo, exec_lo, s1
	v_add_nc_u32_e32 v2, 16, v0
	v_cmp_le_i32_e32 vcc_lo, v10, v2
	v_cmp_gt_i32_e64 s1, s10, v2
	v_ashrrev_i32_e32 v3, 31, v2
	s_and_b32 s2, vcc_lo, s1
	s_and_saveexec_b32 s6, s2
	s_cbranch_execz .LBB11_18
; %bb.15:
	v_lshlrev_b64 v[11:12], 2, v[2:3]
	v_cmp_ne_u32_e32 vcc_lo, 1, v9
	v_mul_f32_e32 v8, s22, v8
	v_add_co_u32 v4, s2, v4, v11
	v_add_co_ci_u32_e64 v5, null, v5, v12, s2
	s_cbranch_vccnz .LBB11_17
; %bb.16:
	global_load_dword v11, v[4:5], off
	s_waitcnt vmcnt(0)
	v_fmac_f32_e32 v8, s9, v11
.LBB11_17:
	global_store_dword v[4:5], v8, off
.LBB11_18:
	s_or_b32 exec_lo, exec_lo, s6
	v_add_nc_u32_e32 v8, 16, v10
	v_mad_i64_i32 v[4:5], null, v8, s3, 0
	v_cmp_le_i32_e32 vcc_lo, v8, v0
	s_and_b32 s0, vcc_lo, s0
	v_lshlrev_b64 v[4:5], 2, v[4:5]
	v_add_co_u32 v4, s2, s4, v4
	v_add_co_ci_u32_e64 v5, null, s5, v5, s2
	s_and_saveexec_b32 s2, s0
	s_cbranch_execz .LBB11_22
; %bb.19:
	v_lshlrev_b64 v[0:1], 2, v[0:1]
	v_cmp_ne_u32_e32 vcc_lo, 1, v9
	v_mul_f32_e32 v7, s22, v7
	v_add_co_u32 v0, s0, v4, v0
	v_add_co_ci_u32_e64 v1, null, v5, v1, s0
	s_cbranch_vccnz .LBB11_21
; %bb.20:
	global_load_dword v10, v[0:1], off
	s_waitcnt vmcnt(0)
	v_fmac_f32_e32 v7, s9, v10
.LBB11_21:
	global_store_dword v[0:1], v7, off
.LBB11_22:
	s_or_b32 exec_lo, exec_lo, s2
	v_cmp_le_i32_e32 vcc_lo, v8, v2
	s_and_b32 s0, vcc_lo, s1
	s_and_saveexec_b32 s1, s0
	s_cbranch_execz .LBB11_26
; %bb.23:
	v_lshlrev_b64 v[0:1], 2, v[2:3]
	v_cmp_ne_u32_e32 vcc_lo, 1, v9
	v_mul_f32_e32 v2, s22, v6
	v_add_co_u32 v0, s0, v4, v0
	v_add_co_ci_u32_e64 v1, null, v5, v1, s0
	s_cbranch_vccnz .LBB11_25
; %bb.24:
	global_load_dword v3, v[0:1], off
	s_waitcnt vmcnt(0)
	v_fmac_f32_e32 v2, s9, v3
.LBB11_25:
	global_store_dword v[0:1], v2, off
.LBB11_26:
	s_endpgm
	.section	.rodata,"a",@progbits
	.p2align	6, 0x0
	.amdhsa_kernel _ZL29rocblas_internal_gemmt_kernelIiLi16ELi32ELi8ELc78ELc67ELc76ELb0ELb0EfPKfS1_PfEviT_T9_T10_S3_lS5_S3_lS4_T11_S3_li
		.amdhsa_group_segment_fixed_size 2048
		.amdhsa_private_segment_fixed_size 0
		.amdhsa_kernarg_size 100
		.amdhsa_user_sgpr_count 6
		.amdhsa_user_sgpr_private_segment_buffer 1
		.amdhsa_user_sgpr_dispatch_ptr 0
		.amdhsa_user_sgpr_queue_ptr 0
		.amdhsa_user_sgpr_kernarg_segment_ptr 1
		.amdhsa_user_sgpr_dispatch_id 0
		.amdhsa_user_sgpr_flat_scratch_init 0
		.amdhsa_user_sgpr_private_segment_size 0
		.amdhsa_wavefront_size32 1
		.amdhsa_uses_dynamic_stack 0
		.amdhsa_system_sgpr_private_segment_wavefront_offset 0
		.amdhsa_system_sgpr_workgroup_id_x 1
		.amdhsa_system_sgpr_workgroup_id_y 1
		.amdhsa_system_sgpr_workgroup_id_z 1
		.amdhsa_system_sgpr_workgroup_info 0
		.amdhsa_system_vgpr_workitem_id 1
		.amdhsa_next_free_vgpr 42
		.amdhsa_next_free_sgpr 26
		.amdhsa_reserve_vcc 1
		.amdhsa_reserve_flat_scratch 0
		.amdhsa_float_round_mode_32 0
		.amdhsa_float_round_mode_16_64 0
		.amdhsa_float_denorm_mode_32 3
		.amdhsa_float_denorm_mode_16_64 3
		.amdhsa_dx10_clamp 1
		.amdhsa_ieee_mode 1
		.amdhsa_fp16_overflow 0
		.amdhsa_workgroup_processor_mode 1
		.amdhsa_memory_ordered 1
		.amdhsa_forward_progress 1
		.amdhsa_shared_vgpr_count 0
		.amdhsa_exception_fp_ieee_invalid_op 0
		.amdhsa_exception_fp_denorm_src 0
		.amdhsa_exception_fp_ieee_div_zero 0
		.amdhsa_exception_fp_ieee_overflow 0
		.amdhsa_exception_fp_ieee_underflow 0
		.amdhsa_exception_fp_ieee_inexact 0
		.amdhsa_exception_int_div_zero 0
	.end_amdhsa_kernel
	.section	.text._ZL29rocblas_internal_gemmt_kernelIiLi16ELi32ELi8ELc78ELc67ELc76ELb0ELb0EfPKfS1_PfEviT_T9_T10_S3_lS5_S3_lS4_T11_S3_li,"axG",@progbits,_ZL29rocblas_internal_gemmt_kernelIiLi16ELi32ELi8ELc78ELc67ELc76ELb0ELb0EfPKfS1_PfEviT_T9_T10_S3_lS5_S3_lS4_T11_S3_li,comdat
.Lfunc_end11:
	.size	_ZL29rocblas_internal_gemmt_kernelIiLi16ELi32ELi8ELc78ELc67ELc76ELb0ELb0EfPKfS1_PfEviT_T9_T10_S3_lS5_S3_lS4_T11_S3_li, .Lfunc_end11-_ZL29rocblas_internal_gemmt_kernelIiLi16ELi32ELi8ELc78ELc67ELc76ELb0ELb0EfPKfS1_PfEviT_T9_T10_S3_lS5_S3_lS4_T11_S3_li
                                        ; -- End function
	.set _ZL29rocblas_internal_gemmt_kernelIiLi16ELi32ELi8ELc78ELc67ELc76ELb0ELb0EfPKfS1_PfEviT_T9_T10_S3_lS5_S3_lS4_T11_S3_li.num_vgpr, 42
	.set _ZL29rocblas_internal_gemmt_kernelIiLi16ELi32ELi8ELc78ELc67ELc76ELb0ELb0EfPKfS1_PfEviT_T9_T10_S3_lS5_S3_lS4_T11_S3_li.num_agpr, 0
	.set _ZL29rocblas_internal_gemmt_kernelIiLi16ELi32ELi8ELc78ELc67ELc76ELb0ELb0EfPKfS1_PfEviT_T9_T10_S3_lS5_S3_lS4_T11_S3_li.numbered_sgpr, 26
	.set _ZL29rocblas_internal_gemmt_kernelIiLi16ELi32ELi8ELc78ELc67ELc76ELb0ELb0EfPKfS1_PfEviT_T9_T10_S3_lS5_S3_lS4_T11_S3_li.num_named_barrier, 0
	.set _ZL29rocblas_internal_gemmt_kernelIiLi16ELi32ELi8ELc78ELc67ELc76ELb0ELb0EfPKfS1_PfEviT_T9_T10_S3_lS5_S3_lS4_T11_S3_li.private_seg_size, 0
	.set _ZL29rocblas_internal_gemmt_kernelIiLi16ELi32ELi8ELc78ELc67ELc76ELb0ELb0EfPKfS1_PfEviT_T9_T10_S3_lS5_S3_lS4_T11_S3_li.uses_vcc, 1
	.set _ZL29rocblas_internal_gemmt_kernelIiLi16ELi32ELi8ELc78ELc67ELc76ELb0ELb0EfPKfS1_PfEviT_T9_T10_S3_lS5_S3_lS4_T11_S3_li.uses_flat_scratch, 0
	.set _ZL29rocblas_internal_gemmt_kernelIiLi16ELi32ELi8ELc78ELc67ELc76ELb0ELb0EfPKfS1_PfEviT_T9_T10_S3_lS5_S3_lS4_T11_S3_li.has_dyn_sized_stack, 0
	.set _ZL29rocblas_internal_gemmt_kernelIiLi16ELi32ELi8ELc78ELc67ELc76ELb0ELb0EfPKfS1_PfEviT_T9_T10_S3_lS5_S3_lS4_T11_S3_li.has_recursion, 0
	.set _ZL29rocblas_internal_gemmt_kernelIiLi16ELi32ELi8ELc78ELc67ELc76ELb0ELb0EfPKfS1_PfEviT_T9_T10_S3_lS5_S3_lS4_T11_S3_li.has_indirect_call, 0
	.section	.AMDGPU.csdata,"",@progbits
; Kernel info:
; codeLenInByte = 1436
; TotalNumSgprs: 28
; NumVgprs: 42
; ScratchSize: 0
; MemoryBound: 0
; FloatMode: 240
; IeeeMode: 1
; LDSByteSize: 2048 bytes/workgroup (compile time only)
; SGPRBlocks: 0
; VGPRBlocks: 5
; NumSGPRsForWavesPerEU: 28
; NumVGPRsForWavesPerEU: 42
; Occupancy: 16
; WaveLimiterHint : 0
; COMPUTE_PGM_RSRC2:SCRATCH_EN: 0
; COMPUTE_PGM_RSRC2:USER_SGPR: 6
; COMPUTE_PGM_RSRC2:TRAP_HANDLER: 0
; COMPUTE_PGM_RSRC2:TGID_X_EN: 1
; COMPUTE_PGM_RSRC2:TGID_Y_EN: 1
; COMPUTE_PGM_RSRC2:TGID_Z_EN: 1
; COMPUTE_PGM_RSRC2:TIDIG_COMP_CNT: 1
	.section	.text._ZL29rocblas_internal_gemmt_kernelIiLi16ELi32ELi8ELc84ELc78ELc76ELb0ELb0EfPKfS1_PfEviT_T9_T10_S3_lS5_S3_lS4_T11_S3_li,"axG",@progbits,_ZL29rocblas_internal_gemmt_kernelIiLi16ELi32ELi8ELc84ELc78ELc76ELb0ELb0EfPKfS1_PfEviT_T9_T10_S3_lS5_S3_lS4_T11_S3_li,comdat
	.globl	_ZL29rocblas_internal_gemmt_kernelIiLi16ELi32ELi8ELc84ELc78ELc76ELb0ELb0EfPKfS1_PfEviT_T9_T10_S3_lS5_S3_lS4_T11_S3_li ; -- Begin function _ZL29rocblas_internal_gemmt_kernelIiLi16ELi32ELi8ELc84ELc78ELc76ELb0ELb0EfPKfS1_PfEviT_T9_T10_S3_lS5_S3_lS4_T11_S3_li
	.p2align	8
	.type	_ZL29rocblas_internal_gemmt_kernelIiLi16ELi32ELi8ELc84ELc78ELc76ELb0ELb0EfPKfS1_PfEviT_T9_T10_S3_lS5_S3_lS4_T11_S3_li,@function
_ZL29rocblas_internal_gemmt_kernelIiLi16ELi32ELi8ELc84ELc78ELc76ELb0ELb0EfPKfS1_PfEviT_T9_T10_S3_lS5_S3_lS4_T11_S3_li: ; @_ZL29rocblas_internal_gemmt_kernelIiLi16ELi32ELi8ELc84ELc78ELc76ELb0ELb0EfPKfS1_PfEviT_T9_T10_S3_lS5_S3_lS4_T11_S3_li
; %bb.0:
	s_clause 0x1
	s_load_dwordx4 s[12:15], s[4:5], 0x38
	s_load_dwordx4 s[0:3], s[4:5], 0x8
	s_waitcnt lgkmcnt(0)
	s_load_dword s9, s[14:15], 0x0
	s_load_dwordx2 s[10:11], s[4:5], 0x0
	s_load_dword s20, s[0:1], 0x0
	s_waitcnt lgkmcnt(0)
	v_cmp_neq_f32_e64 s0, s9, 1.0
	s_and_b32 vcc_lo, exec_lo, s0
	s_cbranch_vccnz .LBB12_2
; %bb.1:
	v_cmp_neq_f32_e64 s0, s20, 0
	s_cmp_lg_u32 s11, 0
	s_cselect_b32 s1, -1, 0
	s_and_b32 s0, s1, s0
.LBB12_2:
	s_andn2_b32 vcc_lo, exec_lo, s0
	s_cbranch_vccnz .LBB12_26
; %bb.3:
	s_load_dwordx2 s[14:15], s[4:5], 0x48
	s_lshl_b32 s6, s6, 5
	s_lshl_b32 s7, s7, 5
	v_cmp_eq_f32_e64 s0, s20, 0
	s_cmp_lt_i32 s11, 1
	v_mov_b32_e32 v11, 0
	s_cselect_b32 s1, -1, 0
	v_mov_b32_e32 v8, 0
	v_mov_b32_e32 v7, 0
	;; [unrolled: 1-line block ×3, first 2 shown]
	s_or_b32 s0, s0, s1
	s_mov_b32 s21, 0
	s_and_b32 vcc_lo, exec_lo, s0
	s_cbranch_vccnz .LBB12_10
; %bb.4:
	s_load_dword s0, s[4:5], 0x18
	v_lshl_add_u32 v2, v1, 4, v0
	s_clause 0x1
	s_load_dwordx4 s[16:19], s[4:5], 0x20
	s_load_dword s1, s[4:5], 0x30
	v_and_b32_e32 v9, 7, v0
	v_lshlrev_b32_e32 v10, 2, v0
	v_lshl_add_u32 v12, v1, 5, 0x400
	v_and_b32_e32 v4, 31, v2
	v_lshrrev_b32_e32 v3, 3, v2
	v_lshrrev_b32_e32 v13, 5, v2
	v_lshlrev_b32_e32 v7, 2, v9
	v_add_nc_u32_e32 v2, s6, v4
	v_add_nc_u32_e32 v5, s7, v3
	v_or_b32_e32 v6, s6, v4
	v_lshl_or_b32 v8, v3, 5, v7
	v_lshlrev_b32_e32 v4, 2, v4
	v_lshlrev_b32_e32 v11, 2, v13
	v_cmp_gt_i32_e32 vcc_lo, s10, v6
	v_add_nc_u32_e32 v15, 0x400, v8
	s_waitcnt lgkmcnt(0)
	v_mad_i64_i32 v[2:3], null, s0, v2, 0
	v_lshl_or_b32 v14, v13, 7, v4
	v_cmp_gt_i32_e64 s0, s10, v5
	s_mul_i32 s17, s17, s8
	s_mul_hi_u32 s22, s16, s8
	v_mad_i64_i32 v[4:5], null, s1, v5, 0
	v_lshlrev_b64 v[2:3], 2, v[2:3]
	s_mul_i32 s16, s16, s8
	s_add_i32 s17, s22, s17
	v_mov_b32_e32 v6, 0
	s_lshl_b64 s[16:17], s[16:17], 2
	v_add_co_u32 v8, s1, v2, s16
	v_add_co_ci_u32_e64 v16, null, s17, v3, s1
	s_mul_i32 s1, s13, s8
	s_mul_hi_u32 s13, s12, s8
	v_lshlrev_b64 v[2:3], 2, v[4:5]
	s_add_i32 s13, s13, s1
	s_mul_i32 s12, s12, s8
	s_lshl_b64 s[12:13], s[12:13], 2
	v_add_co_u32 v2, s1, v2, s12
	v_add_co_ci_u32_e64 v3, null, s13, v3, s1
	v_add_co_u32 v4, s1, v8, v11
	v_add_co_ci_u32_e64 v5, null, 0, v16, s1
	;; [unrolled: 2-line block ×5, first 2 shown]
	v_mov_b32_e32 v7, 0
	v_mov_b32_e32 v8, 0
	;; [unrolled: 1-line block ×3, first 2 shown]
	s_branch .LBB12_6
.LBB12_5:                               ;   in Loop: Header=BB12_6 Depth=1
	s_or_b32 exec_lo, exec_lo, s1
	s_waitcnt vmcnt(0)
	ds_write_b32 v15, v17
	s_waitcnt lgkmcnt(0)
	s_barrier
	buffer_gl0_inv
	ds_read_b128 v[16:19], v12
	ds_read2_b32 v[32:33], v10 offset1:16
	ds_read_b128 v[20:23], v12 offset:512
	ds_read2_b32 v[34:35], v10 offset0:32 offset1:48
	ds_read2_b32 v[36:37], v10 offset0:64 offset1:80
	;; [unrolled: 1-line block ×3, first 2 shown]
	ds_read_b128 v[24:27], v12 offset:16
	ds_read2_b32 v[40:41], v10 offset0:128 offset1:144
	ds_read_b128 v[28:31], v12 offset:528
	v_add_co_u32 v2, s1, v2, 32
	v_add_co_ci_u32_e64 v3, null, 0, v3, s1
	v_add_co_u32 v4, s1, v4, 32
	v_add_co_ci_u32_e64 v5, null, 0, v5, s1
	s_add_i32 s21, s21, 8
	s_cmp_lt_i32 s21, s11
	s_waitcnt lgkmcnt(7)
	v_fmac_f32_e32 v11, v32, v16
	v_fmac_f32_e32 v8, v33, v16
	s_waitcnt lgkmcnt(6)
	v_fmac_f32_e32 v7, v32, v20
	v_fmac_f32_e32 v6, v33, v20
	ds_read2_b32 v[32:33], v10 offset0:160 offset1:176
	s_waitcnt lgkmcnt(6)
	v_fmac_f32_e32 v11, v34, v17
	v_fmac_f32_e32 v8, v35, v17
	v_fmac_f32_e32 v7, v34, v21
	v_fmac_f32_e32 v6, v35, v21
	ds_read2_b32 v[16:17], v10 offset0:192 offset1:208
	s_waitcnt lgkmcnt(6)
	v_fmac_f32_e32 v11, v36, v18
	v_fmac_f32_e32 v8, v37, v18
	;; [unrolled: 6-line block ×3, first 2 shown]
	v_fmac_f32_e32 v7, v38, v23
	v_fmac_f32_e32 v6, v39, v23
	s_waitcnt lgkmcnt(0)
	v_fmac_f32_e32 v11, v40, v24
	v_fmac_f32_e32 v8, v41, v24
	;; [unrolled: 1-line block ×4, first 2 shown]
	s_barrier
	v_fmac_f32_e32 v11, v32, v25
	v_fmac_f32_e32 v8, v33, v25
	;; [unrolled: 1-line block ×4, first 2 shown]
	buffer_gl0_inv
	v_fmac_f32_e32 v11, v16, v26
	v_fmac_f32_e32 v8, v17, v26
	;; [unrolled: 1-line block ×8, first 2 shown]
	s_cbranch_scc0 .LBB12_10
.LBB12_6:                               ; =>This Inner Loop Header: Depth=1
	v_add_nc_u32_e32 v16, s21, v13
	v_cmp_gt_i32_e64 s1, s11, v16
	v_mov_b32_e32 v16, 0
	s_and_b32 s2, vcc_lo, s1
	s_and_saveexec_b32 s1, s2
	s_cbranch_execz .LBB12_8
; %bb.7:                                ;   in Loop: Header=BB12_6 Depth=1
	global_load_dword v16, v[2:3], off
.LBB12_8:                               ;   in Loop: Header=BB12_6 Depth=1
	s_or_b32 exec_lo, exec_lo, s1
	v_add_nc_u32_e32 v17, s21, v9
	s_waitcnt vmcnt(0)
	ds_write_b32 v14, v16
	v_cmp_gt_i32_e64 s1, s11, v17
	v_mov_b32_e32 v17, 0
	s_and_b32 s2, s1, s0
	s_and_saveexec_b32 s1, s2
	s_cbranch_execz .LBB12_5
; %bb.9:                                ;   in Loop: Header=BB12_6 Depth=1
	global_load_dword v17, v[4:5], off
	s_branch .LBB12_5
.LBB12_10:
	s_clause 0x1
	s_load_dword s3, s[4:5], 0x50
	s_load_dwordx2 s[4:5], s[4:5], 0x58
	v_add_nc_u32_e32 v10, s7, v1
	v_add_nc_u32_e32 v0, s6, v0
	v_cmp_le_i32_e32 vcc_lo, v10, v0
	v_cmp_gt_i32_e64 s0, s10, v0
	s_waitcnt lgkmcnt(0)
	v_mad_i64_i32 v[1:2], null, v10, s3, 0
	s_mul_i32 s1, s5, s8
	s_mul_hi_u32 s2, s4, s8
	s_mul_i32 s4, s4, s8
	s_add_i32 s5, s2, s1
	v_cmp_neq_f32_e64 s2, s9, 0
	s_lshl_b64 s[4:5], s[4:5], 2
	v_lshlrev_b64 v[2:3], 2, v[1:2]
	s_add_u32 s4, s14, s4
	s_addc_u32 s5, s15, s5
	v_ashrrev_i32_e32 v1, 31, v0
	v_cndmask_b32_e64 v9, 0, 1, s2
	s_and_b32 s6, vcc_lo, s0
	v_add_co_u32 v4, s1, s4, v2
	v_add_co_ci_u32_e64 v5, null, s5, v3, s1
	s_and_saveexec_b32 s1, s6
	s_cbranch_execz .LBB12_14
; %bb.11:
	v_lshlrev_b64 v[2:3], 2, v[0:1]
	v_mul_f32_e32 v11, s20, v11
	v_add_co_u32 v2, vcc_lo, v4, v2
	v_add_co_ci_u32_e64 v3, null, v5, v3, vcc_lo
	s_andn2_b32 vcc_lo, exec_lo, s2
	s_cbranch_vccnz .LBB12_13
; %bb.12:
	global_load_dword v12, v[2:3], off
	s_waitcnt vmcnt(0)
	v_fmac_f32_e32 v11, s9, v12
.LBB12_13:
	global_store_dword v[2:3], v11, off
.LBB12_14:
	s_or_b32 exec_lo, exec_lo, s1
	v_add_nc_u32_e32 v2, 16, v0
	v_cmp_le_i32_e32 vcc_lo, v10, v2
	v_cmp_gt_i32_e64 s1, s10, v2
	v_ashrrev_i32_e32 v3, 31, v2
	s_and_b32 s2, vcc_lo, s1
	s_and_saveexec_b32 s6, s2
	s_cbranch_execz .LBB12_18
; %bb.15:
	v_lshlrev_b64 v[11:12], 2, v[2:3]
	v_cmp_ne_u32_e32 vcc_lo, 1, v9
	v_mul_f32_e32 v8, s20, v8
	v_add_co_u32 v4, s2, v4, v11
	v_add_co_ci_u32_e64 v5, null, v5, v12, s2
	s_cbranch_vccnz .LBB12_17
; %bb.16:
	global_load_dword v11, v[4:5], off
	s_waitcnt vmcnt(0)
	v_fmac_f32_e32 v8, s9, v11
.LBB12_17:
	global_store_dword v[4:5], v8, off
.LBB12_18:
	s_or_b32 exec_lo, exec_lo, s6
	v_add_nc_u32_e32 v8, 16, v10
	v_mad_i64_i32 v[4:5], null, v8, s3, 0
	v_cmp_le_i32_e32 vcc_lo, v8, v0
	s_and_b32 s0, vcc_lo, s0
	v_lshlrev_b64 v[4:5], 2, v[4:5]
	v_add_co_u32 v4, s2, s4, v4
	v_add_co_ci_u32_e64 v5, null, s5, v5, s2
	s_and_saveexec_b32 s2, s0
	s_cbranch_execz .LBB12_22
; %bb.19:
	v_lshlrev_b64 v[0:1], 2, v[0:1]
	v_cmp_ne_u32_e32 vcc_lo, 1, v9
	v_mul_f32_e32 v7, s20, v7
	v_add_co_u32 v0, s0, v4, v0
	v_add_co_ci_u32_e64 v1, null, v5, v1, s0
	s_cbranch_vccnz .LBB12_21
; %bb.20:
	global_load_dword v10, v[0:1], off
	s_waitcnt vmcnt(0)
	v_fmac_f32_e32 v7, s9, v10
.LBB12_21:
	global_store_dword v[0:1], v7, off
.LBB12_22:
	s_or_b32 exec_lo, exec_lo, s2
	v_cmp_le_i32_e32 vcc_lo, v8, v2
	s_and_b32 s0, vcc_lo, s1
	s_and_saveexec_b32 s1, s0
	s_cbranch_execz .LBB12_26
; %bb.23:
	v_lshlrev_b64 v[0:1], 2, v[2:3]
	v_cmp_ne_u32_e32 vcc_lo, 1, v9
	v_mul_f32_e32 v2, s20, v6
	v_add_co_u32 v0, s0, v4, v0
	v_add_co_ci_u32_e64 v1, null, v5, v1, s0
	s_cbranch_vccnz .LBB12_25
; %bb.24:
	global_load_dword v3, v[0:1], off
	s_waitcnt vmcnt(0)
	v_fmac_f32_e32 v2, s9, v3
.LBB12_25:
	global_store_dword v[0:1], v2, off
.LBB12_26:
	s_endpgm
	.section	.rodata,"a",@progbits
	.p2align	6, 0x0
	.amdhsa_kernel _ZL29rocblas_internal_gemmt_kernelIiLi16ELi32ELi8ELc84ELc78ELc76ELb0ELb0EfPKfS1_PfEviT_T9_T10_S3_lS5_S3_lS4_T11_S3_li
		.amdhsa_group_segment_fixed_size 2048
		.amdhsa_private_segment_fixed_size 0
		.amdhsa_kernarg_size 100
		.amdhsa_user_sgpr_count 6
		.amdhsa_user_sgpr_private_segment_buffer 1
		.amdhsa_user_sgpr_dispatch_ptr 0
		.amdhsa_user_sgpr_queue_ptr 0
		.amdhsa_user_sgpr_kernarg_segment_ptr 1
		.amdhsa_user_sgpr_dispatch_id 0
		.amdhsa_user_sgpr_flat_scratch_init 0
		.amdhsa_user_sgpr_private_segment_size 0
		.amdhsa_wavefront_size32 1
		.amdhsa_uses_dynamic_stack 0
		.amdhsa_system_sgpr_private_segment_wavefront_offset 0
		.amdhsa_system_sgpr_workgroup_id_x 1
		.amdhsa_system_sgpr_workgroup_id_y 1
		.amdhsa_system_sgpr_workgroup_id_z 1
		.amdhsa_system_sgpr_workgroup_info 0
		.amdhsa_system_vgpr_workitem_id 1
		.amdhsa_next_free_vgpr 42
		.amdhsa_next_free_sgpr 23
		.amdhsa_reserve_vcc 1
		.amdhsa_reserve_flat_scratch 0
		.amdhsa_float_round_mode_32 0
		.amdhsa_float_round_mode_16_64 0
		.amdhsa_float_denorm_mode_32 3
		.amdhsa_float_denorm_mode_16_64 3
		.amdhsa_dx10_clamp 1
		.amdhsa_ieee_mode 1
		.amdhsa_fp16_overflow 0
		.amdhsa_workgroup_processor_mode 1
		.amdhsa_memory_ordered 1
		.amdhsa_forward_progress 1
		.amdhsa_shared_vgpr_count 0
		.amdhsa_exception_fp_ieee_invalid_op 0
		.amdhsa_exception_fp_denorm_src 0
		.amdhsa_exception_fp_ieee_div_zero 0
		.amdhsa_exception_fp_ieee_overflow 0
		.amdhsa_exception_fp_ieee_underflow 0
		.amdhsa_exception_fp_ieee_inexact 0
		.amdhsa_exception_int_div_zero 0
	.end_amdhsa_kernel
	.section	.text._ZL29rocblas_internal_gemmt_kernelIiLi16ELi32ELi8ELc84ELc78ELc76ELb0ELb0EfPKfS1_PfEviT_T9_T10_S3_lS5_S3_lS4_T11_S3_li,"axG",@progbits,_ZL29rocblas_internal_gemmt_kernelIiLi16ELi32ELi8ELc84ELc78ELc76ELb0ELb0EfPKfS1_PfEviT_T9_T10_S3_lS5_S3_lS4_T11_S3_li,comdat
.Lfunc_end12:
	.size	_ZL29rocblas_internal_gemmt_kernelIiLi16ELi32ELi8ELc84ELc78ELc76ELb0ELb0EfPKfS1_PfEviT_T9_T10_S3_lS5_S3_lS4_T11_S3_li, .Lfunc_end12-_ZL29rocblas_internal_gemmt_kernelIiLi16ELi32ELi8ELc84ELc78ELc76ELb0ELb0EfPKfS1_PfEviT_T9_T10_S3_lS5_S3_lS4_T11_S3_li
                                        ; -- End function
	.set _ZL29rocblas_internal_gemmt_kernelIiLi16ELi32ELi8ELc84ELc78ELc76ELb0ELb0EfPKfS1_PfEviT_T9_T10_S3_lS5_S3_lS4_T11_S3_li.num_vgpr, 42
	.set _ZL29rocblas_internal_gemmt_kernelIiLi16ELi32ELi8ELc84ELc78ELc76ELb0ELb0EfPKfS1_PfEviT_T9_T10_S3_lS5_S3_lS4_T11_S3_li.num_agpr, 0
	.set _ZL29rocblas_internal_gemmt_kernelIiLi16ELi32ELi8ELc84ELc78ELc76ELb0ELb0EfPKfS1_PfEviT_T9_T10_S3_lS5_S3_lS4_T11_S3_li.numbered_sgpr, 23
	.set _ZL29rocblas_internal_gemmt_kernelIiLi16ELi32ELi8ELc84ELc78ELc76ELb0ELb0EfPKfS1_PfEviT_T9_T10_S3_lS5_S3_lS4_T11_S3_li.num_named_barrier, 0
	.set _ZL29rocblas_internal_gemmt_kernelIiLi16ELi32ELi8ELc84ELc78ELc76ELb0ELb0EfPKfS1_PfEviT_T9_T10_S3_lS5_S3_lS4_T11_S3_li.private_seg_size, 0
	.set _ZL29rocblas_internal_gemmt_kernelIiLi16ELi32ELi8ELc84ELc78ELc76ELb0ELb0EfPKfS1_PfEviT_T9_T10_S3_lS5_S3_lS4_T11_S3_li.uses_vcc, 1
	.set _ZL29rocblas_internal_gemmt_kernelIiLi16ELi32ELi8ELc84ELc78ELc76ELb0ELb0EfPKfS1_PfEviT_T9_T10_S3_lS5_S3_lS4_T11_S3_li.uses_flat_scratch, 0
	.set _ZL29rocblas_internal_gemmt_kernelIiLi16ELi32ELi8ELc84ELc78ELc76ELb0ELb0EfPKfS1_PfEviT_T9_T10_S3_lS5_S3_lS4_T11_S3_li.has_dyn_sized_stack, 0
	.set _ZL29rocblas_internal_gemmt_kernelIiLi16ELi32ELi8ELc84ELc78ELc76ELb0ELb0EfPKfS1_PfEviT_T9_T10_S3_lS5_S3_lS4_T11_S3_li.has_recursion, 0
	.set _ZL29rocblas_internal_gemmt_kernelIiLi16ELi32ELi8ELc84ELc78ELc76ELb0ELb0EfPKfS1_PfEviT_T9_T10_S3_lS5_S3_lS4_T11_S3_li.has_indirect_call, 0
	.section	.AMDGPU.csdata,"",@progbits
; Kernel info:
; codeLenInByte = 1400
; TotalNumSgprs: 25
; NumVgprs: 42
; ScratchSize: 0
; MemoryBound: 0
; FloatMode: 240
; IeeeMode: 1
; LDSByteSize: 2048 bytes/workgroup (compile time only)
; SGPRBlocks: 0
; VGPRBlocks: 5
; NumSGPRsForWavesPerEU: 25
; NumVGPRsForWavesPerEU: 42
; Occupancy: 16
; WaveLimiterHint : 0
; COMPUTE_PGM_RSRC2:SCRATCH_EN: 0
; COMPUTE_PGM_RSRC2:USER_SGPR: 6
; COMPUTE_PGM_RSRC2:TRAP_HANDLER: 0
; COMPUTE_PGM_RSRC2:TGID_X_EN: 1
; COMPUTE_PGM_RSRC2:TGID_Y_EN: 1
; COMPUTE_PGM_RSRC2:TGID_Z_EN: 1
; COMPUTE_PGM_RSRC2:TIDIG_COMP_CNT: 1
	.section	.text._ZL29rocblas_internal_gemmt_kernelIiLi16ELi32ELi8ELc84ELc84ELc76ELb0ELb0EfPKfS1_PfEviT_T9_T10_S3_lS5_S3_lS4_T11_S3_li,"axG",@progbits,_ZL29rocblas_internal_gemmt_kernelIiLi16ELi32ELi8ELc84ELc84ELc76ELb0ELb0EfPKfS1_PfEviT_T9_T10_S3_lS5_S3_lS4_T11_S3_li,comdat
	.globl	_ZL29rocblas_internal_gemmt_kernelIiLi16ELi32ELi8ELc84ELc84ELc76ELb0ELb0EfPKfS1_PfEviT_T9_T10_S3_lS5_S3_lS4_T11_S3_li ; -- Begin function _ZL29rocblas_internal_gemmt_kernelIiLi16ELi32ELi8ELc84ELc84ELc76ELb0ELb0EfPKfS1_PfEviT_T9_T10_S3_lS5_S3_lS4_T11_S3_li
	.p2align	8
	.type	_ZL29rocblas_internal_gemmt_kernelIiLi16ELi32ELi8ELc84ELc84ELc76ELb0ELb0EfPKfS1_PfEviT_T9_T10_S3_lS5_S3_lS4_T11_S3_li,@function
_ZL29rocblas_internal_gemmt_kernelIiLi16ELi32ELi8ELc84ELc84ELc76ELb0ELb0EfPKfS1_PfEviT_T9_T10_S3_lS5_S3_lS4_T11_S3_li: ; @_ZL29rocblas_internal_gemmt_kernelIiLi16ELi32ELi8ELc84ELc84ELc76ELb0ELb0EfPKfS1_PfEviT_T9_T10_S3_lS5_S3_lS4_T11_S3_li
; %bb.0:
	s_clause 0x1
	s_load_dwordx4 s[12:15], s[4:5], 0x38
	s_load_dwordx4 s[0:3], s[4:5], 0x8
	s_waitcnt lgkmcnt(0)
	s_load_dword s9, s[14:15], 0x0
	s_load_dwordx2 s[10:11], s[4:5], 0x0
	s_load_dword s20, s[0:1], 0x0
	s_waitcnt lgkmcnt(0)
	v_cmp_neq_f32_e64 s0, s9, 1.0
	s_and_b32 vcc_lo, exec_lo, s0
	s_cbranch_vccnz .LBB13_2
; %bb.1:
	v_cmp_neq_f32_e64 s0, s20, 0
	s_cmp_lg_u32 s11, 0
	s_cselect_b32 s1, -1, 0
	s_and_b32 s0, s1, s0
.LBB13_2:
	s_andn2_b32 vcc_lo, exec_lo, s0
	s_cbranch_vccnz .LBB13_26
; %bb.3:
	s_load_dwordx2 s[14:15], s[4:5], 0x48
	s_lshl_b32 s6, s6, 5
	s_lshl_b32 s7, s7, 5
	v_cmp_eq_f32_e64 s0, s20, 0
	s_cmp_lt_i32 s11, 1
	v_mov_b32_e32 v13, 0
	s_cselect_b32 s1, -1, 0
	v_mov_b32_e32 v8, 0
	v_mov_b32_e32 v7, 0
	;; [unrolled: 1-line block ×3, first 2 shown]
	s_or_b32 s0, s0, s1
	s_mov_b32 s21, 0
	s_and_b32 vcc_lo, exec_lo, s0
	s_cbranch_vccnz .LBB13_10
; %bb.4:
	s_load_dword s0, s[4:5], 0x18
	v_lshl_add_u32 v2, v1, 4, v0
	s_clause 0x1
	s_load_dwordx4 s[16:19], s[4:5], 0x20
	s_load_dword s22, s[4:5], 0x30
	v_and_b32_e32 v9, 7, v0
	v_lshlrev_b32_e32 v10, 2, v0
	v_lshl_add_u32 v11, v1, 5, 0x400
	v_and_b32_e32 v3, 31, v2
	v_lshrrev_b32_e32 v4, 3, v2
	v_lshlrev_b32_e32 v5, 2, v9
	v_lshrrev_b32_e32 v12, 5, v2
	v_add_nc_u32_e32 v7, s6, v3
	v_add_nc_u32_e32 v2, s7, v4
	v_lshl_or_b32 v8, v4, 5, v5
	v_or_b32_e32 v6, s6, v3
	v_lshlrev_b32_e32 v3, 2, v3
	v_lshlrev_b32_e32 v16, 2, v12
	v_add_nc_u32_e32 v15, 0x400, v8
	v_cmp_gt_i32_e32 vcc_lo, s10, v6
	s_waitcnt lgkmcnt(0)
	v_mad_i64_i32 v[4:5], null, s0, v7, 0
	s_mul_i32 s1, s17, s8
	s_mul_hi_u32 s17, s16, s8
	v_mad_i64_i32 v[6:7], null, s22, v9, 0
	s_mul_i32 s16, s16, s8
	s_add_i32 s17, s17, s1
	v_lshlrev_b64 v[4:5], 2, v[4:5]
	s_lshl_b64 s[16:17], s[16:17], 2
	v_lshl_or_b32 v14, v12, 7, v3
	v_ashrrev_i32_e32 v3, 31, v2
	v_cmp_gt_i32_e64 s0, s10, v2
	s_ashr_i32 s23, s22, 31
	v_add_co_u32 v8, s1, v4, s16
	v_add_co_ci_u32_e64 v13, null, s17, v5, s1
	s_mul_i32 s1, s13, s8
	s_mul_hi_u32 s13, s12, s8
	v_lshlrev_b64 v[4:5], 2, v[6:7]
	s_add_i32 s13, s13, s1
	s_mul_i32 s12, s12, s8
	v_lshlrev_b64 v[2:3], 2, v[2:3]
	s_lshl_b64 s[12:13], s[12:13], 2
	v_mov_b32_e32 v6, 0
	v_add_co_u32 v4, s1, s12, v4
	v_add_co_ci_u32_e64 v5, null, s13, v5, s1
	v_add_co_u32 v7, s1, v8, v16
	v_add_co_ci_u32_e64 v8, null, 0, v13, s1
	;; [unrolled: 2-line block ×5, first 2 shown]
	v_mov_b32_e32 v7, 0
	v_mov_b32_e32 v8, 0
	;; [unrolled: 1-line block ×3, first 2 shown]
	s_lshl_b64 s[2:3], s[22:23], 5
	s_branch .LBB13_6
.LBB13_5:                               ;   in Loop: Header=BB13_6 Depth=1
	s_or_b32 exec_lo, exec_lo, s1
	s_waitcnt vmcnt(0)
	ds_write_b32 v15, v17
	s_waitcnt lgkmcnt(0)
	s_barrier
	buffer_gl0_inv
	ds_read_b128 v[16:19], v11
	ds_read2_b32 v[32:33], v10 offset1:16
	ds_read_b128 v[20:23], v11 offset:512
	ds_read2_b32 v[34:35], v10 offset0:32 offset1:48
	ds_read2_b32 v[36:37], v10 offset0:64 offset1:80
	;; [unrolled: 1-line block ×3, first 2 shown]
	ds_read_b128 v[24:27], v11 offset:16
	ds_read2_b32 v[40:41], v10 offset0:128 offset1:144
	ds_read_b128 v[28:31], v11 offset:528
	v_add_co_u32 v2, s1, v2, 32
	v_add_co_ci_u32_e64 v3, null, 0, v3, s1
	v_add_co_u32 v4, s1, v4, s2
	v_add_co_ci_u32_e64 v5, null, s3, v5, s1
	s_add_i32 s21, s21, 8
	s_cmp_lt_i32 s21, s11
	s_waitcnt lgkmcnt(7)
	v_fmac_f32_e32 v13, v32, v16
	v_fmac_f32_e32 v8, v33, v16
	s_waitcnt lgkmcnt(6)
	v_fmac_f32_e32 v7, v32, v20
	v_fmac_f32_e32 v6, v33, v20
	ds_read2_b32 v[32:33], v10 offset0:160 offset1:176
	s_waitcnt lgkmcnt(6)
	v_fmac_f32_e32 v13, v34, v17
	v_fmac_f32_e32 v8, v35, v17
	v_fmac_f32_e32 v7, v34, v21
	v_fmac_f32_e32 v6, v35, v21
	ds_read2_b32 v[16:17], v10 offset0:192 offset1:208
	s_waitcnt lgkmcnt(6)
	v_fmac_f32_e32 v13, v36, v18
	v_fmac_f32_e32 v8, v37, v18
	v_fmac_f32_e32 v7, v36, v22
	v_fmac_f32_e32 v6, v37, v22
	ds_read2_b32 v[20:21], v10 offset0:224 offset1:240
	s_waitcnt lgkmcnt(6)
	v_fmac_f32_e32 v13, v38, v19
	v_fmac_f32_e32 v8, v39, v19
	v_fmac_f32_e32 v7, v38, v23
	v_fmac_f32_e32 v6, v39, v23
	s_waitcnt lgkmcnt(0)
	v_fmac_f32_e32 v13, v40, v24
	v_fmac_f32_e32 v8, v41, v24
	;; [unrolled: 1-line block ×4, first 2 shown]
	s_barrier
	v_fmac_f32_e32 v13, v32, v25
	v_fmac_f32_e32 v8, v33, v25
	v_fmac_f32_e32 v7, v32, v29
	v_fmac_f32_e32 v6, v33, v29
	buffer_gl0_inv
	v_fmac_f32_e32 v13, v16, v26
	v_fmac_f32_e32 v8, v17, v26
	v_fmac_f32_e32 v7, v16, v30
	v_fmac_f32_e32 v6, v17, v30
	v_fmac_f32_e32 v13, v20, v27
	v_fmac_f32_e32 v8, v21, v27
	v_fmac_f32_e32 v7, v20, v31
	v_fmac_f32_e32 v6, v21, v31
	s_cbranch_scc0 .LBB13_10
.LBB13_6:                               ; =>This Inner Loop Header: Depth=1
	v_add_nc_u32_e32 v16, s21, v12
	v_cmp_gt_i32_e64 s1, s11, v16
	v_mov_b32_e32 v16, 0
	s_and_b32 s12, vcc_lo, s1
	s_and_saveexec_b32 s1, s12
	s_cbranch_execz .LBB13_8
; %bb.7:                                ;   in Loop: Header=BB13_6 Depth=1
	global_load_dword v16, v[2:3], off
.LBB13_8:                               ;   in Loop: Header=BB13_6 Depth=1
	s_or_b32 exec_lo, exec_lo, s1
	v_add_nc_u32_e32 v17, s21, v9
	s_waitcnt vmcnt(0)
	ds_write_b32 v14, v16
	v_cmp_gt_i32_e64 s1, s11, v17
	v_mov_b32_e32 v17, 0
	s_and_b32 s12, s1, s0
	s_and_saveexec_b32 s1, s12
	s_cbranch_execz .LBB13_5
; %bb.9:                                ;   in Loop: Header=BB13_6 Depth=1
	global_load_dword v17, v[4:5], off
	s_branch .LBB13_5
.LBB13_10:
	s_clause 0x1
	s_load_dword s3, s[4:5], 0x50
	s_load_dwordx2 s[4:5], s[4:5], 0x58
	v_add_nc_u32_e32 v10, s7, v1
	v_add_nc_u32_e32 v0, s6, v0
	v_cmp_le_i32_e32 vcc_lo, v10, v0
	v_cmp_gt_i32_e64 s0, s10, v0
	s_waitcnt lgkmcnt(0)
	v_mad_i64_i32 v[1:2], null, v10, s3, 0
	s_mul_i32 s1, s5, s8
	s_mul_hi_u32 s2, s4, s8
	s_mul_i32 s4, s4, s8
	s_add_i32 s5, s2, s1
	v_cmp_neq_f32_e64 s2, s9, 0
	s_lshl_b64 s[4:5], s[4:5], 2
	v_lshlrev_b64 v[2:3], 2, v[1:2]
	s_add_u32 s4, s14, s4
	s_addc_u32 s5, s15, s5
	v_ashrrev_i32_e32 v1, 31, v0
	v_cndmask_b32_e64 v9, 0, 1, s2
	s_and_b32 s6, vcc_lo, s0
	v_add_co_u32 v4, s1, s4, v2
	v_add_co_ci_u32_e64 v5, null, s5, v3, s1
	s_and_saveexec_b32 s1, s6
	s_cbranch_execz .LBB13_14
; %bb.11:
	v_lshlrev_b64 v[2:3], 2, v[0:1]
	v_mul_f32_e32 v11, s20, v13
	v_add_co_u32 v2, vcc_lo, v4, v2
	v_add_co_ci_u32_e64 v3, null, v5, v3, vcc_lo
	s_andn2_b32 vcc_lo, exec_lo, s2
	s_cbranch_vccnz .LBB13_13
; %bb.12:
	global_load_dword v12, v[2:3], off
	s_waitcnt vmcnt(0)
	v_fmac_f32_e32 v11, s9, v12
.LBB13_13:
	global_store_dword v[2:3], v11, off
.LBB13_14:
	s_or_b32 exec_lo, exec_lo, s1
	v_add_nc_u32_e32 v2, 16, v0
	v_cmp_le_i32_e32 vcc_lo, v10, v2
	v_cmp_gt_i32_e64 s1, s10, v2
	v_ashrrev_i32_e32 v3, 31, v2
	s_and_b32 s2, vcc_lo, s1
	s_and_saveexec_b32 s6, s2
	s_cbranch_execz .LBB13_18
; %bb.15:
	v_lshlrev_b64 v[11:12], 2, v[2:3]
	v_cmp_ne_u32_e32 vcc_lo, 1, v9
	v_mul_f32_e32 v8, s20, v8
	v_add_co_u32 v4, s2, v4, v11
	v_add_co_ci_u32_e64 v5, null, v5, v12, s2
	s_cbranch_vccnz .LBB13_17
; %bb.16:
	global_load_dword v11, v[4:5], off
	s_waitcnt vmcnt(0)
	v_fmac_f32_e32 v8, s9, v11
.LBB13_17:
	global_store_dword v[4:5], v8, off
.LBB13_18:
	s_or_b32 exec_lo, exec_lo, s6
	v_add_nc_u32_e32 v8, 16, v10
	v_mad_i64_i32 v[4:5], null, v8, s3, 0
	v_cmp_le_i32_e32 vcc_lo, v8, v0
	s_and_b32 s0, vcc_lo, s0
	v_lshlrev_b64 v[4:5], 2, v[4:5]
	v_add_co_u32 v4, s2, s4, v4
	v_add_co_ci_u32_e64 v5, null, s5, v5, s2
	s_and_saveexec_b32 s2, s0
	s_cbranch_execz .LBB13_22
; %bb.19:
	v_lshlrev_b64 v[0:1], 2, v[0:1]
	v_cmp_ne_u32_e32 vcc_lo, 1, v9
	v_mul_f32_e32 v7, s20, v7
	v_add_co_u32 v0, s0, v4, v0
	v_add_co_ci_u32_e64 v1, null, v5, v1, s0
	s_cbranch_vccnz .LBB13_21
; %bb.20:
	global_load_dword v10, v[0:1], off
	s_waitcnt vmcnt(0)
	v_fmac_f32_e32 v7, s9, v10
.LBB13_21:
	global_store_dword v[0:1], v7, off
.LBB13_22:
	s_or_b32 exec_lo, exec_lo, s2
	v_cmp_le_i32_e32 vcc_lo, v8, v2
	s_and_b32 s0, vcc_lo, s1
	s_and_saveexec_b32 s1, s0
	s_cbranch_execz .LBB13_26
; %bb.23:
	v_lshlrev_b64 v[0:1], 2, v[2:3]
	v_cmp_ne_u32_e32 vcc_lo, 1, v9
	v_mul_f32_e32 v2, s20, v6
	v_add_co_u32 v0, s0, v4, v0
	v_add_co_ci_u32_e64 v1, null, v5, v1, s0
	s_cbranch_vccnz .LBB13_25
; %bb.24:
	global_load_dword v3, v[0:1], off
	s_waitcnt vmcnt(0)
	v_fmac_f32_e32 v2, s9, v3
.LBB13_25:
	global_store_dword v[0:1], v2, off
.LBB13_26:
	s_endpgm
	.section	.rodata,"a",@progbits
	.p2align	6, 0x0
	.amdhsa_kernel _ZL29rocblas_internal_gemmt_kernelIiLi16ELi32ELi8ELc84ELc84ELc76ELb0ELb0EfPKfS1_PfEviT_T9_T10_S3_lS5_S3_lS4_T11_S3_li
		.amdhsa_group_segment_fixed_size 2048
		.amdhsa_private_segment_fixed_size 0
		.amdhsa_kernarg_size 100
		.amdhsa_user_sgpr_count 6
		.amdhsa_user_sgpr_private_segment_buffer 1
		.amdhsa_user_sgpr_dispatch_ptr 0
		.amdhsa_user_sgpr_queue_ptr 0
		.amdhsa_user_sgpr_kernarg_segment_ptr 1
		.amdhsa_user_sgpr_dispatch_id 0
		.amdhsa_user_sgpr_flat_scratch_init 0
		.amdhsa_user_sgpr_private_segment_size 0
		.amdhsa_wavefront_size32 1
		.amdhsa_uses_dynamic_stack 0
		.amdhsa_system_sgpr_private_segment_wavefront_offset 0
		.amdhsa_system_sgpr_workgroup_id_x 1
		.amdhsa_system_sgpr_workgroup_id_y 1
		.amdhsa_system_sgpr_workgroup_id_z 1
		.amdhsa_system_sgpr_workgroup_info 0
		.amdhsa_system_vgpr_workitem_id 1
		.amdhsa_next_free_vgpr 42
		.amdhsa_next_free_sgpr 24
		.amdhsa_reserve_vcc 1
		.amdhsa_reserve_flat_scratch 0
		.amdhsa_float_round_mode_32 0
		.amdhsa_float_round_mode_16_64 0
		.amdhsa_float_denorm_mode_32 3
		.amdhsa_float_denorm_mode_16_64 3
		.amdhsa_dx10_clamp 1
		.amdhsa_ieee_mode 1
		.amdhsa_fp16_overflow 0
		.amdhsa_workgroup_processor_mode 1
		.amdhsa_memory_ordered 1
		.amdhsa_forward_progress 1
		.amdhsa_shared_vgpr_count 0
		.amdhsa_exception_fp_ieee_invalid_op 0
		.amdhsa_exception_fp_denorm_src 0
		.amdhsa_exception_fp_ieee_div_zero 0
		.amdhsa_exception_fp_ieee_overflow 0
		.amdhsa_exception_fp_ieee_underflow 0
		.amdhsa_exception_fp_ieee_inexact 0
		.amdhsa_exception_int_div_zero 0
	.end_amdhsa_kernel
	.section	.text._ZL29rocblas_internal_gemmt_kernelIiLi16ELi32ELi8ELc84ELc84ELc76ELb0ELb0EfPKfS1_PfEviT_T9_T10_S3_lS5_S3_lS4_T11_S3_li,"axG",@progbits,_ZL29rocblas_internal_gemmt_kernelIiLi16ELi32ELi8ELc84ELc84ELc76ELb0ELb0EfPKfS1_PfEviT_T9_T10_S3_lS5_S3_lS4_T11_S3_li,comdat
.Lfunc_end13:
	.size	_ZL29rocblas_internal_gemmt_kernelIiLi16ELi32ELi8ELc84ELc84ELc76ELb0ELb0EfPKfS1_PfEviT_T9_T10_S3_lS5_S3_lS4_T11_S3_li, .Lfunc_end13-_ZL29rocblas_internal_gemmt_kernelIiLi16ELi32ELi8ELc84ELc84ELc76ELb0ELb0EfPKfS1_PfEviT_T9_T10_S3_lS5_S3_lS4_T11_S3_li
                                        ; -- End function
	.set _ZL29rocblas_internal_gemmt_kernelIiLi16ELi32ELi8ELc84ELc84ELc76ELb0ELb0EfPKfS1_PfEviT_T9_T10_S3_lS5_S3_lS4_T11_S3_li.num_vgpr, 42
	.set _ZL29rocblas_internal_gemmt_kernelIiLi16ELi32ELi8ELc84ELc84ELc76ELb0ELb0EfPKfS1_PfEviT_T9_T10_S3_lS5_S3_lS4_T11_S3_li.num_agpr, 0
	.set _ZL29rocblas_internal_gemmt_kernelIiLi16ELi32ELi8ELc84ELc84ELc76ELb0ELb0EfPKfS1_PfEviT_T9_T10_S3_lS5_S3_lS4_T11_S3_li.numbered_sgpr, 24
	.set _ZL29rocblas_internal_gemmt_kernelIiLi16ELi32ELi8ELc84ELc84ELc76ELb0ELb0EfPKfS1_PfEviT_T9_T10_S3_lS5_S3_lS4_T11_S3_li.num_named_barrier, 0
	.set _ZL29rocblas_internal_gemmt_kernelIiLi16ELi32ELi8ELc84ELc84ELc76ELb0ELb0EfPKfS1_PfEviT_T9_T10_S3_lS5_S3_lS4_T11_S3_li.private_seg_size, 0
	.set _ZL29rocblas_internal_gemmt_kernelIiLi16ELi32ELi8ELc84ELc84ELc76ELb0ELb0EfPKfS1_PfEviT_T9_T10_S3_lS5_S3_lS4_T11_S3_li.uses_vcc, 1
	.set _ZL29rocblas_internal_gemmt_kernelIiLi16ELi32ELi8ELc84ELc84ELc76ELb0ELb0EfPKfS1_PfEviT_T9_T10_S3_lS5_S3_lS4_T11_S3_li.uses_flat_scratch, 0
	.set _ZL29rocblas_internal_gemmt_kernelIiLi16ELi32ELi8ELc84ELc84ELc76ELb0ELb0EfPKfS1_PfEviT_T9_T10_S3_lS5_S3_lS4_T11_S3_li.has_dyn_sized_stack, 0
	.set _ZL29rocblas_internal_gemmt_kernelIiLi16ELi32ELi8ELc84ELc84ELc76ELb0ELb0EfPKfS1_PfEviT_T9_T10_S3_lS5_S3_lS4_T11_S3_li.has_recursion, 0
	.set _ZL29rocblas_internal_gemmt_kernelIiLi16ELi32ELi8ELc84ELc84ELc76ELb0ELb0EfPKfS1_PfEviT_T9_T10_S3_lS5_S3_lS4_T11_S3_li.has_indirect_call, 0
	.section	.AMDGPU.csdata,"",@progbits
; Kernel info:
; codeLenInByte = 1420
; TotalNumSgprs: 26
; NumVgprs: 42
; ScratchSize: 0
; MemoryBound: 0
; FloatMode: 240
; IeeeMode: 1
; LDSByteSize: 2048 bytes/workgroup (compile time only)
; SGPRBlocks: 0
; VGPRBlocks: 5
; NumSGPRsForWavesPerEU: 26
; NumVGPRsForWavesPerEU: 42
; Occupancy: 16
; WaveLimiterHint : 0
; COMPUTE_PGM_RSRC2:SCRATCH_EN: 0
; COMPUTE_PGM_RSRC2:USER_SGPR: 6
; COMPUTE_PGM_RSRC2:TRAP_HANDLER: 0
; COMPUTE_PGM_RSRC2:TGID_X_EN: 1
; COMPUTE_PGM_RSRC2:TGID_Y_EN: 1
; COMPUTE_PGM_RSRC2:TGID_Z_EN: 1
; COMPUTE_PGM_RSRC2:TIDIG_COMP_CNT: 1
	.section	.text._ZL29rocblas_internal_gemmt_kernelIiLi16ELi32ELi8ELc84ELc67ELc76ELb0ELb0EfPKfS1_PfEviT_T9_T10_S3_lS5_S3_lS4_T11_S3_li,"axG",@progbits,_ZL29rocblas_internal_gemmt_kernelIiLi16ELi32ELi8ELc84ELc67ELc76ELb0ELb0EfPKfS1_PfEviT_T9_T10_S3_lS5_S3_lS4_T11_S3_li,comdat
	.globl	_ZL29rocblas_internal_gemmt_kernelIiLi16ELi32ELi8ELc84ELc67ELc76ELb0ELb0EfPKfS1_PfEviT_T9_T10_S3_lS5_S3_lS4_T11_S3_li ; -- Begin function _ZL29rocblas_internal_gemmt_kernelIiLi16ELi32ELi8ELc84ELc67ELc76ELb0ELb0EfPKfS1_PfEviT_T9_T10_S3_lS5_S3_lS4_T11_S3_li
	.p2align	8
	.type	_ZL29rocblas_internal_gemmt_kernelIiLi16ELi32ELi8ELc84ELc67ELc76ELb0ELb0EfPKfS1_PfEviT_T9_T10_S3_lS5_S3_lS4_T11_S3_li,@function
_ZL29rocblas_internal_gemmt_kernelIiLi16ELi32ELi8ELc84ELc67ELc76ELb0ELb0EfPKfS1_PfEviT_T9_T10_S3_lS5_S3_lS4_T11_S3_li: ; @_ZL29rocblas_internal_gemmt_kernelIiLi16ELi32ELi8ELc84ELc67ELc76ELb0ELb0EfPKfS1_PfEviT_T9_T10_S3_lS5_S3_lS4_T11_S3_li
; %bb.0:
	s_clause 0x1
	s_load_dwordx4 s[12:15], s[4:5], 0x38
	s_load_dwordx4 s[0:3], s[4:5], 0x8
	s_waitcnt lgkmcnt(0)
	s_load_dword s9, s[14:15], 0x0
	s_load_dwordx2 s[10:11], s[4:5], 0x0
	s_load_dword s20, s[0:1], 0x0
	s_waitcnt lgkmcnt(0)
	v_cmp_neq_f32_e64 s0, s9, 1.0
	s_and_b32 vcc_lo, exec_lo, s0
	s_cbranch_vccnz .LBB14_2
; %bb.1:
	v_cmp_neq_f32_e64 s0, s20, 0
	s_cmp_lg_u32 s11, 0
	s_cselect_b32 s1, -1, 0
	s_and_b32 s0, s1, s0
.LBB14_2:
	s_andn2_b32 vcc_lo, exec_lo, s0
	s_cbranch_vccnz .LBB14_26
; %bb.3:
	s_load_dwordx2 s[14:15], s[4:5], 0x48
	s_lshl_b32 s6, s6, 5
	s_lshl_b32 s7, s7, 5
	v_cmp_eq_f32_e64 s0, s20, 0
	s_cmp_lt_i32 s11, 1
	v_mov_b32_e32 v13, 0
	s_cselect_b32 s1, -1, 0
	v_mov_b32_e32 v8, 0
	v_mov_b32_e32 v7, 0
	v_mov_b32_e32 v6, 0
	s_or_b32 s0, s0, s1
	s_mov_b32 s21, 0
	s_and_b32 vcc_lo, exec_lo, s0
	s_cbranch_vccnz .LBB14_10
; %bb.4:
	s_load_dword s0, s[4:5], 0x18
	v_lshl_add_u32 v2, v1, 4, v0
	s_clause 0x1
	s_load_dwordx4 s[16:19], s[4:5], 0x20
	s_load_dword s22, s[4:5], 0x30
	v_and_b32_e32 v9, 7, v0
	v_lshlrev_b32_e32 v10, 2, v0
	v_lshl_add_u32 v11, v1, 5, 0x400
	v_and_b32_e32 v3, 31, v2
	v_lshrrev_b32_e32 v4, 3, v2
	v_lshlrev_b32_e32 v5, 2, v9
	v_lshrrev_b32_e32 v12, 5, v2
	v_add_nc_u32_e32 v7, s6, v3
	v_add_nc_u32_e32 v2, s7, v4
	v_lshl_or_b32 v8, v4, 5, v5
	v_or_b32_e32 v6, s6, v3
	v_lshlrev_b32_e32 v3, 2, v3
	v_lshlrev_b32_e32 v16, 2, v12
	v_add_nc_u32_e32 v15, 0x400, v8
	v_cmp_gt_i32_e32 vcc_lo, s10, v6
	s_waitcnt lgkmcnt(0)
	v_mad_i64_i32 v[4:5], null, s0, v7, 0
	s_mul_i32 s1, s17, s8
	s_mul_hi_u32 s17, s16, s8
	v_mad_i64_i32 v[6:7], null, s22, v9, 0
	s_mul_i32 s16, s16, s8
	s_add_i32 s17, s17, s1
	v_lshlrev_b64 v[4:5], 2, v[4:5]
	s_lshl_b64 s[16:17], s[16:17], 2
	v_lshl_or_b32 v14, v12, 7, v3
	v_ashrrev_i32_e32 v3, 31, v2
	v_cmp_gt_i32_e64 s0, s10, v2
	s_ashr_i32 s23, s22, 31
	v_add_co_u32 v8, s1, v4, s16
	v_add_co_ci_u32_e64 v13, null, s17, v5, s1
	s_mul_i32 s1, s13, s8
	s_mul_hi_u32 s13, s12, s8
	v_lshlrev_b64 v[4:5], 2, v[6:7]
	s_add_i32 s13, s13, s1
	s_mul_i32 s12, s12, s8
	v_lshlrev_b64 v[2:3], 2, v[2:3]
	s_lshl_b64 s[12:13], s[12:13], 2
	v_mov_b32_e32 v6, 0
	v_add_co_u32 v4, s1, s12, v4
	v_add_co_ci_u32_e64 v5, null, s13, v5, s1
	v_add_co_u32 v7, s1, v8, v16
	v_add_co_ci_u32_e64 v8, null, 0, v13, s1
	;; [unrolled: 2-line block ×5, first 2 shown]
	v_mov_b32_e32 v7, 0
	v_mov_b32_e32 v8, 0
	;; [unrolled: 1-line block ×3, first 2 shown]
	s_lshl_b64 s[2:3], s[22:23], 5
	s_branch .LBB14_6
.LBB14_5:                               ;   in Loop: Header=BB14_6 Depth=1
	s_or_b32 exec_lo, exec_lo, s1
	s_waitcnt vmcnt(0)
	ds_write_b32 v15, v17
	s_waitcnt lgkmcnt(0)
	s_barrier
	buffer_gl0_inv
	ds_read_b128 v[16:19], v11
	ds_read2_b32 v[32:33], v10 offset1:16
	ds_read_b128 v[20:23], v11 offset:512
	ds_read2_b32 v[34:35], v10 offset0:32 offset1:48
	ds_read2_b32 v[36:37], v10 offset0:64 offset1:80
	;; [unrolled: 1-line block ×3, first 2 shown]
	ds_read_b128 v[24:27], v11 offset:16
	ds_read2_b32 v[40:41], v10 offset0:128 offset1:144
	ds_read_b128 v[28:31], v11 offset:528
	v_add_co_u32 v2, s1, v2, 32
	v_add_co_ci_u32_e64 v3, null, 0, v3, s1
	v_add_co_u32 v4, s1, v4, s2
	v_add_co_ci_u32_e64 v5, null, s3, v5, s1
	s_add_i32 s21, s21, 8
	s_cmp_lt_i32 s21, s11
	s_waitcnt lgkmcnt(7)
	v_fmac_f32_e32 v13, v32, v16
	v_fmac_f32_e32 v8, v33, v16
	s_waitcnt lgkmcnt(6)
	v_fmac_f32_e32 v7, v32, v20
	v_fmac_f32_e32 v6, v33, v20
	ds_read2_b32 v[32:33], v10 offset0:160 offset1:176
	s_waitcnt lgkmcnt(6)
	v_fmac_f32_e32 v13, v34, v17
	v_fmac_f32_e32 v8, v35, v17
	v_fmac_f32_e32 v7, v34, v21
	v_fmac_f32_e32 v6, v35, v21
	ds_read2_b32 v[16:17], v10 offset0:192 offset1:208
	s_waitcnt lgkmcnt(6)
	v_fmac_f32_e32 v13, v36, v18
	v_fmac_f32_e32 v8, v37, v18
	;; [unrolled: 6-line block ×3, first 2 shown]
	v_fmac_f32_e32 v7, v38, v23
	v_fmac_f32_e32 v6, v39, v23
	s_waitcnt lgkmcnt(0)
	v_fmac_f32_e32 v13, v40, v24
	v_fmac_f32_e32 v8, v41, v24
	;; [unrolled: 1-line block ×4, first 2 shown]
	s_barrier
	v_fmac_f32_e32 v13, v32, v25
	v_fmac_f32_e32 v8, v33, v25
	;; [unrolled: 1-line block ×4, first 2 shown]
	buffer_gl0_inv
	v_fmac_f32_e32 v13, v16, v26
	v_fmac_f32_e32 v8, v17, v26
	;; [unrolled: 1-line block ×8, first 2 shown]
	s_cbranch_scc0 .LBB14_10
.LBB14_6:                               ; =>This Inner Loop Header: Depth=1
	v_add_nc_u32_e32 v16, s21, v12
	v_cmp_gt_i32_e64 s1, s11, v16
	v_mov_b32_e32 v16, 0
	s_and_b32 s12, vcc_lo, s1
	s_and_saveexec_b32 s1, s12
	s_cbranch_execz .LBB14_8
; %bb.7:                                ;   in Loop: Header=BB14_6 Depth=1
	global_load_dword v16, v[2:3], off
.LBB14_8:                               ;   in Loop: Header=BB14_6 Depth=1
	s_or_b32 exec_lo, exec_lo, s1
	v_add_nc_u32_e32 v17, s21, v9
	s_waitcnt vmcnt(0)
	ds_write_b32 v14, v16
	v_cmp_gt_i32_e64 s1, s11, v17
	v_mov_b32_e32 v17, 0
	s_and_b32 s12, s1, s0
	s_and_saveexec_b32 s1, s12
	s_cbranch_execz .LBB14_5
; %bb.9:                                ;   in Loop: Header=BB14_6 Depth=1
	global_load_dword v17, v[4:5], off
	s_branch .LBB14_5
.LBB14_10:
	s_clause 0x1
	s_load_dword s3, s[4:5], 0x50
	s_load_dwordx2 s[4:5], s[4:5], 0x58
	v_add_nc_u32_e32 v10, s7, v1
	v_add_nc_u32_e32 v0, s6, v0
	v_cmp_le_i32_e32 vcc_lo, v10, v0
	v_cmp_gt_i32_e64 s0, s10, v0
	s_waitcnt lgkmcnt(0)
	v_mad_i64_i32 v[1:2], null, v10, s3, 0
	s_mul_i32 s1, s5, s8
	s_mul_hi_u32 s2, s4, s8
	s_mul_i32 s4, s4, s8
	s_add_i32 s5, s2, s1
	v_cmp_neq_f32_e64 s2, s9, 0
	s_lshl_b64 s[4:5], s[4:5], 2
	v_lshlrev_b64 v[2:3], 2, v[1:2]
	s_add_u32 s4, s14, s4
	s_addc_u32 s5, s15, s5
	v_ashrrev_i32_e32 v1, 31, v0
	v_cndmask_b32_e64 v9, 0, 1, s2
	s_and_b32 s6, vcc_lo, s0
	v_add_co_u32 v4, s1, s4, v2
	v_add_co_ci_u32_e64 v5, null, s5, v3, s1
	s_and_saveexec_b32 s1, s6
	s_cbranch_execz .LBB14_14
; %bb.11:
	v_lshlrev_b64 v[2:3], 2, v[0:1]
	v_mul_f32_e32 v11, s20, v13
	v_add_co_u32 v2, vcc_lo, v4, v2
	v_add_co_ci_u32_e64 v3, null, v5, v3, vcc_lo
	s_andn2_b32 vcc_lo, exec_lo, s2
	s_cbranch_vccnz .LBB14_13
; %bb.12:
	global_load_dword v12, v[2:3], off
	s_waitcnt vmcnt(0)
	v_fmac_f32_e32 v11, s9, v12
.LBB14_13:
	global_store_dword v[2:3], v11, off
.LBB14_14:
	s_or_b32 exec_lo, exec_lo, s1
	v_add_nc_u32_e32 v2, 16, v0
	v_cmp_le_i32_e32 vcc_lo, v10, v2
	v_cmp_gt_i32_e64 s1, s10, v2
	v_ashrrev_i32_e32 v3, 31, v2
	s_and_b32 s2, vcc_lo, s1
	s_and_saveexec_b32 s6, s2
	s_cbranch_execz .LBB14_18
; %bb.15:
	v_lshlrev_b64 v[11:12], 2, v[2:3]
	v_cmp_ne_u32_e32 vcc_lo, 1, v9
	v_mul_f32_e32 v8, s20, v8
	v_add_co_u32 v4, s2, v4, v11
	v_add_co_ci_u32_e64 v5, null, v5, v12, s2
	s_cbranch_vccnz .LBB14_17
; %bb.16:
	global_load_dword v11, v[4:5], off
	s_waitcnt vmcnt(0)
	v_fmac_f32_e32 v8, s9, v11
.LBB14_17:
	global_store_dword v[4:5], v8, off
.LBB14_18:
	s_or_b32 exec_lo, exec_lo, s6
	v_add_nc_u32_e32 v8, 16, v10
	v_mad_i64_i32 v[4:5], null, v8, s3, 0
	v_cmp_le_i32_e32 vcc_lo, v8, v0
	s_and_b32 s0, vcc_lo, s0
	v_lshlrev_b64 v[4:5], 2, v[4:5]
	v_add_co_u32 v4, s2, s4, v4
	v_add_co_ci_u32_e64 v5, null, s5, v5, s2
	s_and_saveexec_b32 s2, s0
	s_cbranch_execz .LBB14_22
; %bb.19:
	v_lshlrev_b64 v[0:1], 2, v[0:1]
	v_cmp_ne_u32_e32 vcc_lo, 1, v9
	v_mul_f32_e32 v7, s20, v7
	v_add_co_u32 v0, s0, v4, v0
	v_add_co_ci_u32_e64 v1, null, v5, v1, s0
	s_cbranch_vccnz .LBB14_21
; %bb.20:
	global_load_dword v10, v[0:1], off
	s_waitcnt vmcnt(0)
	v_fmac_f32_e32 v7, s9, v10
.LBB14_21:
	global_store_dword v[0:1], v7, off
.LBB14_22:
	s_or_b32 exec_lo, exec_lo, s2
	v_cmp_le_i32_e32 vcc_lo, v8, v2
	s_and_b32 s0, vcc_lo, s1
	s_and_saveexec_b32 s1, s0
	s_cbranch_execz .LBB14_26
; %bb.23:
	v_lshlrev_b64 v[0:1], 2, v[2:3]
	v_cmp_ne_u32_e32 vcc_lo, 1, v9
	v_mul_f32_e32 v2, s20, v6
	v_add_co_u32 v0, s0, v4, v0
	v_add_co_ci_u32_e64 v1, null, v5, v1, s0
	s_cbranch_vccnz .LBB14_25
; %bb.24:
	global_load_dword v3, v[0:1], off
	s_waitcnt vmcnt(0)
	v_fmac_f32_e32 v2, s9, v3
.LBB14_25:
	global_store_dword v[0:1], v2, off
.LBB14_26:
	s_endpgm
	.section	.rodata,"a",@progbits
	.p2align	6, 0x0
	.amdhsa_kernel _ZL29rocblas_internal_gemmt_kernelIiLi16ELi32ELi8ELc84ELc67ELc76ELb0ELb0EfPKfS1_PfEviT_T9_T10_S3_lS5_S3_lS4_T11_S3_li
		.amdhsa_group_segment_fixed_size 2048
		.amdhsa_private_segment_fixed_size 0
		.amdhsa_kernarg_size 100
		.amdhsa_user_sgpr_count 6
		.amdhsa_user_sgpr_private_segment_buffer 1
		.amdhsa_user_sgpr_dispatch_ptr 0
		.amdhsa_user_sgpr_queue_ptr 0
		.amdhsa_user_sgpr_kernarg_segment_ptr 1
		.amdhsa_user_sgpr_dispatch_id 0
		.amdhsa_user_sgpr_flat_scratch_init 0
		.amdhsa_user_sgpr_private_segment_size 0
		.amdhsa_wavefront_size32 1
		.amdhsa_uses_dynamic_stack 0
		.amdhsa_system_sgpr_private_segment_wavefront_offset 0
		.amdhsa_system_sgpr_workgroup_id_x 1
		.amdhsa_system_sgpr_workgroup_id_y 1
		.amdhsa_system_sgpr_workgroup_id_z 1
		.amdhsa_system_sgpr_workgroup_info 0
		.amdhsa_system_vgpr_workitem_id 1
		.amdhsa_next_free_vgpr 42
		.amdhsa_next_free_sgpr 24
		.amdhsa_reserve_vcc 1
		.amdhsa_reserve_flat_scratch 0
		.amdhsa_float_round_mode_32 0
		.amdhsa_float_round_mode_16_64 0
		.amdhsa_float_denorm_mode_32 3
		.amdhsa_float_denorm_mode_16_64 3
		.amdhsa_dx10_clamp 1
		.amdhsa_ieee_mode 1
		.amdhsa_fp16_overflow 0
		.amdhsa_workgroup_processor_mode 1
		.amdhsa_memory_ordered 1
		.amdhsa_forward_progress 1
		.amdhsa_shared_vgpr_count 0
		.amdhsa_exception_fp_ieee_invalid_op 0
		.amdhsa_exception_fp_denorm_src 0
		.amdhsa_exception_fp_ieee_div_zero 0
		.amdhsa_exception_fp_ieee_overflow 0
		.amdhsa_exception_fp_ieee_underflow 0
		.amdhsa_exception_fp_ieee_inexact 0
		.amdhsa_exception_int_div_zero 0
	.end_amdhsa_kernel
	.section	.text._ZL29rocblas_internal_gemmt_kernelIiLi16ELi32ELi8ELc84ELc67ELc76ELb0ELb0EfPKfS1_PfEviT_T9_T10_S3_lS5_S3_lS4_T11_S3_li,"axG",@progbits,_ZL29rocblas_internal_gemmt_kernelIiLi16ELi32ELi8ELc84ELc67ELc76ELb0ELb0EfPKfS1_PfEviT_T9_T10_S3_lS5_S3_lS4_T11_S3_li,comdat
.Lfunc_end14:
	.size	_ZL29rocblas_internal_gemmt_kernelIiLi16ELi32ELi8ELc84ELc67ELc76ELb0ELb0EfPKfS1_PfEviT_T9_T10_S3_lS5_S3_lS4_T11_S3_li, .Lfunc_end14-_ZL29rocblas_internal_gemmt_kernelIiLi16ELi32ELi8ELc84ELc67ELc76ELb0ELb0EfPKfS1_PfEviT_T9_T10_S3_lS5_S3_lS4_T11_S3_li
                                        ; -- End function
	.set _ZL29rocblas_internal_gemmt_kernelIiLi16ELi32ELi8ELc84ELc67ELc76ELb0ELb0EfPKfS1_PfEviT_T9_T10_S3_lS5_S3_lS4_T11_S3_li.num_vgpr, 42
	.set _ZL29rocblas_internal_gemmt_kernelIiLi16ELi32ELi8ELc84ELc67ELc76ELb0ELb0EfPKfS1_PfEviT_T9_T10_S3_lS5_S3_lS4_T11_S3_li.num_agpr, 0
	.set _ZL29rocblas_internal_gemmt_kernelIiLi16ELi32ELi8ELc84ELc67ELc76ELb0ELb0EfPKfS1_PfEviT_T9_T10_S3_lS5_S3_lS4_T11_S3_li.numbered_sgpr, 24
	.set _ZL29rocblas_internal_gemmt_kernelIiLi16ELi32ELi8ELc84ELc67ELc76ELb0ELb0EfPKfS1_PfEviT_T9_T10_S3_lS5_S3_lS4_T11_S3_li.num_named_barrier, 0
	.set _ZL29rocblas_internal_gemmt_kernelIiLi16ELi32ELi8ELc84ELc67ELc76ELb0ELb0EfPKfS1_PfEviT_T9_T10_S3_lS5_S3_lS4_T11_S3_li.private_seg_size, 0
	.set _ZL29rocblas_internal_gemmt_kernelIiLi16ELi32ELi8ELc84ELc67ELc76ELb0ELb0EfPKfS1_PfEviT_T9_T10_S3_lS5_S3_lS4_T11_S3_li.uses_vcc, 1
	.set _ZL29rocblas_internal_gemmt_kernelIiLi16ELi32ELi8ELc84ELc67ELc76ELb0ELb0EfPKfS1_PfEviT_T9_T10_S3_lS5_S3_lS4_T11_S3_li.uses_flat_scratch, 0
	.set _ZL29rocblas_internal_gemmt_kernelIiLi16ELi32ELi8ELc84ELc67ELc76ELb0ELb0EfPKfS1_PfEviT_T9_T10_S3_lS5_S3_lS4_T11_S3_li.has_dyn_sized_stack, 0
	.set _ZL29rocblas_internal_gemmt_kernelIiLi16ELi32ELi8ELc84ELc67ELc76ELb0ELb0EfPKfS1_PfEviT_T9_T10_S3_lS5_S3_lS4_T11_S3_li.has_recursion, 0
	.set _ZL29rocblas_internal_gemmt_kernelIiLi16ELi32ELi8ELc84ELc67ELc76ELb0ELb0EfPKfS1_PfEviT_T9_T10_S3_lS5_S3_lS4_T11_S3_li.has_indirect_call, 0
	.section	.AMDGPU.csdata,"",@progbits
; Kernel info:
; codeLenInByte = 1420
; TotalNumSgprs: 26
; NumVgprs: 42
; ScratchSize: 0
; MemoryBound: 0
; FloatMode: 240
; IeeeMode: 1
; LDSByteSize: 2048 bytes/workgroup (compile time only)
; SGPRBlocks: 0
; VGPRBlocks: 5
; NumSGPRsForWavesPerEU: 26
; NumVGPRsForWavesPerEU: 42
; Occupancy: 16
; WaveLimiterHint : 0
; COMPUTE_PGM_RSRC2:SCRATCH_EN: 0
; COMPUTE_PGM_RSRC2:USER_SGPR: 6
; COMPUTE_PGM_RSRC2:TRAP_HANDLER: 0
; COMPUTE_PGM_RSRC2:TGID_X_EN: 1
; COMPUTE_PGM_RSRC2:TGID_Y_EN: 1
; COMPUTE_PGM_RSRC2:TGID_Z_EN: 1
; COMPUTE_PGM_RSRC2:TIDIG_COMP_CNT: 1
	.section	.text._ZL29rocblas_internal_gemmt_kernelIiLi16ELi32ELi8ELc67ELc78ELc76ELb0ELb0EfPKfS1_PfEviT_T9_T10_S3_lS5_S3_lS4_T11_S3_li,"axG",@progbits,_ZL29rocblas_internal_gemmt_kernelIiLi16ELi32ELi8ELc67ELc78ELc76ELb0ELb0EfPKfS1_PfEviT_T9_T10_S3_lS5_S3_lS4_T11_S3_li,comdat
	.globl	_ZL29rocblas_internal_gemmt_kernelIiLi16ELi32ELi8ELc67ELc78ELc76ELb0ELb0EfPKfS1_PfEviT_T9_T10_S3_lS5_S3_lS4_T11_S3_li ; -- Begin function _ZL29rocblas_internal_gemmt_kernelIiLi16ELi32ELi8ELc67ELc78ELc76ELb0ELb0EfPKfS1_PfEviT_T9_T10_S3_lS5_S3_lS4_T11_S3_li
	.p2align	8
	.type	_ZL29rocblas_internal_gemmt_kernelIiLi16ELi32ELi8ELc67ELc78ELc76ELb0ELb0EfPKfS1_PfEviT_T9_T10_S3_lS5_S3_lS4_T11_S3_li,@function
_ZL29rocblas_internal_gemmt_kernelIiLi16ELi32ELi8ELc67ELc78ELc76ELb0ELb0EfPKfS1_PfEviT_T9_T10_S3_lS5_S3_lS4_T11_S3_li: ; @_ZL29rocblas_internal_gemmt_kernelIiLi16ELi32ELi8ELc67ELc78ELc76ELb0ELb0EfPKfS1_PfEviT_T9_T10_S3_lS5_S3_lS4_T11_S3_li
; %bb.0:
	s_clause 0x1
	s_load_dwordx4 s[12:15], s[4:5], 0x38
	s_load_dwordx4 s[0:3], s[4:5], 0x8
	s_waitcnt lgkmcnt(0)
	s_load_dword s9, s[14:15], 0x0
	s_load_dwordx2 s[10:11], s[4:5], 0x0
	s_load_dword s20, s[0:1], 0x0
	s_waitcnt lgkmcnt(0)
	v_cmp_neq_f32_e64 s0, s9, 1.0
	s_and_b32 vcc_lo, exec_lo, s0
	s_cbranch_vccnz .LBB15_2
; %bb.1:
	v_cmp_neq_f32_e64 s0, s20, 0
	s_cmp_lg_u32 s11, 0
	s_cselect_b32 s1, -1, 0
	s_and_b32 s0, s1, s0
.LBB15_2:
	s_andn2_b32 vcc_lo, exec_lo, s0
	s_cbranch_vccnz .LBB15_26
; %bb.3:
	s_load_dwordx2 s[14:15], s[4:5], 0x48
	s_lshl_b32 s6, s6, 5
	s_lshl_b32 s7, s7, 5
	v_cmp_eq_f32_e64 s0, s20, 0
	s_cmp_lt_i32 s11, 1
	v_mov_b32_e32 v11, 0
	s_cselect_b32 s1, -1, 0
	v_mov_b32_e32 v8, 0
	v_mov_b32_e32 v7, 0
	;; [unrolled: 1-line block ×3, first 2 shown]
	s_or_b32 s0, s0, s1
	s_mov_b32 s21, 0
	s_and_b32 vcc_lo, exec_lo, s0
	s_cbranch_vccnz .LBB15_10
; %bb.4:
	s_load_dword s0, s[4:5], 0x18
	v_lshl_add_u32 v2, v1, 4, v0
	s_clause 0x1
	s_load_dwordx4 s[16:19], s[4:5], 0x20
	s_load_dword s1, s[4:5], 0x30
	v_and_b32_e32 v9, 7, v0
	v_lshlrev_b32_e32 v10, 2, v0
	v_lshl_add_u32 v12, v1, 5, 0x400
	v_and_b32_e32 v4, 31, v2
	v_lshrrev_b32_e32 v3, 3, v2
	v_lshrrev_b32_e32 v13, 5, v2
	v_lshlrev_b32_e32 v7, 2, v9
	v_add_nc_u32_e32 v2, s6, v4
	v_add_nc_u32_e32 v5, s7, v3
	v_or_b32_e32 v6, s6, v4
	v_lshl_or_b32 v8, v3, 5, v7
	v_lshlrev_b32_e32 v4, 2, v4
	v_lshlrev_b32_e32 v11, 2, v13
	v_cmp_gt_i32_e32 vcc_lo, s10, v6
	v_add_nc_u32_e32 v15, 0x400, v8
	s_waitcnt lgkmcnt(0)
	v_mad_i64_i32 v[2:3], null, s0, v2, 0
	v_lshl_or_b32 v14, v13, 7, v4
	v_cmp_gt_i32_e64 s0, s10, v5
	s_mul_i32 s17, s17, s8
	s_mul_hi_u32 s22, s16, s8
	v_mad_i64_i32 v[4:5], null, s1, v5, 0
	v_lshlrev_b64 v[2:3], 2, v[2:3]
	s_mul_i32 s16, s16, s8
	s_add_i32 s17, s22, s17
	v_mov_b32_e32 v6, 0
	s_lshl_b64 s[16:17], s[16:17], 2
	v_add_co_u32 v8, s1, v2, s16
	v_add_co_ci_u32_e64 v16, null, s17, v3, s1
	s_mul_i32 s1, s13, s8
	s_mul_hi_u32 s13, s12, s8
	v_lshlrev_b64 v[2:3], 2, v[4:5]
	s_add_i32 s13, s13, s1
	s_mul_i32 s12, s12, s8
	s_lshl_b64 s[12:13], s[12:13], 2
	v_add_co_u32 v2, s1, v2, s12
	v_add_co_ci_u32_e64 v3, null, s13, v3, s1
	v_add_co_u32 v4, s1, v8, v11
	v_add_co_ci_u32_e64 v5, null, 0, v16, s1
	;; [unrolled: 2-line block ×5, first 2 shown]
	v_mov_b32_e32 v7, 0
	v_mov_b32_e32 v8, 0
	v_mov_b32_e32 v11, 0
	s_branch .LBB15_6
.LBB15_5:                               ;   in Loop: Header=BB15_6 Depth=1
	s_or_b32 exec_lo, exec_lo, s1
	s_waitcnt vmcnt(0)
	ds_write_b32 v15, v17
	s_waitcnt lgkmcnt(0)
	s_barrier
	buffer_gl0_inv
	ds_read_b128 v[16:19], v12
	ds_read2_b32 v[32:33], v10 offset1:16
	ds_read_b128 v[20:23], v12 offset:512
	ds_read2_b32 v[34:35], v10 offset0:32 offset1:48
	ds_read2_b32 v[36:37], v10 offset0:64 offset1:80
	;; [unrolled: 1-line block ×3, first 2 shown]
	ds_read_b128 v[24:27], v12 offset:16
	ds_read2_b32 v[40:41], v10 offset0:128 offset1:144
	ds_read_b128 v[28:31], v12 offset:528
	v_add_co_u32 v2, s1, v2, 32
	v_add_co_ci_u32_e64 v3, null, 0, v3, s1
	v_add_co_u32 v4, s1, v4, 32
	v_add_co_ci_u32_e64 v5, null, 0, v5, s1
	s_add_i32 s21, s21, 8
	s_cmp_lt_i32 s21, s11
	s_waitcnt lgkmcnt(7)
	v_fmac_f32_e32 v11, v32, v16
	v_fmac_f32_e32 v8, v33, v16
	s_waitcnt lgkmcnt(6)
	v_fmac_f32_e32 v7, v32, v20
	v_fmac_f32_e32 v6, v33, v20
	ds_read2_b32 v[32:33], v10 offset0:160 offset1:176
	s_waitcnt lgkmcnt(6)
	v_fmac_f32_e32 v11, v34, v17
	v_fmac_f32_e32 v8, v35, v17
	v_fmac_f32_e32 v7, v34, v21
	v_fmac_f32_e32 v6, v35, v21
	ds_read2_b32 v[16:17], v10 offset0:192 offset1:208
	s_waitcnt lgkmcnt(6)
	v_fmac_f32_e32 v11, v36, v18
	v_fmac_f32_e32 v8, v37, v18
	;; [unrolled: 6-line block ×3, first 2 shown]
	v_fmac_f32_e32 v7, v38, v23
	v_fmac_f32_e32 v6, v39, v23
	s_waitcnt lgkmcnt(0)
	v_fmac_f32_e32 v11, v40, v24
	v_fmac_f32_e32 v8, v41, v24
	;; [unrolled: 1-line block ×4, first 2 shown]
	s_barrier
	v_fmac_f32_e32 v11, v32, v25
	v_fmac_f32_e32 v8, v33, v25
	;; [unrolled: 1-line block ×4, first 2 shown]
	buffer_gl0_inv
	v_fmac_f32_e32 v11, v16, v26
	v_fmac_f32_e32 v8, v17, v26
	;; [unrolled: 1-line block ×8, first 2 shown]
	s_cbranch_scc0 .LBB15_10
.LBB15_6:                               ; =>This Inner Loop Header: Depth=1
	v_add_nc_u32_e32 v16, s21, v13
	v_cmp_gt_i32_e64 s1, s11, v16
	v_mov_b32_e32 v16, 0
	s_and_b32 s2, vcc_lo, s1
	s_and_saveexec_b32 s1, s2
	s_cbranch_execz .LBB15_8
; %bb.7:                                ;   in Loop: Header=BB15_6 Depth=1
	global_load_dword v16, v[2:3], off
.LBB15_8:                               ;   in Loop: Header=BB15_6 Depth=1
	s_or_b32 exec_lo, exec_lo, s1
	v_add_nc_u32_e32 v17, s21, v9
	s_waitcnt vmcnt(0)
	ds_write_b32 v14, v16
	v_cmp_gt_i32_e64 s1, s11, v17
	v_mov_b32_e32 v17, 0
	s_and_b32 s2, s1, s0
	s_and_saveexec_b32 s1, s2
	s_cbranch_execz .LBB15_5
; %bb.9:                                ;   in Loop: Header=BB15_6 Depth=1
	global_load_dword v17, v[4:5], off
	s_branch .LBB15_5
.LBB15_10:
	s_clause 0x1
	s_load_dword s3, s[4:5], 0x50
	s_load_dwordx2 s[4:5], s[4:5], 0x58
	v_add_nc_u32_e32 v10, s7, v1
	v_add_nc_u32_e32 v0, s6, v0
	v_cmp_le_i32_e32 vcc_lo, v10, v0
	v_cmp_gt_i32_e64 s0, s10, v0
	s_waitcnt lgkmcnt(0)
	v_mad_i64_i32 v[1:2], null, v10, s3, 0
	s_mul_i32 s1, s5, s8
	s_mul_hi_u32 s2, s4, s8
	s_mul_i32 s4, s4, s8
	s_add_i32 s5, s2, s1
	v_cmp_neq_f32_e64 s2, s9, 0
	s_lshl_b64 s[4:5], s[4:5], 2
	v_lshlrev_b64 v[2:3], 2, v[1:2]
	s_add_u32 s4, s14, s4
	s_addc_u32 s5, s15, s5
	v_ashrrev_i32_e32 v1, 31, v0
	v_cndmask_b32_e64 v9, 0, 1, s2
	s_and_b32 s6, vcc_lo, s0
	v_add_co_u32 v4, s1, s4, v2
	v_add_co_ci_u32_e64 v5, null, s5, v3, s1
	s_and_saveexec_b32 s1, s6
	s_cbranch_execz .LBB15_14
; %bb.11:
	v_lshlrev_b64 v[2:3], 2, v[0:1]
	v_mul_f32_e32 v11, s20, v11
	v_add_co_u32 v2, vcc_lo, v4, v2
	v_add_co_ci_u32_e64 v3, null, v5, v3, vcc_lo
	s_andn2_b32 vcc_lo, exec_lo, s2
	s_cbranch_vccnz .LBB15_13
; %bb.12:
	global_load_dword v12, v[2:3], off
	s_waitcnt vmcnt(0)
	v_fmac_f32_e32 v11, s9, v12
.LBB15_13:
	global_store_dword v[2:3], v11, off
.LBB15_14:
	s_or_b32 exec_lo, exec_lo, s1
	v_add_nc_u32_e32 v2, 16, v0
	v_cmp_le_i32_e32 vcc_lo, v10, v2
	v_cmp_gt_i32_e64 s1, s10, v2
	v_ashrrev_i32_e32 v3, 31, v2
	s_and_b32 s2, vcc_lo, s1
	s_and_saveexec_b32 s6, s2
	s_cbranch_execz .LBB15_18
; %bb.15:
	v_lshlrev_b64 v[11:12], 2, v[2:3]
	v_cmp_ne_u32_e32 vcc_lo, 1, v9
	v_mul_f32_e32 v8, s20, v8
	v_add_co_u32 v4, s2, v4, v11
	v_add_co_ci_u32_e64 v5, null, v5, v12, s2
	s_cbranch_vccnz .LBB15_17
; %bb.16:
	global_load_dword v11, v[4:5], off
	s_waitcnt vmcnt(0)
	v_fmac_f32_e32 v8, s9, v11
.LBB15_17:
	global_store_dword v[4:5], v8, off
.LBB15_18:
	s_or_b32 exec_lo, exec_lo, s6
	v_add_nc_u32_e32 v8, 16, v10
	v_mad_i64_i32 v[4:5], null, v8, s3, 0
	v_cmp_le_i32_e32 vcc_lo, v8, v0
	s_and_b32 s0, vcc_lo, s0
	v_lshlrev_b64 v[4:5], 2, v[4:5]
	v_add_co_u32 v4, s2, s4, v4
	v_add_co_ci_u32_e64 v5, null, s5, v5, s2
	s_and_saveexec_b32 s2, s0
	s_cbranch_execz .LBB15_22
; %bb.19:
	v_lshlrev_b64 v[0:1], 2, v[0:1]
	v_cmp_ne_u32_e32 vcc_lo, 1, v9
	v_mul_f32_e32 v7, s20, v7
	v_add_co_u32 v0, s0, v4, v0
	v_add_co_ci_u32_e64 v1, null, v5, v1, s0
	s_cbranch_vccnz .LBB15_21
; %bb.20:
	global_load_dword v10, v[0:1], off
	s_waitcnt vmcnt(0)
	v_fmac_f32_e32 v7, s9, v10
.LBB15_21:
	global_store_dword v[0:1], v7, off
.LBB15_22:
	s_or_b32 exec_lo, exec_lo, s2
	v_cmp_le_i32_e32 vcc_lo, v8, v2
	s_and_b32 s0, vcc_lo, s1
	s_and_saveexec_b32 s1, s0
	s_cbranch_execz .LBB15_26
; %bb.23:
	v_lshlrev_b64 v[0:1], 2, v[2:3]
	v_cmp_ne_u32_e32 vcc_lo, 1, v9
	v_mul_f32_e32 v2, s20, v6
	v_add_co_u32 v0, s0, v4, v0
	v_add_co_ci_u32_e64 v1, null, v5, v1, s0
	s_cbranch_vccnz .LBB15_25
; %bb.24:
	global_load_dword v3, v[0:1], off
	s_waitcnt vmcnt(0)
	v_fmac_f32_e32 v2, s9, v3
.LBB15_25:
	global_store_dword v[0:1], v2, off
.LBB15_26:
	s_endpgm
	.section	.rodata,"a",@progbits
	.p2align	6, 0x0
	.amdhsa_kernel _ZL29rocblas_internal_gemmt_kernelIiLi16ELi32ELi8ELc67ELc78ELc76ELb0ELb0EfPKfS1_PfEviT_T9_T10_S3_lS5_S3_lS4_T11_S3_li
		.amdhsa_group_segment_fixed_size 2048
		.amdhsa_private_segment_fixed_size 0
		.amdhsa_kernarg_size 100
		.amdhsa_user_sgpr_count 6
		.amdhsa_user_sgpr_private_segment_buffer 1
		.amdhsa_user_sgpr_dispatch_ptr 0
		.amdhsa_user_sgpr_queue_ptr 0
		.amdhsa_user_sgpr_kernarg_segment_ptr 1
		.amdhsa_user_sgpr_dispatch_id 0
		.amdhsa_user_sgpr_flat_scratch_init 0
		.amdhsa_user_sgpr_private_segment_size 0
		.amdhsa_wavefront_size32 1
		.amdhsa_uses_dynamic_stack 0
		.amdhsa_system_sgpr_private_segment_wavefront_offset 0
		.amdhsa_system_sgpr_workgroup_id_x 1
		.amdhsa_system_sgpr_workgroup_id_y 1
		.amdhsa_system_sgpr_workgroup_id_z 1
		.amdhsa_system_sgpr_workgroup_info 0
		.amdhsa_system_vgpr_workitem_id 1
		.amdhsa_next_free_vgpr 42
		.amdhsa_next_free_sgpr 23
		.amdhsa_reserve_vcc 1
		.amdhsa_reserve_flat_scratch 0
		.amdhsa_float_round_mode_32 0
		.amdhsa_float_round_mode_16_64 0
		.amdhsa_float_denorm_mode_32 3
		.amdhsa_float_denorm_mode_16_64 3
		.amdhsa_dx10_clamp 1
		.amdhsa_ieee_mode 1
		.amdhsa_fp16_overflow 0
		.amdhsa_workgroup_processor_mode 1
		.amdhsa_memory_ordered 1
		.amdhsa_forward_progress 1
		.amdhsa_shared_vgpr_count 0
		.amdhsa_exception_fp_ieee_invalid_op 0
		.amdhsa_exception_fp_denorm_src 0
		.amdhsa_exception_fp_ieee_div_zero 0
		.amdhsa_exception_fp_ieee_overflow 0
		.amdhsa_exception_fp_ieee_underflow 0
		.amdhsa_exception_fp_ieee_inexact 0
		.amdhsa_exception_int_div_zero 0
	.end_amdhsa_kernel
	.section	.text._ZL29rocblas_internal_gemmt_kernelIiLi16ELi32ELi8ELc67ELc78ELc76ELb0ELb0EfPKfS1_PfEviT_T9_T10_S3_lS5_S3_lS4_T11_S3_li,"axG",@progbits,_ZL29rocblas_internal_gemmt_kernelIiLi16ELi32ELi8ELc67ELc78ELc76ELb0ELb0EfPKfS1_PfEviT_T9_T10_S3_lS5_S3_lS4_T11_S3_li,comdat
.Lfunc_end15:
	.size	_ZL29rocblas_internal_gemmt_kernelIiLi16ELi32ELi8ELc67ELc78ELc76ELb0ELb0EfPKfS1_PfEviT_T9_T10_S3_lS5_S3_lS4_T11_S3_li, .Lfunc_end15-_ZL29rocblas_internal_gemmt_kernelIiLi16ELi32ELi8ELc67ELc78ELc76ELb0ELb0EfPKfS1_PfEviT_T9_T10_S3_lS5_S3_lS4_T11_S3_li
                                        ; -- End function
	.set _ZL29rocblas_internal_gemmt_kernelIiLi16ELi32ELi8ELc67ELc78ELc76ELb0ELb0EfPKfS1_PfEviT_T9_T10_S3_lS5_S3_lS4_T11_S3_li.num_vgpr, 42
	.set _ZL29rocblas_internal_gemmt_kernelIiLi16ELi32ELi8ELc67ELc78ELc76ELb0ELb0EfPKfS1_PfEviT_T9_T10_S3_lS5_S3_lS4_T11_S3_li.num_agpr, 0
	.set _ZL29rocblas_internal_gemmt_kernelIiLi16ELi32ELi8ELc67ELc78ELc76ELb0ELb0EfPKfS1_PfEviT_T9_T10_S3_lS5_S3_lS4_T11_S3_li.numbered_sgpr, 23
	.set _ZL29rocblas_internal_gemmt_kernelIiLi16ELi32ELi8ELc67ELc78ELc76ELb0ELb0EfPKfS1_PfEviT_T9_T10_S3_lS5_S3_lS4_T11_S3_li.num_named_barrier, 0
	.set _ZL29rocblas_internal_gemmt_kernelIiLi16ELi32ELi8ELc67ELc78ELc76ELb0ELb0EfPKfS1_PfEviT_T9_T10_S3_lS5_S3_lS4_T11_S3_li.private_seg_size, 0
	.set _ZL29rocblas_internal_gemmt_kernelIiLi16ELi32ELi8ELc67ELc78ELc76ELb0ELb0EfPKfS1_PfEviT_T9_T10_S3_lS5_S3_lS4_T11_S3_li.uses_vcc, 1
	.set _ZL29rocblas_internal_gemmt_kernelIiLi16ELi32ELi8ELc67ELc78ELc76ELb0ELb0EfPKfS1_PfEviT_T9_T10_S3_lS5_S3_lS4_T11_S3_li.uses_flat_scratch, 0
	.set _ZL29rocblas_internal_gemmt_kernelIiLi16ELi32ELi8ELc67ELc78ELc76ELb0ELb0EfPKfS1_PfEviT_T9_T10_S3_lS5_S3_lS4_T11_S3_li.has_dyn_sized_stack, 0
	.set _ZL29rocblas_internal_gemmt_kernelIiLi16ELi32ELi8ELc67ELc78ELc76ELb0ELb0EfPKfS1_PfEviT_T9_T10_S3_lS5_S3_lS4_T11_S3_li.has_recursion, 0
	.set _ZL29rocblas_internal_gemmt_kernelIiLi16ELi32ELi8ELc67ELc78ELc76ELb0ELb0EfPKfS1_PfEviT_T9_T10_S3_lS5_S3_lS4_T11_S3_li.has_indirect_call, 0
	.section	.AMDGPU.csdata,"",@progbits
; Kernel info:
; codeLenInByte = 1400
; TotalNumSgprs: 25
; NumVgprs: 42
; ScratchSize: 0
; MemoryBound: 0
; FloatMode: 240
; IeeeMode: 1
; LDSByteSize: 2048 bytes/workgroup (compile time only)
; SGPRBlocks: 0
; VGPRBlocks: 5
; NumSGPRsForWavesPerEU: 25
; NumVGPRsForWavesPerEU: 42
; Occupancy: 16
; WaveLimiterHint : 0
; COMPUTE_PGM_RSRC2:SCRATCH_EN: 0
; COMPUTE_PGM_RSRC2:USER_SGPR: 6
; COMPUTE_PGM_RSRC2:TRAP_HANDLER: 0
; COMPUTE_PGM_RSRC2:TGID_X_EN: 1
; COMPUTE_PGM_RSRC2:TGID_Y_EN: 1
; COMPUTE_PGM_RSRC2:TGID_Z_EN: 1
; COMPUTE_PGM_RSRC2:TIDIG_COMP_CNT: 1
	.section	.text._ZL29rocblas_internal_gemmt_kernelIiLi16ELi32ELi8ELc67ELc84ELc76ELb0ELb0EfPKfS1_PfEviT_T9_T10_S3_lS5_S3_lS4_T11_S3_li,"axG",@progbits,_ZL29rocblas_internal_gemmt_kernelIiLi16ELi32ELi8ELc67ELc84ELc76ELb0ELb0EfPKfS1_PfEviT_T9_T10_S3_lS5_S3_lS4_T11_S3_li,comdat
	.globl	_ZL29rocblas_internal_gemmt_kernelIiLi16ELi32ELi8ELc67ELc84ELc76ELb0ELb0EfPKfS1_PfEviT_T9_T10_S3_lS5_S3_lS4_T11_S3_li ; -- Begin function _ZL29rocblas_internal_gemmt_kernelIiLi16ELi32ELi8ELc67ELc84ELc76ELb0ELb0EfPKfS1_PfEviT_T9_T10_S3_lS5_S3_lS4_T11_S3_li
	.p2align	8
	.type	_ZL29rocblas_internal_gemmt_kernelIiLi16ELi32ELi8ELc67ELc84ELc76ELb0ELb0EfPKfS1_PfEviT_T9_T10_S3_lS5_S3_lS4_T11_S3_li,@function
_ZL29rocblas_internal_gemmt_kernelIiLi16ELi32ELi8ELc67ELc84ELc76ELb0ELb0EfPKfS1_PfEviT_T9_T10_S3_lS5_S3_lS4_T11_S3_li: ; @_ZL29rocblas_internal_gemmt_kernelIiLi16ELi32ELi8ELc67ELc84ELc76ELb0ELb0EfPKfS1_PfEviT_T9_T10_S3_lS5_S3_lS4_T11_S3_li
; %bb.0:
	s_clause 0x1
	s_load_dwordx4 s[12:15], s[4:5], 0x38
	s_load_dwordx4 s[0:3], s[4:5], 0x8
	s_waitcnt lgkmcnt(0)
	s_load_dword s9, s[14:15], 0x0
	s_load_dwordx2 s[10:11], s[4:5], 0x0
	s_load_dword s20, s[0:1], 0x0
	s_waitcnt lgkmcnt(0)
	v_cmp_neq_f32_e64 s0, s9, 1.0
	s_and_b32 vcc_lo, exec_lo, s0
	s_cbranch_vccnz .LBB16_2
; %bb.1:
	v_cmp_neq_f32_e64 s0, s20, 0
	s_cmp_lg_u32 s11, 0
	s_cselect_b32 s1, -1, 0
	s_and_b32 s0, s1, s0
.LBB16_2:
	s_andn2_b32 vcc_lo, exec_lo, s0
	s_cbranch_vccnz .LBB16_26
; %bb.3:
	s_load_dwordx2 s[14:15], s[4:5], 0x48
	s_lshl_b32 s6, s6, 5
	s_lshl_b32 s7, s7, 5
	v_cmp_eq_f32_e64 s0, s20, 0
	s_cmp_lt_i32 s11, 1
	v_mov_b32_e32 v13, 0
	s_cselect_b32 s1, -1, 0
	v_mov_b32_e32 v8, 0
	v_mov_b32_e32 v7, 0
	;; [unrolled: 1-line block ×3, first 2 shown]
	s_or_b32 s0, s0, s1
	s_mov_b32 s21, 0
	s_and_b32 vcc_lo, exec_lo, s0
	s_cbranch_vccnz .LBB16_10
; %bb.4:
	s_load_dword s0, s[4:5], 0x18
	v_lshl_add_u32 v2, v1, 4, v0
	s_clause 0x1
	s_load_dwordx4 s[16:19], s[4:5], 0x20
	s_load_dword s22, s[4:5], 0x30
	v_and_b32_e32 v9, 7, v0
	v_lshlrev_b32_e32 v10, 2, v0
	v_lshl_add_u32 v11, v1, 5, 0x400
	v_and_b32_e32 v3, 31, v2
	v_lshrrev_b32_e32 v4, 3, v2
	v_lshlrev_b32_e32 v5, 2, v9
	v_lshrrev_b32_e32 v12, 5, v2
	v_add_nc_u32_e32 v7, s6, v3
	v_add_nc_u32_e32 v2, s7, v4
	v_lshl_or_b32 v8, v4, 5, v5
	v_or_b32_e32 v6, s6, v3
	v_lshlrev_b32_e32 v3, 2, v3
	v_lshlrev_b32_e32 v16, 2, v12
	v_add_nc_u32_e32 v15, 0x400, v8
	v_cmp_gt_i32_e32 vcc_lo, s10, v6
	s_waitcnt lgkmcnt(0)
	v_mad_i64_i32 v[4:5], null, s0, v7, 0
	s_mul_i32 s1, s17, s8
	s_mul_hi_u32 s17, s16, s8
	v_mad_i64_i32 v[6:7], null, s22, v9, 0
	s_mul_i32 s16, s16, s8
	s_add_i32 s17, s17, s1
	v_lshlrev_b64 v[4:5], 2, v[4:5]
	s_lshl_b64 s[16:17], s[16:17], 2
	v_lshl_or_b32 v14, v12, 7, v3
	v_ashrrev_i32_e32 v3, 31, v2
	v_cmp_gt_i32_e64 s0, s10, v2
	s_ashr_i32 s23, s22, 31
	v_add_co_u32 v8, s1, v4, s16
	v_add_co_ci_u32_e64 v13, null, s17, v5, s1
	s_mul_i32 s1, s13, s8
	s_mul_hi_u32 s13, s12, s8
	v_lshlrev_b64 v[4:5], 2, v[6:7]
	s_add_i32 s13, s13, s1
	s_mul_i32 s12, s12, s8
	v_lshlrev_b64 v[2:3], 2, v[2:3]
	s_lshl_b64 s[12:13], s[12:13], 2
	v_mov_b32_e32 v6, 0
	v_add_co_u32 v4, s1, s12, v4
	v_add_co_ci_u32_e64 v5, null, s13, v5, s1
	v_add_co_u32 v7, s1, v8, v16
	v_add_co_ci_u32_e64 v8, null, 0, v13, s1
	;; [unrolled: 2-line block ×5, first 2 shown]
	v_mov_b32_e32 v7, 0
	v_mov_b32_e32 v8, 0
	;; [unrolled: 1-line block ×3, first 2 shown]
	s_lshl_b64 s[2:3], s[22:23], 5
	s_branch .LBB16_6
.LBB16_5:                               ;   in Loop: Header=BB16_6 Depth=1
	s_or_b32 exec_lo, exec_lo, s1
	s_waitcnt vmcnt(0)
	ds_write_b32 v15, v17
	s_waitcnt lgkmcnt(0)
	s_barrier
	buffer_gl0_inv
	ds_read_b128 v[16:19], v11
	ds_read2_b32 v[32:33], v10 offset1:16
	ds_read_b128 v[20:23], v11 offset:512
	ds_read2_b32 v[34:35], v10 offset0:32 offset1:48
	ds_read2_b32 v[36:37], v10 offset0:64 offset1:80
	;; [unrolled: 1-line block ×3, first 2 shown]
	ds_read_b128 v[24:27], v11 offset:16
	ds_read2_b32 v[40:41], v10 offset0:128 offset1:144
	ds_read_b128 v[28:31], v11 offset:528
	v_add_co_u32 v2, s1, v2, 32
	v_add_co_ci_u32_e64 v3, null, 0, v3, s1
	v_add_co_u32 v4, s1, v4, s2
	v_add_co_ci_u32_e64 v5, null, s3, v5, s1
	s_add_i32 s21, s21, 8
	s_cmp_lt_i32 s21, s11
	s_waitcnt lgkmcnt(7)
	v_fmac_f32_e32 v13, v32, v16
	v_fmac_f32_e32 v8, v33, v16
	s_waitcnt lgkmcnt(6)
	v_fmac_f32_e32 v7, v32, v20
	v_fmac_f32_e32 v6, v33, v20
	ds_read2_b32 v[32:33], v10 offset0:160 offset1:176
	s_waitcnt lgkmcnt(6)
	v_fmac_f32_e32 v13, v34, v17
	v_fmac_f32_e32 v8, v35, v17
	v_fmac_f32_e32 v7, v34, v21
	v_fmac_f32_e32 v6, v35, v21
	ds_read2_b32 v[16:17], v10 offset0:192 offset1:208
	s_waitcnt lgkmcnt(6)
	v_fmac_f32_e32 v13, v36, v18
	v_fmac_f32_e32 v8, v37, v18
	;; [unrolled: 6-line block ×3, first 2 shown]
	v_fmac_f32_e32 v7, v38, v23
	v_fmac_f32_e32 v6, v39, v23
	s_waitcnt lgkmcnt(0)
	v_fmac_f32_e32 v13, v40, v24
	v_fmac_f32_e32 v8, v41, v24
	;; [unrolled: 1-line block ×4, first 2 shown]
	s_barrier
	v_fmac_f32_e32 v13, v32, v25
	v_fmac_f32_e32 v8, v33, v25
	;; [unrolled: 1-line block ×4, first 2 shown]
	buffer_gl0_inv
	v_fmac_f32_e32 v13, v16, v26
	v_fmac_f32_e32 v8, v17, v26
	v_fmac_f32_e32 v7, v16, v30
	v_fmac_f32_e32 v6, v17, v30
	v_fmac_f32_e32 v13, v20, v27
	v_fmac_f32_e32 v8, v21, v27
	v_fmac_f32_e32 v7, v20, v31
	v_fmac_f32_e32 v6, v21, v31
	s_cbranch_scc0 .LBB16_10
.LBB16_6:                               ; =>This Inner Loop Header: Depth=1
	v_add_nc_u32_e32 v16, s21, v12
	v_cmp_gt_i32_e64 s1, s11, v16
	v_mov_b32_e32 v16, 0
	s_and_b32 s12, vcc_lo, s1
	s_and_saveexec_b32 s1, s12
	s_cbranch_execz .LBB16_8
; %bb.7:                                ;   in Loop: Header=BB16_6 Depth=1
	global_load_dword v16, v[2:3], off
.LBB16_8:                               ;   in Loop: Header=BB16_6 Depth=1
	s_or_b32 exec_lo, exec_lo, s1
	v_add_nc_u32_e32 v17, s21, v9
	s_waitcnt vmcnt(0)
	ds_write_b32 v14, v16
	v_cmp_gt_i32_e64 s1, s11, v17
	v_mov_b32_e32 v17, 0
	s_and_b32 s12, s1, s0
	s_and_saveexec_b32 s1, s12
	s_cbranch_execz .LBB16_5
; %bb.9:                                ;   in Loop: Header=BB16_6 Depth=1
	global_load_dword v17, v[4:5], off
	s_branch .LBB16_5
.LBB16_10:
	s_clause 0x1
	s_load_dword s3, s[4:5], 0x50
	s_load_dwordx2 s[4:5], s[4:5], 0x58
	v_add_nc_u32_e32 v10, s7, v1
	v_add_nc_u32_e32 v0, s6, v0
	v_cmp_le_i32_e32 vcc_lo, v10, v0
	v_cmp_gt_i32_e64 s0, s10, v0
	s_waitcnt lgkmcnt(0)
	v_mad_i64_i32 v[1:2], null, v10, s3, 0
	s_mul_i32 s1, s5, s8
	s_mul_hi_u32 s2, s4, s8
	s_mul_i32 s4, s4, s8
	s_add_i32 s5, s2, s1
	v_cmp_neq_f32_e64 s2, s9, 0
	s_lshl_b64 s[4:5], s[4:5], 2
	v_lshlrev_b64 v[2:3], 2, v[1:2]
	s_add_u32 s4, s14, s4
	s_addc_u32 s5, s15, s5
	v_ashrrev_i32_e32 v1, 31, v0
	v_cndmask_b32_e64 v9, 0, 1, s2
	s_and_b32 s6, vcc_lo, s0
	v_add_co_u32 v4, s1, s4, v2
	v_add_co_ci_u32_e64 v5, null, s5, v3, s1
	s_and_saveexec_b32 s1, s6
	s_cbranch_execz .LBB16_14
; %bb.11:
	v_lshlrev_b64 v[2:3], 2, v[0:1]
	v_mul_f32_e32 v11, s20, v13
	v_add_co_u32 v2, vcc_lo, v4, v2
	v_add_co_ci_u32_e64 v3, null, v5, v3, vcc_lo
	s_andn2_b32 vcc_lo, exec_lo, s2
	s_cbranch_vccnz .LBB16_13
; %bb.12:
	global_load_dword v12, v[2:3], off
	s_waitcnt vmcnt(0)
	v_fmac_f32_e32 v11, s9, v12
.LBB16_13:
	global_store_dword v[2:3], v11, off
.LBB16_14:
	s_or_b32 exec_lo, exec_lo, s1
	v_add_nc_u32_e32 v2, 16, v0
	v_cmp_le_i32_e32 vcc_lo, v10, v2
	v_cmp_gt_i32_e64 s1, s10, v2
	v_ashrrev_i32_e32 v3, 31, v2
	s_and_b32 s2, vcc_lo, s1
	s_and_saveexec_b32 s6, s2
	s_cbranch_execz .LBB16_18
; %bb.15:
	v_lshlrev_b64 v[11:12], 2, v[2:3]
	v_cmp_ne_u32_e32 vcc_lo, 1, v9
	v_mul_f32_e32 v8, s20, v8
	v_add_co_u32 v4, s2, v4, v11
	v_add_co_ci_u32_e64 v5, null, v5, v12, s2
	s_cbranch_vccnz .LBB16_17
; %bb.16:
	global_load_dword v11, v[4:5], off
	s_waitcnt vmcnt(0)
	v_fmac_f32_e32 v8, s9, v11
.LBB16_17:
	global_store_dword v[4:5], v8, off
.LBB16_18:
	s_or_b32 exec_lo, exec_lo, s6
	v_add_nc_u32_e32 v8, 16, v10
	v_mad_i64_i32 v[4:5], null, v8, s3, 0
	v_cmp_le_i32_e32 vcc_lo, v8, v0
	s_and_b32 s0, vcc_lo, s0
	v_lshlrev_b64 v[4:5], 2, v[4:5]
	v_add_co_u32 v4, s2, s4, v4
	v_add_co_ci_u32_e64 v5, null, s5, v5, s2
	s_and_saveexec_b32 s2, s0
	s_cbranch_execz .LBB16_22
; %bb.19:
	v_lshlrev_b64 v[0:1], 2, v[0:1]
	v_cmp_ne_u32_e32 vcc_lo, 1, v9
	v_mul_f32_e32 v7, s20, v7
	v_add_co_u32 v0, s0, v4, v0
	v_add_co_ci_u32_e64 v1, null, v5, v1, s0
	s_cbranch_vccnz .LBB16_21
; %bb.20:
	global_load_dword v10, v[0:1], off
	s_waitcnt vmcnt(0)
	v_fmac_f32_e32 v7, s9, v10
.LBB16_21:
	global_store_dword v[0:1], v7, off
.LBB16_22:
	s_or_b32 exec_lo, exec_lo, s2
	v_cmp_le_i32_e32 vcc_lo, v8, v2
	s_and_b32 s0, vcc_lo, s1
	s_and_saveexec_b32 s1, s0
	s_cbranch_execz .LBB16_26
; %bb.23:
	v_lshlrev_b64 v[0:1], 2, v[2:3]
	v_cmp_ne_u32_e32 vcc_lo, 1, v9
	v_mul_f32_e32 v2, s20, v6
	v_add_co_u32 v0, s0, v4, v0
	v_add_co_ci_u32_e64 v1, null, v5, v1, s0
	s_cbranch_vccnz .LBB16_25
; %bb.24:
	global_load_dword v3, v[0:1], off
	s_waitcnt vmcnt(0)
	v_fmac_f32_e32 v2, s9, v3
.LBB16_25:
	global_store_dword v[0:1], v2, off
.LBB16_26:
	s_endpgm
	.section	.rodata,"a",@progbits
	.p2align	6, 0x0
	.amdhsa_kernel _ZL29rocblas_internal_gemmt_kernelIiLi16ELi32ELi8ELc67ELc84ELc76ELb0ELb0EfPKfS1_PfEviT_T9_T10_S3_lS5_S3_lS4_T11_S3_li
		.amdhsa_group_segment_fixed_size 2048
		.amdhsa_private_segment_fixed_size 0
		.amdhsa_kernarg_size 100
		.amdhsa_user_sgpr_count 6
		.amdhsa_user_sgpr_private_segment_buffer 1
		.amdhsa_user_sgpr_dispatch_ptr 0
		.amdhsa_user_sgpr_queue_ptr 0
		.amdhsa_user_sgpr_kernarg_segment_ptr 1
		.amdhsa_user_sgpr_dispatch_id 0
		.amdhsa_user_sgpr_flat_scratch_init 0
		.amdhsa_user_sgpr_private_segment_size 0
		.amdhsa_wavefront_size32 1
		.amdhsa_uses_dynamic_stack 0
		.amdhsa_system_sgpr_private_segment_wavefront_offset 0
		.amdhsa_system_sgpr_workgroup_id_x 1
		.amdhsa_system_sgpr_workgroup_id_y 1
		.amdhsa_system_sgpr_workgroup_id_z 1
		.amdhsa_system_sgpr_workgroup_info 0
		.amdhsa_system_vgpr_workitem_id 1
		.amdhsa_next_free_vgpr 42
		.amdhsa_next_free_sgpr 24
		.amdhsa_reserve_vcc 1
		.amdhsa_reserve_flat_scratch 0
		.amdhsa_float_round_mode_32 0
		.amdhsa_float_round_mode_16_64 0
		.amdhsa_float_denorm_mode_32 3
		.amdhsa_float_denorm_mode_16_64 3
		.amdhsa_dx10_clamp 1
		.amdhsa_ieee_mode 1
		.amdhsa_fp16_overflow 0
		.amdhsa_workgroup_processor_mode 1
		.amdhsa_memory_ordered 1
		.amdhsa_forward_progress 1
		.amdhsa_shared_vgpr_count 0
		.amdhsa_exception_fp_ieee_invalid_op 0
		.amdhsa_exception_fp_denorm_src 0
		.amdhsa_exception_fp_ieee_div_zero 0
		.amdhsa_exception_fp_ieee_overflow 0
		.amdhsa_exception_fp_ieee_underflow 0
		.amdhsa_exception_fp_ieee_inexact 0
		.amdhsa_exception_int_div_zero 0
	.end_amdhsa_kernel
	.section	.text._ZL29rocblas_internal_gemmt_kernelIiLi16ELi32ELi8ELc67ELc84ELc76ELb0ELb0EfPKfS1_PfEviT_T9_T10_S3_lS5_S3_lS4_T11_S3_li,"axG",@progbits,_ZL29rocblas_internal_gemmt_kernelIiLi16ELi32ELi8ELc67ELc84ELc76ELb0ELb0EfPKfS1_PfEviT_T9_T10_S3_lS5_S3_lS4_T11_S3_li,comdat
.Lfunc_end16:
	.size	_ZL29rocblas_internal_gemmt_kernelIiLi16ELi32ELi8ELc67ELc84ELc76ELb0ELb0EfPKfS1_PfEviT_T9_T10_S3_lS5_S3_lS4_T11_S3_li, .Lfunc_end16-_ZL29rocblas_internal_gemmt_kernelIiLi16ELi32ELi8ELc67ELc84ELc76ELb0ELb0EfPKfS1_PfEviT_T9_T10_S3_lS5_S3_lS4_T11_S3_li
                                        ; -- End function
	.set _ZL29rocblas_internal_gemmt_kernelIiLi16ELi32ELi8ELc67ELc84ELc76ELb0ELb0EfPKfS1_PfEviT_T9_T10_S3_lS5_S3_lS4_T11_S3_li.num_vgpr, 42
	.set _ZL29rocblas_internal_gemmt_kernelIiLi16ELi32ELi8ELc67ELc84ELc76ELb0ELb0EfPKfS1_PfEviT_T9_T10_S3_lS5_S3_lS4_T11_S3_li.num_agpr, 0
	.set _ZL29rocblas_internal_gemmt_kernelIiLi16ELi32ELi8ELc67ELc84ELc76ELb0ELb0EfPKfS1_PfEviT_T9_T10_S3_lS5_S3_lS4_T11_S3_li.numbered_sgpr, 24
	.set _ZL29rocblas_internal_gemmt_kernelIiLi16ELi32ELi8ELc67ELc84ELc76ELb0ELb0EfPKfS1_PfEviT_T9_T10_S3_lS5_S3_lS4_T11_S3_li.num_named_barrier, 0
	.set _ZL29rocblas_internal_gemmt_kernelIiLi16ELi32ELi8ELc67ELc84ELc76ELb0ELb0EfPKfS1_PfEviT_T9_T10_S3_lS5_S3_lS4_T11_S3_li.private_seg_size, 0
	.set _ZL29rocblas_internal_gemmt_kernelIiLi16ELi32ELi8ELc67ELc84ELc76ELb0ELb0EfPKfS1_PfEviT_T9_T10_S3_lS5_S3_lS4_T11_S3_li.uses_vcc, 1
	.set _ZL29rocblas_internal_gemmt_kernelIiLi16ELi32ELi8ELc67ELc84ELc76ELb0ELb0EfPKfS1_PfEviT_T9_T10_S3_lS5_S3_lS4_T11_S3_li.uses_flat_scratch, 0
	.set _ZL29rocblas_internal_gemmt_kernelIiLi16ELi32ELi8ELc67ELc84ELc76ELb0ELb0EfPKfS1_PfEviT_T9_T10_S3_lS5_S3_lS4_T11_S3_li.has_dyn_sized_stack, 0
	.set _ZL29rocblas_internal_gemmt_kernelIiLi16ELi32ELi8ELc67ELc84ELc76ELb0ELb0EfPKfS1_PfEviT_T9_T10_S3_lS5_S3_lS4_T11_S3_li.has_recursion, 0
	.set _ZL29rocblas_internal_gemmt_kernelIiLi16ELi32ELi8ELc67ELc84ELc76ELb0ELb0EfPKfS1_PfEviT_T9_T10_S3_lS5_S3_lS4_T11_S3_li.has_indirect_call, 0
	.section	.AMDGPU.csdata,"",@progbits
; Kernel info:
; codeLenInByte = 1420
; TotalNumSgprs: 26
; NumVgprs: 42
; ScratchSize: 0
; MemoryBound: 0
; FloatMode: 240
; IeeeMode: 1
; LDSByteSize: 2048 bytes/workgroup (compile time only)
; SGPRBlocks: 0
; VGPRBlocks: 5
; NumSGPRsForWavesPerEU: 26
; NumVGPRsForWavesPerEU: 42
; Occupancy: 16
; WaveLimiterHint : 0
; COMPUTE_PGM_RSRC2:SCRATCH_EN: 0
; COMPUTE_PGM_RSRC2:USER_SGPR: 6
; COMPUTE_PGM_RSRC2:TRAP_HANDLER: 0
; COMPUTE_PGM_RSRC2:TGID_X_EN: 1
; COMPUTE_PGM_RSRC2:TGID_Y_EN: 1
; COMPUTE_PGM_RSRC2:TGID_Z_EN: 1
; COMPUTE_PGM_RSRC2:TIDIG_COMP_CNT: 1
	.section	.text._ZL29rocblas_internal_gemmt_kernelIiLi16ELi32ELi8ELc67ELc67ELc76ELb0ELb0EfPKfS1_PfEviT_T9_T10_S3_lS5_S3_lS4_T11_S3_li,"axG",@progbits,_ZL29rocblas_internal_gemmt_kernelIiLi16ELi32ELi8ELc67ELc67ELc76ELb0ELb0EfPKfS1_PfEviT_T9_T10_S3_lS5_S3_lS4_T11_S3_li,comdat
	.globl	_ZL29rocblas_internal_gemmt_kernelIiLi16ELi32ELi8ELc67ELc67ELc76ELb0ELb0EfPKfS1_PfEviT_T9_T10_S3_lS5_S3_lS4_T11_S3_li ; -- Begin function _ZL29rocblas_internal_gemmt_kernelIiLi16ELi32ELi8ELc67ELc67ELc76ELb0ELb0EfPKfS1_PfEviT_T9_T10_S3_lS5_S3_lS4_T11_S3_li
	.p2align	8
	.type	_ZL29rocblas_internal_gemmt_kernelIiLi16ELi32ELi8ELc67ELc67ELc76ELb0ELb0EfPKfS1_PfEviT_T9_T10_S3_lS5_S3_lS4_T11_S3_li,@function
_ZL29rocblas_internal_gemmt_kernelIiLi16ELi32ELi8ELc67ELc67ELc76ELb0ELb0EfPKfS1_PfEviT_T9_T10_S3_lS5_S3_lS4_T11_S3_li: ; @_ZL29rocblas_internal_gemmt_kernelIiLi16ELi32ELi8ELc67ELc67ELc76ELb0ELb0EfPKfS1_PfEviT_T9_T10_S3_lS5_S3_lS4_T11_S3_li
; %bb.0:
	s_clause 0x1
	s_load_dwordx4 s[12:15], s[4:5], 0x38
	s_load_dwordx4 s[0:3], s[4:5], 0x8
	s_waitcnt lgkmcnt(0)
	s_load_dword s9, s[14:15], 0x0
	s_load_dwordx2 s[10:11], s[4:5], 0x0
	s_load_dword s20, s[0:1], 0x0
	s_waitcnt lgkmcnt(0)
	v_cmp_neq_f32_e64 s0, s9, 1.0
	s_and_b32 vcc_lo, exec_lo, s0
	s_cbranch_vccnz .LBB17_2
; %bb.1:
	v_cmp_neq_f32_e64 s0, s20, 0
	s_cmp_lg_u32 s11, 0
	s_cselect_b32 s1, -1, 0
	s_and_b32 s0, s1, s0
.LBB17_2:
	s_andn2_b32 vcc_lo, exec_lo, s0
	s_cbranch_vccnz .LBB17_26
; %bb.3:
	s_load_dwordx2 s[14:15], s[4:5], 0x48
	s_lshl_b32 s6, s6, 5
	s_lshl_b32 s7, s7, 5
	v_cmp_eq_f32_e64 s0, s20, 0
	s_cmp_lt_i32 s11, 1
	v_mov_b32_e32 v13, 0
	s_cselect_b32 s1, -1, 0
	v_mov_b32_e32 v8, 0
	v_mov_b32_e32 v7, 0
	;; [unrolled: 1-line block ×3, first 2 shown]
	s_or_b32 s0, s0, s1
	s_mov_b32 s21, 0
	s_and_b32 vcc_lo, exec_lo, s0
	s_cbranch_vccnz .LBB17_10
; %bb.4:
	s_load_dword s0, s[4:5], 0x18
	v_lshl_add_u32 v2, v1, 4, v0
	s_clause 0x1
	s_load_dwordx4 s[16:19], s[4:5], 0x20
	s_load_dword s22, s[4:5], 0x30
	v_and_b32_e32 v9, 7, v0
	v_lshlrev_b32_e32 v10, 2, v0
	v_lshl_add_u32 v11, v1, 5, 0x400
	v_and_b32_e32 v3, 31, v2
	v_lshrrev_b32_e32 v4, 3, v2
	v_lshlrev_b32_e32 v5, 2, v9
	v_lshrrev_b32_e32 v12, 5, v2
	v_add_nc_u32_e32 v7, s6, v3
	v_add_nc_u32_e32 v2, s7, v4
	v_lshl_or_b32 v8, v4, 5, v5
	v_or_b32_e32 v6, s6, v3
	v_lshlrev_b32_e32 v3, 2, v3
	v_lshlrev_b32_e32 v16, 2, v12
	v_add_nc_u32_e32 v15, 0x400, v8
	v_cmp_gt_i32_e32 vcc_lo, s10, v6
	s_waitcnt lgkmcnt(0)
	v_mad_i64_i32 v[4:5], null, s0, v7, 0
	s_mul_i32 s1, s17, s8
	s_mul_hi_u32 s17, s16, s8
	v_mad_i64_i32 v[6:7], null, s22, v9, 0
	s_mul_i32 s16, s16, s8
	s_add_i32 s17, s17, s1
	v_lshlrev_b64 v[4:5], 2, v[4:5]
	s_lshl_b64 s[16:17], s[16:17], 2
	v_lshl_or_b32 v14, v12, 7, v3
	v_ashrrev_i32_e32 v3, 31, v2
	v_cmp_gt_i32_e64 s0, s10, v2
	s_ashr_i32 s23, s22, 31
	v_add_co_u32 v8, s1, v4, s16
	v_add_co_ci_u32_e64 v13, null, s17, v5, s1
	s_mul_i32 s1, s13, s8
	s_mul_hi_u32 s13, s12, s8
	v_lshlrev_b64 v[4:5], 2, v[6:7]
	s_add_i32 s13, s13, s1
	s_mul_i32 s12, s12, s8
	v_lshlrev_b64 v[2:3], 2, v[2:3]
	s_lshl_b64 s[12:13], s[12:13], 2
	v_mov_b32_e32 v6, 0
	v_add_co_u32 v4, s1, s12, v4
	v_add_co_ci_u32_e64 v5, null, s13, v5, s1
	v_add_co_u32 v7, s1, v8, v16
	v_add_co_ci_u32_e64 v8, null, 0, v13, s1
	;; [unrolled: 2-line block ×5, first 2 shown]
	v_mov_b32_e32 v7, 0
	v_mov_b32_e32 v8, 0
	;; [unrolled: 1-line block ×3, first 2 shown]
	s_lshl_b64 s[2:3], s[22:23], 5
	s_branch .LBB17_6
.LBB17_5:                               ;   in Loop: Header=BB17_6 Depth=1
	s_or_b32 exec_lo, exec_lo, s1
	s_waitcnt vmcnt(0)
	ds_write_b32 v15, v17
	s_waitcnt lgkmcnt(0)
	s_barrier
	buffer_gl0_inv
	ds_read_b128 v[16:19], v11
	ds_read2_b32 v[32:33], v10 offset1:16
	ds_read_b128 v[20:23], v11 offset:512
	ds_read2_b32 v[34:35], v10 offset0:32 offset1:48
	ds_read2_b32 v[36:37], v10 offset0:64 offset1:80
	;; [unrolled: 1-line block ×3, first 2 shown]
	ds_read_b128 v[24:27], v11 offset:16
	ds_read2_b32 v[40:41], v10 offset0:128 offset1:144
	ds_read_b128 v[28:31], v11 offset:528
	v_add_co_u32 v2, s1, v2, 32
	v_add_co_ci_u32_e64 v3, null, 0, v3, s1
	v_add_co_u32 v4, s1, v4, s2
	v_add_co_ci_u32_e64 v5, null, s3, v5, s1
	s_add_i32 s21, s21, 8
	s_cmp_lt_i32 s21, s11
	s_waitcnt lgkmcnt(7)
	v_fmac_f32_e32 v13, v32, v16
	v_fmac_f32_e32 v8, v33, v16
	s_waitcnt lgkmcnt(6)
	v_fmac_f32_e32 v7, v32, v20
	v_fmac_f32_e32 v6, v33, v20
	ds_read2_b32 v[32:33], v10 offset0:160 offset1:176
	s_waitcnt lgkmcnt(6)
	v_fmac_f32_e32 v13, v34, v17
	v_fmac_f32_e32 v8, v35, v17
	v_fmac_f32_e32 v7, v34, v21
	v_fmac_f32_e32 v6, v35, v21
	ds_read2_b32 v[16:17], v10 offset0:192 offset1:208
	s_waitcnt lgkmcnt(6)
	v_fmac_f32_e32 v13, v36, v18
	v_fmac_f32_e32 v8, v37, v18
	;; [unrolled: 6-line block ×3, first 2 shown]
	v_fmac_f32_e32 v7, v38, v23
	v_fmac_f32_e32 v6, v39, v23
	s_waitcnt lgkmcnt(0)
	v_fmac_f32_e32 v13, v40, v24
	v_fmac_f32_e32 v8, v41, v24
	;; [unrolled: 1-line block ×4, first 2 shown]
	s_barrier
	v_fmac_f32_e32 v13, v32, v25
	v_fmac_f32_e32 v8, v33, v25
	;; [unrolled: 1-line block ×4, first 2 shown]
	buffer_gl0_inv
	v_fmac_f32_e32 v13, v16, v26
	v_fmac_f32_e32 v8, v17, v26
	;; [unrolled: 1-line block ×8, first 2 shown]
	s_cbranch_scc0 .LBB17_10
.LBB17_6:                               ; =>This Inner Loop Header: Depth=1
	v_add_nc_u32_e32 v16, s21, v12
	v_cmp_gt_i32_e64 s1, s11, v16
	v_mov_b32_e32 v16, 0
	s_and_b32 s12, vcc_lo, s1
	s_and_saveexec_b32 s1, s12
	s_cbranch_execz .LBB17_8
; %bb.7:                                ;   in Loop: Header=BB17_6 Depth=1
	global_load_dword v16, v[2:3], off
.LBB17_8:                               ;   in Loop: Header=BB17_6 Depth=1
	s_or_b32 exec_lo, exec_lo, s1
	v_add_nc_u32_e32 v17, s21, v9
	s_waitcnt vmcnt(0)
	ds_write_b32 v14, v16
	v_cmp_gt_i32_e64 s1, s11, v17
	v_mov_b32_e32 v17, 0
	s_and_b32 s12, s1, s0
	s_and_saveexec_b32 s1, s12
	s_cbranch_execz .LBB17_5
; %bb.9:                                ;   in Loop: Header=BB17_6 Depth=1
	global_load_dword v17, v[4:5], off
	s_branch .LBB17_5
.LBB17_10:
	s_clause 0x1
	s_load_dword s3, s[4:5], 0x50
	s_load_dwordx2 s[4:5], s[4:5], 0x58
	v_add_nc_u32_e32 v10, s7, v1
	v_add_nc_u32_e32 v0, s6, v0
	v_cmp_le_i32_e32 vcc_lo, v10, v0
	v_cmp_gt_i32_e64 s0, s10, v0
	s_waitcnt lgkmcnt(0)
	v_mad_i64_i32 v[1:2], null, v10, s3, 0
	s_mul_i32 s1, s5, s8
	s_mul_hi_u32 s2, s4, s8
	s_mul_i32 s4, s4, s8
	s_add_i32 s5, s2, s1
	v_cmp_neq_f32_e64 s2, s9, 0
	s_lshl_b64 s[4:5], s[4:5], 2
	v_lshlrev_b64 v[2:3], 2, v[1:2]
	s_add_u32 s4, s14, s4
	s_addc_u32 s5, s15, s5
	v_ashrrev_i32_e32 v1, 31, v0
	v_cndmask_b32_e64 v9, 0, 1, s2
	s_and_b32 s6, vcc_lo, s0
	v_add_co_u32 v4, s1, s4, v2
	v_add_co_ci_u32_e64 v5, null, s5, v3, s1
	s_and_saveexec_b32 s1, s6
	s_cbranch_execz .LBB17_14
; %bb.11:
	v_lshlrev_b64 v[2:3], 2, v[0:1]
	v_mul_f32_e32 v11, s20, v13
	v_add_co_u32 v2, vcc_lo, v4, v2
	v_add_co_ci_u32_e64 v3, null, v5, v3, vcc_lo
	s_andn2_b32 vcc_lo, exec_lo, s2
	s_cbranch_vccnz .LBB17_13
; %bb.12:
	global_load_dword v12, v[2:3], off
	s_waitcnt vmcnt(0)
	v_fmac_f32_e32 v11, s9, v12
.LBB17_13:
	global_store_dword v[2:3], v11, off
.LBB17_14:
	s_or_b32 exec_lo, exec_lo, s1
	v_add_nc_u32_e32 v2, 16, v0
	v_cmp_le_i32_e32 vcc_lo, v10, v2
	v_cmp_gt_i32_e64 s1, s10, v2
	v_ashrrev_i32_e32 v3, 31, v2
	s_and_b32 s2, vcc_lo, s1
	s_and_saveexec_b32 s6, s2
	s_cbranch_execz .LBB17_18
; %bb.15:
	v_lshlrev_b64 v[11:12], 2, v[2:3]
	v_cmp_ne_u32_e32 vcc_lo, 1, v9
	v_mul_f32_e32 v8, s20, v8
	v_add_co_u32 v4, s2, v4, v11
	v_add_co_ci_u32_e64 v5, null, v5, v12, s2
	s_cbranch_vccnz .LBB17_17
; %bb.16:
	global_load_dword v11, v[4:5], off
	s_waitcnt vmcnt(0)
	v_fmac_f32_e32 v8, s9, v11
.LBB17_17:
	global_store_dword v[4:5], v8, off
.LBB17_18:
	s_or_b32 exec_lo, exec_lo, s6
	v_add_nc_u32_e32 v8, 16, v10
	v_mad_i64_i32 v[4:5], null, v8, s3, 0
	v_cmp_le_i32_e32 vcc_lo, v8, v0
	s_and_b32 s0, vcc_lo, s0
	v_lshlrev_b64 v[4:5], 2, v[4:5]
	v_add_co_u32 v4, s2, s4, v4
	v_add_co_ci_u32_e64 v5, null, s5, v5, s2
	s_and_saveexec_b32 s2, s0
	s_cbranch_execz .LBB17_22
; %bb.19:
	v_lshlrev_b64 v[0:1], 2, v[0:1]
	v_cmp_ne_u32_e32 vcc_lo, 1, v9
	v_mul_f32_e32 v7, s20, v7
	v_add_co_u32 v0, s0, v4, v0
	v_add_co_ci_u32_e64 v1, null, v5, v1, s0
	s_cbranch_vccnz .LBB17_21
; %bb.20:
	global_load_dword v10, v[0:1], off
	s_waitcnt vmcnt(0)
	v_fmac_f32_e32 v7, s9, v10
.LBB17_21:
	global_store_dword v[0:1], v7, off
.LBB17_22:
	s_or_b32 exec_lo, exec_lo, s2
	v_cmp_le_i32_e32 vcc_lo, v8, v2
	s_and_b32 s0, vcc_lo, s1
	s_and_saveexec_b32 s1, s0
	s_cbranch_execz .LBB17_26
; %bb.23:
	v_lshlrev_b64 v[0:1], 2, v[2:3]
	v_cmp_ne_u32_e32 vcc_lo, 1, v9
	v_mul_f32_e32 v2, s20, v6
	v_add_co_u32 v0, s0, v4, v0
	v_add_co_ci_u32_e64 v1, null, v5, v1, s0
	s_cbranch_vccnz .LBB17_25
; %bb.24:
	global_load_dword v3, v[0:1], off
	s_waitcnt vmcnt(0)
	v_fmac_f32_e32 v2, s9, v3
.LBB17_25:
	global_store_dword v[0:1], v2, off
.LBB17_26:
	s_endpgm
	.section	.rodata,"a",@progbits
	.p2align	6, 0x0
	.amdhsa_kernel _ZL29rocblas_internal_gemmt_kernelIiLi16ELi32ELi8ELc67ELc67ELc76ELb0ELb0EfPKfS1_PfEviT_T9_T10_S3_lS5_S3_lS4_T11_S3_li
		.amdhsa_group_segment_fixed_size 2048
		.amdhsa_private_segment_fixed_size 0
		.amdhsa_kernarg_size 100
		.amdhsa_user_sgpr_count 6
		.amdhsa_user_sgpr_private_segment_buffer 1
		.amdhsa_user_sgpr_dispatch_ptr 0
		.amdhsa_user_sgpr_queue_ptr 0
		.amdhsa_user_sgpr_kernarg_segment_ptr 1
		.amdhsa_user_sgpr_dispatch_id 0
		.amdhsa_user_sgpr_flat_scratch_init 0
		.amdhsa_user_sgpr_private_segment_size 0
		.amdhsa_wavefront_size32 1
		.amdhsa_uses_dynamic_stack 0
		.amdhsa_system_sgpr_private_segment_wavefront_offset 0
		.amdhsa_system_sgpr_workgroup_id_x 1
		.amdhsa_system_sgpr_workgroup_id_y 1
		.amdhsa_system_sgpr_workgroup_id_z 1
		.amdhsa_system_sgpr_workgroup_info 0
		.amdhsa_system_vgpr_workitem_id 1
		.amdhsa_next_free_vgpr 42
		.amdhsa_next_free_sgpr 24
		.amdhsa_reserve_vcc 1
		.amdhsa_reserve_flat_scratch 0
		.amdhsa_float_round_mode_32 0
		.amdhsa_float_round_mode_16_64 0
		.amdhsa_float_denorm_mode_32 3
		.amdhsa_float_denorm_mode_16_64 3
		.amdhsa_dx10_clamp 1
		.amdhsa_ieee_mode 1
		.amdhsa_fp16_overflow 0
		.amdhsa_workgroup_processor_mode 1
		.amdhsa_memory_ordered 1
		.amdhsa_forward_progress 1
		.amdhsa_shared_vgpr_count 0
		.amdhsa_exception_fp_ieee_invalid_op 0
		.amdhsa_exception_fp_denorm_src 0
		.amdhsa_exception_fp_ieee_div_zero 0
		.amdhsa_exception_fp_ieee_overflow 0
		.amdhsa_exception_fp_ieee_underflow 0
		.amdhsa_exception_fp_ieee_inexact 0
		.amdhsa_exception_int_div_zero 0
	.end_amdhsa_kernel
	.section	.text._ZL29rocblas_internal_gemmt_kernelIiLi16ELi32ELi8ELc67ELc67ELc76ELb0ELb0EfPKfS1_PfEviT_T9_T10_S3_lS5_S3_lS4_T11_S3_li,"axG",@progbits,_ZL29rocblas_internal_gemmt_kernelIiLi16ELi32ELi8ELc67ELc67ELc76ELb0ELb0EfPKfS1_PfEviT_T9_T10_S3_lS5_S3_lS4_T11_S3_li,comdat
.Lfunc_end17:
	.size	_ZL29rocblas_internal_gemmt_kernelIiLi16ELi32ELi8ELc67ELc67ELc76ELb0ELb0EfPKfS1_PfEviT_T9_T10_S3_lS5_S3_lS4_T11_S3_li, .Lfunc_end17-_ZL29rocblas_internal_gemmt_kernelIiLi16ELi32ELi8ELc67ELc67ELc76ELb0ELb0EfPKfS1_PfEviT_T9_T10_S3_lS5_S3_lS4_T11_S3_li
                                        ; -- End function
	.set _ZL29rocblas_internal_gemmt_kernelIiLi16ELi32ELi8ELc67ELc67ELc76ELb0ELb0EfPKfS1_PfEviT_T9_T10_S3_lS5_S3_lS4_T11_S3_li.num_vgpr, 42
	.set _ZL29rocblas_internal_gemmt_kernelIiLi16ELi32ELi8ELc67ELc67ELc76ELb0ELb0EfPKfS1_PfEviT_T9_T10_S3_lS5_S3_lS4_T11_S3_li.num_agpr, 0
	.set _ZL29rocblas_internal_gemmt_kernelIiLi16ELi32ELi8ELc67ELc67ELc76ELb0ELb0EfPKfS1_PfEviT_T9_T10_S3_lS5_S3_lS4_T11_S3_li.numbered_sgpr, 24
	.set _ZL29rocblas_internal_gemmt_kernelIiLi16ELi32ELi8ELc67ELc67ELc76ELb0ELb0EfPKfS1_PfEviT_T9_T10_S3_lS5_S3_lS4_T11_S3_li.num_named_barrier, 0
	.set _ZL29rocblas_internal_gemmt_kernelIiLi16ELi32ELi8ELc67ELc67ELc76ELb0ELb0EfPKfS1_PfEviT_T9_T10_S3_lS5_S3_lS4_T11_S3_li.private_seg_size, 0
	.set _ZL29rocblas_internal_gemmt_kernelIiLi16ELi32ELi8ELc67ELc67ELc76ELb0ELb0EfPKfS1_PfEviT_T9_T10_S3_lS5_S3_lS4_T11_S3_li.uses_vcc, 1
	.set _ZL29rocblas_internal_gemmt_kernelIiLi16ELi32ELi8ELc67ELc67ELc76ELb0ELb0EfPKfS1_PfEviT_T9_T10_S3_lS5_S3_lS4_T11_S3_li.uses_flat_scratch, 0
	.set _ZL29rocblas_internal_gemmt_kernelIiLi16ELi32ELi8ELc67ELc67ELc76ELb0ELb0EfPKfS1_PfEviT_T9_T10_S3_lS5_S3_lS4_T11_S3_li.has_dyn_sized_stack, 0
	.set _ZL29rocblas_internal_gemmt_kernelIiLi16ELi32ELi8ELc67ELc67ELc76ELb0ELb0EfPKfS1_PfEviT_T9_T10_S3_lS5_S3_lS4_T11_S3_li.has_recursion, 0
	.set _ZL29rocblas_internal_gemmt_kernelIiLi16ELi32ELi8ELc67ELc67ELc76ELb0ELb0EfPKfS1_PfEviT_T9_T10_S3_lS5_S3_lS4_T11_S3_li.has_indirect_call, 0
	.section	.AMDGPU.csdata,"",@progbits
; Kernel info:
; codeLenInByte = 1420
; TotalNumSgprs: 26
; NumVgprs: 42
; ScratchSize: 0
; MemoryBound: 0
; FloatMode: 240
; IeeeMode: 1
; LDSByteSize: 2048 bytes/workgroup (compile time only)
; SGPRBlocks: 0
; VGPRBlocks: 5
; NumSGPRsForWavesPerEU: 26
; NumVGPRsForWavesPerEU: 42
; Occupancy: 16
; WaveLimiterHint : 0
; COMPUTE_PGM_RSRC2:SCRATCH_EN: 0
; COMPUTE_PGM_RSRC2:USER_SGPR: 6
; COMPUTE_PGM_RSRC2:TRAP_HANDLER: 0
; COMPUTE_PGM_RSRC2:TGID_X_EN: 1
; COMPUTE_PGM_RSRC2:TGID_Y_EN: 1
; COMPUTE_PGM_RSRC2:TGID_Z_EN: 1
; COMPUTE_PGM_RSRC2:TIDIG_COMP_CNT: 1
	.section	.text._ZL29rocblas_internal_gemmt_kernelIiLi16ELi32ELi8ELc78ELc78ELc85ELb0ELb0EffPKfPfEviT_T9_T10_S3_lS5_S3_lS4_T11_S3_li,"axG",@progbits,_ZL29rocblas_internal_gemmt_kernelIiLi16ELi32ELi8ELc78ELc78ELc85ELb0ELb0EffPKfPfEviT_T9_T10_S3_lS5_S3_lS4_T11_S3_li,comdat
	.globl	_ZL29rocblas_internal_gemmt_kernelIiLi16ELi32ELi8ELc78ELc78ELc85ELb0ELb0EffPKfPfEviT_T9_T10_S3_lS5_S3_lS4_T11_S3_li ; -- Begin function _ZL29rocblas_internal_gemmt_kernelIiLi16ELi32ELi8ELc78ELc78ELc85ELb0ELb0EffPKfPfEviT_T9_T10_S3_lS5_S3_lS4_T11_S3_li
	.p2align	8
	.type	_ZL29rocblas_internal_gemmt_kernelIiLi16ELi32ELi8ELc78ELc78ELc85ELb0ELb0EffPKfPfEviT_T9_T10_S3_lS5_S3_lS4_T11_S3_li,@function
_ZL29rocblas_internal_gemmt_kernelIiLi16ELi32ELi8ELc78ELc78ELc85ELb0ELb0EffPKfPfEviT_T9_T10_S3_lS5_S3_lS4_T11_S3_li: ; @_ZL29rocblas_internal_gemmt_kernelIiLi16ELi32ELi8ELc78ELc78ELc85ELb0ELb0EffPKfPfEviT_T9_T10_S3_lS5_S3_lS4_T11_S3_li
; %bb.0:
	s_clause 0x1
	s_load_dword s9, s[4:5], 0x40
	s_load_dwordx4 s[12:15], s[4:5], 0x0
	s_waitcnt lgkmcnt(0)
	v_cmp_neq_f32_e64 s0, s9, 1.0
	s_and_b32 vcc_lo, exec_lo, s0
	s_cbranch_vccnz .LBB18_2
; %bb.1:
	v_cmp_neq_f32_e64 s0, s14, 0
	s_cmp_lg_u32 s13, 0
	s_cselect_b32 s1, -1, 0
	s_and_b32 s0, s1, s0
.LBB18_2:
	s_andn2_b32 vcc_lo, exec_lo, s0
	s_cbranch_vccnz .LBB18_26
; %bb.3:
	s_lshl_b32 s6, s6, 5
	s_lshl_b32 s7, s7, 5
	v_cmp_eq_f32_e64 s0, s14, 0
	s_cmp_lt_i32 s13, 1
	v_mov_b32_e32 v12, 0
	s_cselect_b32 s1, -1, 0
	v_mov_b32_e32 v8, 0
	v_mov_b32_e32 v7, 0
	;; [unrolled: 1-line block ×3, first 2 shown]
	s_or_b32 s0, s0, s1
	s_mov_b32 s10, 0
	s_and_b32 vcc_lo, exec_lo, s0
	s_cbranch_vccnz .LBB18_10
; %bb.4:
	s_clause 0x1
	s_load_dword s2, s[4:5], 0x18
	s_load_dwordx2 s[20:21], s[4:5], 0x10
	v_lshl_add_u32 v2, v1, 4, v0
	s_clause 0x2
	s_load_dwordx4 s[16:19], s[4:5], 0x20
	s_load_dword s1, s[4:5], 0x30
	s_load_dwordx2 s[22:23], s[4:5], 0x38
	v_and_b32_e32 v9, 7, v0
	v_lshlrev_b32_e32 v10, 2, v0
	v_lshl_add_u32 v11, v1, 5, 0x400
	v_and_b32_e32 v3, 31, v2
	v_lshrrev_b32_e32 v4, 3, v2
	v_lshlrev_b32_e32 v8, 2, v9
	v_lshrrev_b32_e32 v13, 5, v2
	v_or_b32_e32 v5, s6, v3
	v_add_nc_u32_e32 v6, s7, v4
	v_lshl_or_b32 v12, v4, 5, v8
	v_lshlrev_b32_e32 v7, 2, v3
	v_add_nc_u32_e32 v2, s6, v3
	v_cmp_gt_i32_e32 vcc_lo, s12, v5
	v_cmp_gt_i32_e64 s0, s12, v6
	v_add_nc_u32_e32 v15, 0x400, v12
	s_waitcnt lgkmcnt(0)
	v_mad_i64_i32 v[4:5], null, v13, s2, 0
	v_lshl_or_b32 v14, v13, 7, v7
	s_mul_i32 s3, s17, s8
	s_mul_hi_u32 s11, s16, s8
	v_mad_i64_i32 v[6:7], null, s1, v6, 0
	v_ashrrev_i32_e32 v3, 31, v2
	v_lshlrev_b64 v[4:5], 2, v[4:5]
	s_mul_i32 s16, s16, s8
	s_add_i32 s17, s11, s3
	s_mul_hi_u32 s3, s22, s8
	s_lshl_b64 s[16:17], s[16:17], 2
	v_lshlrev_b64 v[2:3], 2, v[2:3]
	v_add_co_u32 v12, s1, v4, s16
	v_add_co_ci_u32_e64 v16, null, s17, v5, s1
	s_mul_i32 s1, s23, s8
	v_lshlrev_b64 v[4:5], 2, v[6:7]
	s_add_i32 s17, s3, s1
	s_mul_i32 s16, s22, s8
	v_add_co_u32 v2, s1, v12, v2
	s_lshl_b64 s[16:17], s[16:17], 2
	v_add_co_ci_u32_e64 v3, null, v16, v3, s1
	v_add_co_u32 v4, s1, v4, s16
	v_add_co_ci_u32_e64 v5, null, s17, v5, s1
	v_add_co_u32 v2, s1, s20, v2
	;; [unrolled: 2-line block ×3, first 2 shown]
	v_add_co_ci_u32_e64 v5, null, 0, v5, s1
	v_mov_b32_e32 v6, 0
	v_add_co_u32 v4, s1, s18, v4
	v_add_co_ci_u32_e64 v5, null, s19, v5, s1
	v_mov_b32_e32 v7, 0
	v_mov_b32_e32 v8, 0
	v_mov_b32_e32 v12, 0
	s_ashr_i32 s3, s2, 31
	s_lshl_b64 s[2:3], s[2:3], 5
	s_branch .LBB18_6
.LBB18_5:                               ;   in Loop: Header=BB18_6 Depth=1
	s_or_b32 exec_lo, exec_lo, s1
	s_waitcnt vmcnt(0)
	ds_write_b32 v15, v17
	s_waitcnt lgkmcnt(0)
	s_barrier
	buffer_gl0_inv
	ds_read_b128 v[16:19], v11
	ds_read2_b32 v[32:33], v10 offset1:16
	ds_read_b128 v[20:23], v11 offset:512
	ds_read2_b32 v[34:35], v10 offset0:32 offset1:48
	ds_read2_b32 v[36:37], v10 offset0:64 offset1:80
	;; [unrolled: 1-line block ×3, first 2 shown]
	ds_read_b128 v[24:27], v11 offset:16
	ds_read2_b32 v[40:41], v10 offset0:128 offset1:144
	ds_read_b128 v[28:31], v11 offset:528
	v_add_co_u32 v2, s1, v2, s2
	v_add_co_ci_u32_e64 v3, null, s3, v3, s1
	v_add_co_u32 v4, s1, v4, 32
	v_add_co_ci_u32_e64 v5, null, 0, v5, s1
	s_add_i32 s10, s10, 8
	s_cmp_lt_i32 s10, s13
	s_waitcnt lgkmcnt(7)
	v_fmac_f32_e32 v12, v32, v16
	v_fmac_f32_e32 v8, v33, v16
	s_waitcnt lgkmcnt(6)
	v_fmac_f32_e32 v7, v32, v20
	v_fmac_f32_e32 v6, v33, v20
	ds_read2_b32 v[32:33], v10 offset0:160 offset1:176
	s_waitcnt lgkmcnt(6)
	v_fmac_f32_e32 v12, v34, v17
	v_fmac_f32_e32 v8, v35, v17
	v_fmac_f32_e32 v7, v34, v21
	v_fmac_f32_e32 v6, v35, v21
	ds_read2_b32 v[16:17], v10 offset0:192 offset1:208
	s_waitcnt lgkmcnt(6)
	v_fmac_f32_e32 v12, v36, v18
	v_fmac_f32_e32 v8, v37, v18
	v_fmac_f32_e32 v7, v36, v22
	v_fmac_f32_e32 v6, v37, v22
	ds_read2_b32 v[20:21], v10 offset0:224 offset1:240
	s_waitcnt lgkmcnt(6)
	v_fmac_f32_e32 v12, v38, v19
	v_fmac_f32_e32 v8, v39, v19
	v_fmac_f32_e32 v7, v38, v23
	v_fmac_f32_e32 v6, v39, v23
	s_waitcnt lgkmcnt(0)
	v_fmac_f32_e32 v12, v40, v24
	v_fmac_f32_e32 v8, v41, v24
	;; [unrolled: 1-line block ×4, first 2 shown]
	s_barrier
	v_fmac_f32_e32 v12, v32, v25
	v_fmac_f32_e32 v8, v33, v25
	;; [unrolled: 1-line block ×4, first 2 shown]
	buffer_gl0_inv
	v_fmac_f32_e32 v12, v16, v26
	v_fmac_f32_e32 v8, v17, v26
	;; [unrolled: 1-line block ×8, first 2 shown]
	s_cbranch_scc0 .LBB18_10
.LBB18_6:                               ; =>This Inner Loop Header: Depth=1
	v_add_nc_u32_e32 v16, s10, v13
	v_cmp_gt_i32_e64 s1, s13, v16
	v_mov_b32_e32 v16, 0
	s_and_b32 s11, vcc_lo, s1
	s_and_saveexec_b32 s1, s11
	s_cbranch_execz .LBB18_8
; %bb.7:                                ;   in Loop: Header=BB18_6 Depth=1
	global_load_dword v16, v[2:3], off
.LBB18_8:                               ;   in Loop: Header=BB18_6 Depth=1
	s_or_b32 exec_lo, exec_lo, s1
	v_add_nc_u32_e32 v17, s10, v9
	s_waitcnt vmcnt(0)
	ds_write_b32 v14, v16
	v_cmp_gt_i32_e64 s1, s13, v17
	v_mov_b32_e32 v17, 0
	s_and_b32 s11, s1, s0
	s_and_saveexec_b32 s1, s11
	s_cbranch_execz .LBB18_5
; %bb.9:                                ;   in Loop: Header=BB18_6 Depth=1
	global_load_dword v17, v[4:5], off
	s_branch .LBB18_5
.LBB18_10:
	s_clause 0x2
	s_load_dword s2, s[4:5], 0x50
	s_load_dwordx2 s[10:11], s[4:5], 0x58
	s_load_dwordx2 s[4:5], s[4:5], 0x48
	v_add_nc_u32_e32 v10, s7, v1
	v_add_nc_u32_e32 v0, s6, v0
	v_cmp_gt_i32_e64 s0, s12, v10
	v_cmp_le_i32_e32 vcc_lo, v0, v10
	s_waitcnt lgkmcnt(0)
	v_mad_i64_i32 v[1:2], null, v10, s2, 0
	s_mul_i32 s1, s11, s8
	s_mul_hi_u32 s3, s10, s8
	s_mul_i32 s6, s10, s8
	s_add_i32 s7, s3, s1
	s_lshl_b64 s[6:7], s[6:7], 2
	v_lshlrev_b64 v[2:3], 2, v[1:2]
	s_add_u32 s3, s4, s6
	s_addc_u32 s4, s5, s7
	v_cmp_neq_f32_e64 s5, s9, 0
	v_ashrrev_i32_e32 v1, 31, v0
	s_and_b32 s6, s0, vcc_lo
	v_add_co_u32 v4, s1, s3, v2
	v_add_co_ci_u32_e64 v5, null, s4, v3, s1
	v_cndmask_b32_e64 v9, 0, 1, s5
	s_and_saveexec_b32 s1, s6
	s_cbranch_execz .LBB18_14
; %bb.11:
	v_lshlrev_b64 v[2:3], 2, v[0:1]
	v_mul_f32_e32 v11, s14, v12
	v_add_co_u32 v2, vcc_lo, v4, v2
	v_add_co_ci_u32_e64 v3, null, v5, v3, vcc_lo
	s_andn2_b32 vcc_lo, exec_lo, s5
	s_cbranch_vccnz .LBB18_13
; %bb.12:
	global_load_dword v12, v[2:3], off
	s_waitcnt vmcnt(0)
	v_fmac_f32_e32 v11, s9, v12
.LBB18_13:
	global_store_dword v[2:3], v11, off
.LBB18_14:
	s_or_b32 exec_lo, exec_lo, s1
	v_add_nc_u32_e32 v2, 16, v0
	v_cmp_le_i32_e32 vcc_lo, v2, v10
	v_ashrrev_i32_e32 v3, 31, v2
	s_and_b32 s0, s0, vcc_lo
	s_and_saveexec_b32 s1, s0
	s_cbranch_execz .LBB18_18
; %bb.15:
	v_lshlrev_b64 v[11:12], 2, v[2:3]
	v_cmp_ne_u32_e32 vcc_lo, 1, v9
	v_mul_f32_e32 v8, s14, v8
	v_add_co_u32 v4, s0, v4, v11
	v_add_co_ci_u32_e64 v5, null, v5, v12, s0
	s_cbranch_vccnz .LBB18_17
; %bb.16:
	global_load_dword v11, v[4:5], off
	s_waitcnt vmcnt(0)
	v_fmac_f32_e32 v8, s9, v11
.LBB18_17:
	global_store_dword v[4:5], v8, off
.LBB18_18:
	s_or_b32 exec_lo, exec_lo, s1
	v_add_nc_u32_e32 v8, 16, v10
	v_mad_i64_i32 v[4:5], null, v8, s2, 0
	v_cmp_gt_i32_e64 s0, s12, v8
	v_cmp_le_i32_e32 vcc_lo, v0, v8
	v_lshlrev_b64 v[4:5], 2, v[4:5]
	v_add_co_u32 v4, s1, s3, v4
	v_add_co_ci_u32_e64 v5, null, s4, v5, s1
	s_and_b32 s1, s0, vcc_lo
	s_and_saveexec_b32 s2, s1
	s_cbranch_execz .LBB18_22
; %bb.19:
	v_lshlrev_b64 v[0:1], 2, v[0:1]
	v_cmp_ne_u32_e32 vcc_lo, 1, v9
	v_mul_f32_e32 v7, s14, v7
	v_add_co_u32 v0, s1, v4, v0
	v_add_co_ci_u32_e64 v1, null, v5, v1, s1
	s_cbranch_vccnz .LBB18_21
; %bb.20:
	global_load_dword v10, v[0:1], off
	s_waitcnt vmcnt(0)
	v_fmac_f32_e32 v7, s9, v10
.LBB18_21:
	global_store_dword v[0:1], v7, off
.LBB18_22:
	s_or_b32 exec_lo, exec_lo, s2
	v_cmp_le_i32_e32 vcc_lo, v2, v8
	s_and_b32 s0, s0, vcc_lo
	s_and_saveexec_b32 s1, s0
	s_cbranch_execz .LBB18_26
; %bb.23:
	v_lshlrev_b64 v[0:1], 2, v[2:3]
	v_cmp_ne_u32_e32 vcc_lo, 1, v9
	v_mul_f32_e32 v2, s14, v6
	v_add_co_u32 v0, s0, v4, v0
	v_add_co_ci_u32_e64 v1, null, v5, v1, s0
	s_cbranch_vccnz .LBB18_25
; %bb.24:
	global_load_dword v3, v[0:1], off
	s_waitcnt vmcnt(0)
	v_fmac_f32_e32 v2, s9, v3
.LBB18_25:
	global_store_dword v[0:1], v2, off
.LBB18_26:
	s_endpgm
	.section	.rodata,"a",@progbits
	.p2align	6, 0x0
	.amdhsa_kernel _ZL29rocblas_internal_gemmt_kernelIiLi16ELi32ELi8ELc78ELc78ELc85ELb0ELb0EffPKfPfEviT_T9_T10_S3_lS5_S3_lS4_T11_S3_li
		.amdhsa_group_segment_fixed_size 2048
		.amdhsa_private_segment_fixed_size 0
		.amdhsa_kernarg_size 100
		.amdhsa_user_sgpr_count 6
		.amdhsa_user_sgpr_private_segment_buffer 1
		.amdhsa_user_sgpr_dispatch_ptr 0
		.amdhsa_user_sgpr_queue_ptr 0
		.amdhsa_user_sgpr_kernarg_segment_ptr 1
		.amdhsa_user_sgpr_dispatch_id 0
		.amdhsa_user_sgpr_flat_scratch_init 0
		.amdhsa_user_sgpr_private_segment_size 0
		.amdhsa_wavefront_size32 1
		.amdhsa_uses_dynamic_stack 0
		.amdhsa_system_sgpr_private_segment_wavefront_offset 0
		.amdhsa_system_sgpr_workgroup_id_x 1
		.amdhsa_system_sgpr_workgroup_id_y 1
		.amdhsa_system_sgpr_workgroup_id_z 1
		.amdhsa_system_sgpr_workgroup_info 0
		.amdhsa_system_vgpr_workitem_id 1
		.amdhsa_next_free_vgpr 42
		.amdhsa_next_free_sgpr 24
		.amdhsa_reserve_vcc 1
		.amdhsa_reserve_flat_scratch 0
		.amdhsa_float_round_mode_32 0
		.amdhsa_float_round_mode_16_64 0
		.amdhsa_float_denorm_mode_32 3
		.amdhsa_float_denorm_mode_16_64 3
		.amdhsa_dx10_clamp 1
		.amdhsa_ieee_mode 1
		.amdhsa_fp16_overflow 0
		.amdhsa_workgroup_processor_mode 1
		.amdhsa_memory_ordered 1
		.amdhsa_forward_progress 1
		.amdhsa_shared_vgpr_count 0
		.amdhsa_exception_fp_ieee_invalid_op 0
		.amdhsa_exception_fp_denorm_src 0
		.amdhsa_exception_fp_ieee_div_zero 0
		.amdhsa_exception_fp_ieee_overflow 0
		.amdhsa_exception_fp_ieee_underflow 0
		.amdhsa_exception_fp_ieee_inexact 0
		.amdhsa_exception_int_div_zero 0
	.end_amdhsa_kernel
	.section	.text._ZL29rocblas_internal_gemmt_kernelIiLi16ELi32ELi8ELc78ELc78ELc85ELb0ELb0EffPKfPfEviT_T9_T10_S3_lS5_S3_lS4_T11_S3_li,"axG",@progbits,_ZL29rocblas_internal_gemmt_kernelIiLi16ELi32ELi8ELc78ELc78ELc85ELb0ELb0EffPKfPfEviT_T9_T10_S3_lS5_S3_lS4_T11_S3_li,comdat
.Lfunc_end18:
	.size	_ZL29rocblas_internal_gemmt_kernelIiLi16ELi32ELi8ELc78ELc78ELc85ELb0ELb0EffPKfPfEviT_T9_T10_S3_lS5_S3_lS4_T11_S3_li, .Lfunc_end18-_ZL29rocblas_internal_gemmt_kernelIiLi16ELi32ELi8ELc78ELc78ELc85ELb0ELb0EffPKfPfEviT_T9_T10_S3_lS5_S3_lS4_T11_S3_li
                                        ; -- End function
	.set _ZL29rocblas_internal_gemmt_kernelIiLi16ELi32ELi8ELc78ELc78ELc85ELb0ELb0EffPKfPfEviT_T9_T10_S3_lS5_S3_lS4_T11_S3_li.num_vgpr, 42
	.set _ZL29rocblas_internal_gemmt_kernelIiLi16ELi32ELi8ELc78ELc78ELc85ELb0ELb0EffPKfPfEviT_T9_T10_S3_lS5_S3_lS4_T11_S3_li.num_agpr, 0
	.set _ZL29rocblas_internal_gemmt_kernelIiLi16ELi32ELi8ELc78ELc78ELc85ELb0ELb0EffPKfPfEviT_T9_T10_S3_lS5_S3_lS4_T11_S3_li.numbered_sgpr, 24
	.set _ZL29rocblas_internal_gemmt_kernelIiLi16ELi32ELi8ELc78ELc78ELc85ELb0ELb0EffPKfPfEviT_T9_T10_S3_lS5_S3_lS4_T11_S3_li.num_named_barrier, 0
	.set _ZL29rocblas_internal_gemmt_kernelIiLi16ELi32ELi8ELc78ELc78ELc85ELb0ELb0EffPKfPfEviT_T9_T10_S3_lS5_S3_lS4_T11_S3_li.private_seg_size, 0
	.set _ZL29rocblas_internal_gemmt_kernelIiLi16ELi32ELi8ELc78ELc78ELc85ELb0ELb0EffPKfPfEviT_T9_T10_S3_lS5_S3_lS4_T11_S3_li.uses_vcc, 1
	.set _ZL29rocblas_internal_gemmt_kernelIiLi16ELi32ELi8ELc78ELc78ELc85ELb0ELb0EffPKfPfEviT_T9_T10_S3_lS5_S3_lS4_T11_S3_li.uses_flat_scratch, 0
	.set _ZL29rocblas_internal_gemmt_kernelIiLi16ELi32ELi8ELc78ELc78ELc85ELb0ELb0EffPKfPfEviT_T9_T10_S3_lS5_S3_lS4_T11_S3_li.has_dyn_sized_stack, 0
	.set _ZL29rocblas_internal_gemmt_kernelIiLi16ELi32ELi8ELc78ELc78ELc85ELb0ELb0EffPKfPfEviT_T9_T10_S3_lS5_S3_lS4_T11_S3_li.has_recursion, 0
	.set _ZL29rocblas_internal_gemmt_kernelIiLi16ELi32ELi8ELc78ELc78ELc85ELb0ELb0EffPKfPfEviT_T9_T10_S3_lS5_S3_lS4_T11_S3_li.has_indirect_call, 0
	.section	.AMDGPU.csdata,"",@progbits
; Kernel info:
; codeLenInByte = 1408
; TotalNumSgprs: 26
; NumVgprs: 42
; ScratchSize: 0
; MemoryBound: 0
; FloatMode: 240
; IeeeMode: 1
; LDSByteSize: 2048 bytes/workgroup (compile time only)
; SGPRBlocks: 0
; VGPRBlocks: 5
; NumSGPRsForWavesPerEU: 26
; NumVGPRsForWavesPerEU: 42
; Occupancy: 16
; WaveLimiterHint : 0
; COMPUTE_PGM_RSRC2:SCRATCH_EN: 0
; COMPUTE_PGM_RSRC2:USER_SGPR: 6
; COMPUTE_PGM_RSRC2:TRAP_HANDLER: 0
; COMPUTE_PGM_RSRC2:TGID_X_EN: 1
; COMPUTE_PGM_RSRC2:TGID_Y_EN: 1
; COMPUTE_PGM_RSRC2:TGID_Z_EN: 1
; COMPUTE_PGM_RSRC2:TIDIG_COMP_CNT: 1
	.section	.text._ZL29rocblas_internal_gemmt_kernelIiLi16ELi32ELi8ELc78ELc84ELc85ELb0ELb0EffPKfPfEviT_T9_T10_S3_lS5_S3_lS4_T11_S3_li,"axG",@progbits,_ZL29rocblas_internal_gemmt_kernelIiLi16ELi32ELi8ELc78ELc84ELc85ELb0ELb0EffPKfPfEviT_T9_T10_S3_lS5_S3_lS4_T11_S3_li,comdat
	.globl	_ZL29rocblas_internal_gemmt_kernelIiLi16ELi32ELi8ELc78ELc84ELc85ELb0ELb0EffPKfPfEviT_T9_T10_S3_lS5_S3_lS4_T11_S3_li ; -- Begin function _ZL29rocblas_internal_gemmt_kernelIiLi16ELi32ELi8ELc78ELc84ELc85ELb0ELb0EffPKfPfEviT_T9_T10_S3_lS5_S3_lS4_T11_S3_li
	.p2align	8
	.type	_ZL29rocblas_internal_gemmt_kernelIiLi16ELi32ELi8ELc78ELc84ELc85ELb0ELb0EffPKfPfEviT_T9_T10_S3_lS5_S3_lS4_T11_S3_li,@function
_ZL29rocblas_internal_gemmt_kernelIiLi16ELi32ELi8ELc78ELc84ELc85ELb0ELb0EffPKfPfEviT_T9_T10_S3_lS5_S3_lS4_T11_S3_li: ; @_ZL29rocblas_internal_gemmt_kernelIiLi16ELi32ELi8ELc78ELc84ELc85ELb0ELb0EffPKfPfEviT_T9_T10_S3_lS5_S3_lS4_T11_S3_li
; %bb.0:
	s_clause 0x1
	s_load_dword s9, s[4:5], 0x40
	s_load_dwordx4 s[12:15], s[4:5], 0x0
	s_waitcnt lgkmcnt(0)
	v_cmp_neq_f32_e64 s0, s9, 1.0
	s_and_b32 vcc_lo, exec_lo, s0
	s_cbranch_vccnz .LBB19_2
; %bb.1:
	v_cmp_neq_f32_e64 s0, s14, 0
	s_cmp_lg_u32 s13, 0
	s_cselect_b32 s1, -1, 0
	s_and_b32 s0, s1, s0
.LBB19_2:
	s_andn2_b32 vcc_lo, exec_lo, s0
	s_cbranch_vccnz .LBB19_26
; %bb.3:
	s_lshl_b32 s10, s6, 5
	s_lshl_b32 s11, s7, 5
	v_cmp_eq_f32_e64 s0, s14, 0
	s_cmp_lt_i32 s13, 1
	v_mov_b32_e32 v13, 0
	s_cselect_b32 s1, -1, 0
	v_mov_b32_e32 v8, 0
	v_mov_b32_e32 v7, 0
	;; [unrolled: 1-line block ×3, first 2 shown]
	s_or_b32 s0, s0, s1
	s_mov_b32 s15, 0
	s_and_b32 vcc_lo, exec_lo, s0
	s_cbranch_vccnz .LBB19_10
; %bb.4:
	s_clause 0x1
	s_load_dword s2, s[4:5], 0x18
	s_load_dwordx2 s[6:7], s[4:5], 0x10
	v_lshl_add_u32 v2, v1, 4, v0
	s_clause 0x1
	s_load_dwordx4 s[16:19], s[4:5], 0x20
	s_load_dword s20, s[4:5], 0x30
	v_and_b32_e32 v9, 7, v0
	s_load_dwordx2 s[22:23], s[4:5], 0x38
	v_and_b32_e32 v6, 31, v2
	v_lshrrev_b32_e32 v3, 3, v2
	v_lshrrev_b32_e32 v10, 5, v2
	v_lshlrev_b32_e32 v4, 2, v9
	v_lshlrev_b32_e32 v14, 2, v0
	v_or_b32_e32 v5, s10, v6
	v_add_nc_u32_e32 v2, s11, v3
	v_lshlrev_b32_e32 v7, 2, v6
	v_lshl_or_b32 v3, v3, 5, v4
	v_add_nc_u32_e32 v6, s10, v6
	v_cmp_gt_i32_e32 vcc_lo, s12, v5
	v_cmp_gt_i32_e64 s0, s12, v2
	v_lshl_or_b32 v11, v10, 7, v7
	s_waitcnt lgkmcnt(0)
	v_mad_i64_i32 v[4:5], null, v10, s2, 0
	v_ashrrev_i32_e32 v7, 31, v6
	s_mul_i32 s1, s17, s8
	s_mul_hi_u32 s17, s16, s8
	v_mad_i64_i32 v[16:17], null, s20, v9, 0
	s_add_i32 s17, s17, s1
	v_lshlrev_b64 v[4:5], 2, v[4:5]
	s_mul_i32 s16, s16, s8
	v_add_nc_u32_e32 v12, 0x400, v3
	s_lshl_b64 s[16:17], s[16:17], 2
	v_ashrrev_i32_e32 v3, 31, v2
	v_lshlrev_b64 v[6:7], 2, v[6:7]
	v_add_co_u32 v8, s1, v4, s16
	v_add_co_ci_u32_e64 v13, null, s17, v5, s1
	s_mul_i32 s1, s23, s8
	s_mul_hi_u32 s16, s22, s8
	v_lshlrev_b64 v[4:5], 2, v[16:17]
	s_add_i32 s17, s16, s1
	s_mul_i32 s16, s22, s8
	v_lshlrev_b64 v[2:3], 2, v[2:3]
	s_lshl_b64 s[16:17], s[16:17], 2
	v_lshl_add_u32 v15, v1, 5, 0x400
	v_add_co_u32 v4, s1, s16, v4
	v_add_co_ci_u32_e64 v5, null, s17, v5, s1
	v_add_co_u32 v6, s1, v8, v6
	v_add_co_ci_u32_e64 v7, null, v13, v7, s1
	;; [unrolled: 2-line block ×5, first 2 shown]
	v_mov_b32_e32 v6, 0
	v_mov_b32_e32 v7, 0
	v_mov_b32_e32 v8, 0
	v_mov_b32_e32 v13, 0
	s_ashr_i32 s3, s2, 31
	s_ashr_i32 s21, s20, 31
	s_lshl_b64 s[2:3], s[2:3], 5
	s_lshl_b64 s[6:7], s[20:21], 5
	s_branch .LBB19_6
.LBB19_5:                               ;   in Loop: Header=BB19_6 Depth=1
	s_or_b32 exec_lo, exec_lo, s1
	s_waitcnt vmcnt(0)
	ds_write_b32 v12, v17
	s_waitcnt lgkmcnt(0)
	s_barrier
	buffer_gl0_inv
	ds_read_b128 v[16:19], v15
	ds_read2_b32 v[32:33], v14 offset1:16
	ds_read_b128 v[20:23], v15 offset:512
	ds_read2_b32 v[34:35], v14 offset0:32 offset1:48
	ds_read2_b32 v[36:37], v14 offset0:64 offset1:80
	;; [unrolled: 1-line block ×3, first 2 shown]
	ds_read_b128 v[24:27], v15 offset:16
	ds_read2_b32 v[40:41], v14 offset0:128 offset1:144
	ds_read_b128 v[28:31], v15 offset:528
	v_add_co_u32 v2, s1, v2, s2
	v_add_co_ci_u32_e64 v3, null, s3, v3, s1
	v_add_co_u32 v4, s1, v4, s6
	v_add_co_ci_u32_e64 v5, null, s7, v5, s1
	s_add_i32 s15, s15, 8
	s_cmp_lt_i32 s15, s13
	s_waitcnt lgkmcnt(7)
	v_fmac_f32_e32 v13, v32, v16
	v_fmac_f32_e32 v8, v33, v16
	s_waitcnt lgkmcnt(6)
	v_fmac_f32_e32 v7, v32, v20
	v_fmac_f32_e32 v6, v33, v20
	ds_read2_b32 v[32:33], v14 offset0:160 offset1:176
	s_waitcnt lgkmcnt(6)
	v_fmac_f32_e32 v13, v34, v17
	v_fmac_f32_e32 v8, v35, v17
	v_fmac_f32_e32 v7, v34, v21
	v_fmac_f32_e32 v6, v35, v21
	ds_read2_b32 v[16:17], v14 offset0:192 offset1:208
	s_waitcnt lgkmcnt(6)
	v_fmac_f32_e32 v13, v36, v18
	v_fmac_f32_e32 v8, v37, v18
	;; [unrolled: 6-line block ×3, first 2 shown]
	v_fmac_f32_e32 v7, v38, v23
	v_fmac_f32_e32 v6, v39, v23
	s_waitcnt lgkmcnt(0)
	v_fmac_f32_e32 v13, v40, v24
	v_fmac_f32_e32 v8, v41, v24
	;; [unrolled: 1-line block ×4, first 2 shown]
	s_barrier
	v_fmac_f32_e32 v13, v32, v25
	v_fmac_f32_e32 v8, v33, v25
	;; [unrolled: 1-line block ×4, first 2 shown]
	buffer_gl0_inv
	v_fmac_f32_e32 v13, v16, v26
	v_fmac_f32_e32 v8, v17, v26
	;; [unrolled: 1-line block ×8, first 2 shown]
	s_cbranch_scc0 .LBB19_10
.LBB19_6:                               ; =>This Inner Loop Header: Depth=1
	v_add_nc_u32_e32 v16, s15, v10
	v_cmp_gt_i32_e64 s1, s13, v16
	v_mov_b32_e32 v16, 0
	s_and_b32 s16, vcc_lo, s1
	s_and_saveexec_b32 s1, s16
	s_cbranch_execz .LBB19_8
; %bb.7:                                ;   in Loop: Header=BB19_6 Depth=1
	global_load_dword v16, v[2:3], off
.LBB19_8:                               ;   in Loop: Header=BB19_6 Depth=1
	s_or_b32 exec_lo, exec_lo, s1
	v_add_nc_u32_e32 v17, s15, v9
	s_waitcnt vmcnt(0)
	ds_write_b32 v11, v16
	v_cmp_gt_i32_e64 s1, s13, v17
	v_mov_b32_e32 v17, 0
	s_and_b32 s16, s1, s0
	s_and_saveexec_b32 s1, s16
	s_cbranch_execz .LBB19_5
; %bb.9:                                ;   in Loop: Header=BB19_6 Depth=1
	global_load_dword v17, v[4:5], off
	s_branch .LBB19_5
.LBB19_10:
	s_clause 0x2
	s_load_dword s2, s[4:5], 0x50
	s_load_dwordx2 s[6:7], s[4:5], 0x58
	s_load_dwordx2 s[4:5], s[4:5], 0x48
	v_add_nc_u32_e32 v10, s11, v1
	v_add_nc_u32_e32 v0, s10, v0
	v_cmp_gt_i32_e64 s0, s12, v10
	v_cmp_le_i32_e32 vcc_lo, v0, v10
	s_waitcnt lgkmcnt(0)
	v_mad_i64_i32 v[1:2], null, v10, s2, 0
	s_mul_i32 s1, s7, s8
	s_mul_hi_u32 s3, s6, s8
	s_mul_i32 s6, s6, s8
	s_add_i32 s7, s3, s1
	s_lshl_b64 s[6:7], s[6:7], 2
	v_lshlrev_b64 v[2:3], 2, v[1:2]
	s_add_u32 s3, s4, s6
	s_addc_u32 s4, s5, s7
	v_cmp_neq_f32_e64 s5, s9, 0
	v_ashrrev_i32_e32 v1, 31, v0
	s_and_b32 s6, s0, vcc_lo
	v_add_co_u32 v4, s1, s3, v2
	v_add_co_ci_u32_e64 v5, null, s4, v3, s1
	v_cndmask_b32_e64 v9, 0, 1, s5
	s_and_saveexec_b32 s1, s6
	s_cbranch_execz .LBB19_14
; %bb.11:
	v_lshlrev_b64 v[2:3], 2, v[0:1]
	v_mul_f32_e32 v11, s14, v13
	v_add_co_u32 v2, vcc_lo, v4, v2
	v_add_co_ci_u32_e64 v3, null, v5, v3, vcc_lo
	s_andn2_b32 vcc_lo, exec_lo, s5
	s_cbranch_vccnz .LBB19_13
; %bb.12:
	global_load_dword v12, v[2:3], off
	s_waitcnt vmcnt(0)
	v_fmac_f32_e32 v11, s9, v12
.LBB19_13:
	global_store_dword v[2:3], v11, off
.LBB19_14:
	s_or_b32 exec_lo, exec_lo, s1
	v_add_nc_u32_e32 v2, 16, v0
	v_cmp_le_i32_e32 vcc_lo, v2, v10
	v_ashrrev_i32_e32 v3, 31, v2
	s_and_b32 s0, s0, vcc_lo
	s_and_saveexec_b32 s1, s0
	s_cbranch_execz .LBB19_18
; %bb.15:
	v_lshlrev_b64 v[11:12], 2, v[2:3]
	v_cmp_ne_u32_e32 vcc_lo, 1, v9
	v_mul_f32_e32 v8, s14, v8
	v_add_co_u32 v4, s0, v4, v11
	v_add_co_ci_u32_e64 v5, null, v5, v12, s0
	s_cbranch_vccnz .LBB19_17
; %bb.16:
	global_load_dword v11, v[4:5], off
	s_waitcnt vmcnt(0)
	v_fmac_f32_e32 v8, s9, v11
.LBB19_17:
	global_store_dword v[4:5], v8, off
.LBB19_18:
	s_or_b32 exec_lo, exec_lo, s1
	v_add_nc_u32_e32 v8, 16, v10
	v_mad_i64_i32 v[4:5], null, v8, s2, 0
	v_cmp_gt_i32_e64 s0, s12, v8
	v_cmp_le_i32_e32 vcc_lo, v0, v8
	v_lshlrev_b64 v[4:5], 2, v[4:5]
	v_add_co_u32 v4, s1, s3, v4
	v_add_co_ci_u32_e64 v5, null, s4, v5, s1
	s_and_b32 s1, s0, vcc_lo
	s_and_saveexec_b32 s2, s1
	s_cbranch_execz .LBB19_22
; %bb.19:
	v_lshlrev_b64 v[0:1], 2, v[0:1]
	v_cmp_ne_u32_e32 vcc_lo, 1, v9
	v_mul_f32_e32 v7, s14, v7
	v_add_co_u32 v0, s1, v4, v0
	v_add_co_ci_u32_e64 v1, null, v5, v1, s1
	s_cbranch_vccnz .LBB19_21
; %bb.20:
	global_load_dword v10, v[0:1], off
	s_waitcnt vmcnt(0)
	v_fmac_f32_e32 v7, s9, v10
.LBB19_21:
	global_store_dword v[0:1], v7, off
.LBB19_22:
	s_or_b32 exec_lo, exec_lo, s2
	v_cmp_le_i32_e32 vcc_lo, v2, v8
	s_and_b32 s0, s0, vcc_lo
	s_and_saveexec_b32 s1, s0
	s_cbranch_execz .LBB19_26
; %bb.23:
	v_lshlrev_b64 v[0:1], 2, v[2:3]
	v_cmp_ne_u32_e32 vcc_lo, 1, v9
	v_mul_f32_e32 v2, s14, v6
	v_add_co_u32 v0, s0, v4, v0
	v_add_co_ci_u32_e64 v1, null, v5, v1, s0
	s_cbranch_vccnz .LBB19_25
; %bb.24:
	global_load_dword v3, v[0:1], off
	s_waitcnt vmcnt(0)
	v_fmac_f32_e32 v2, s9, v3
.LBB19_25:
	global_store_dword v[0:1], v2, off
.LBB19_26:
	s_endpgm
	.section	.rodata,"a",@progbits
	.p2align	6, 0x0
	.amdhsa_kernel _ZL29rocblas_internal_gemmt_kernelIiLi16ELi32ELi8ELc78ELc84ELc85ELb0ELb0EffPKfPfEviT_T9_T10_S3_lS5_S3_lS4_T11_S3_li
		.amdhsa_group_segment_fixed_size 2048
		.amdhsa_private_segment_fixed_size 0
		.amdhsa_kernarg_size 100
		.amdhsa_user_sgpr_count 6
		.amdhsa_user_sgpr_private_segment_buffer 1
		.amdhsa_user_sgpr_dispatch_ptr 0
		.amdhsa_user_sgpr_queue_ptr 0
		.amdhsa_user_sgpr_kernarg_segment_ptr 1
		.amdhsa_user_sgpr_dispatch_id 0
		.amdhsa_user_sgpr_flat_scratch_init 0
		.amdhsa_user_sgpr_private_segment_size 0
		.amdhsa_wavefront_size32 1
		.amdhsa_uses_dynamic_stack 0
		.amdhsa_system_sgpr_private_segment_wavefront_offset 0
		.amdhsa_system_sgpr_workgroup_id_x 1
		.amdhsa_system_sgpr_workgroup_id_y 1
		.amdhsa_system_sgpr_workgroup_id_z 1
		.amdhsa_system_sgpr_workgroup_info 0
		.amdhsa_system_vgpr_workitem_id 1
		.amdhsa_next_free_vgpr 42
		.amdhsa_next_free_sgpr 24
		.amdhsa_reserve_vcc 1
		.amdhsa_reserve_flat_scratch 0
		.amdhsa_float_round_mode_32 0
		.amdhsa_float_round_mode_16_64 0
		.amdhsa_float_denorm_mode_32 3
		.amdhsa_float_denorm_mode_16_64 3
		.amdhsa_dx10_clamp 1
		.amdhsa_ieee_mode 1
		.amdhsa_fp16_overflow 0
		.amdhsa_workgroup_processor_mode 1
		.amdhsa_memory_ordered 1
		.amdhsa_forward_progress 1
		.amdhsa_shared_vgpr_count 0
		.amdhsa_exception_fp_ieee_invalid_op 0
		.amdhsa_exception_fp_denorm_src 0
		.amdhsa_exception_fp_ieee_div_zero 0
		.amdhsa_exception_fp_ieee_overflow 0
		.amdhsa_exception_fp_ieee_underflow 0
		.amdhsa_exception_fp_ieee_inexact 0
		.amdhsa_exception_int_div_zero 0
	.end_amdhsa_kernel
	.section	.text._ZL29rocblas_internal_gemmt_kernelIiLi16ELi32ELi8ELc78ELc84ELc85ELb0ELb0EffPKfPfEviT_T9_T10_S3_lS5_S3_lS4_T11_S3_li,"axG",@progbits,_ZL29rocblas_internal_gemmt_kernelIiLi16ELi32ELi8ELc78ELc84ELc85ELb0ELb0EffPKfPfEviT_T9_T10_S3_lS5_S3_lS4_T11_S3_li,comdat
.Lfunc_end19:
	.size	_ZL29rocblas_internal_gemmt_kernelIiLi16ELi32ELi8ELc78ELc84ELc85ELb0ELb0EffPKfPfEviT_T9_T10_S3_lS5_S3_lS4_T11_S3_li, .Lfunc_end19-_ZL29rocblas_internal_gemmt_kernelIiLi16ELi32ELi8ELc78ELc84ELc85ELb0ELb0EffPKfPfEviT_T9_T10_S3_lS5_S3_lS4_T11_S3_li
                                        ; -- End function
	.set _ZL29rocblas_internal_gemmt_kernelIiLi16ELi32ELi8ELc78ELc84ELc85ELb0ELb0EffPKfPfEviT_T9_T10_S3_lS5_S3_lS4_T11_S3_li.num_vgpr, 42
	.set _ZL29rocblas_internal_gemmt_kernelIiLi16ELi32ELi8ELc78ELc84ELc85ELb0ELb0EffPKfPfEviT_T9_T10_S3_lS5_S3_lS4_T11_S3_li.num_agpr, 0
	.set _ZL29rocblas_internal_gemmt_kernelIiLi16ELi32ELi8ELc78ELc84ELc85ELb0ELb0EffPKfPfEviT_T9_T10_S3_lS5_S3_lS4_T11_S3_li.numbered_sgpr, 24
	.set _ZL29rocblas_internal_gemmt_kernelIiLi16ELi32ELi8ELc78ELc84ELc85ELb0ELb0EffPKfPfEviT_T9_T10_S3_lS5_S3_lS4_T11_S3_li.num_named_barrier, 0
	.set _ZL29rocblas_internal_gemmt_kernelIiLi16ELi32ELi8ELc78ELc84ELc85ELb0ELb0EffPKfPfEviT_T9_T10_S3_lS5_S3_lS4_T11_S3_li.private_seg_size, 0
	.set _ZL29rocblas_internal_gemmt_kernelIiLi16ELi32ELi8ELc78ELc84ELc85ELb0ELb0EffPKfPfEviT_T9_T10_S3_lS5_S3_lS4_T11_S3_li.uses_vcc, 1
	.set _ZL29rocblas_internal_gemmt_kernelIiLi16ELi32ELi8ELc78ELc84ELc85ELb0ELb0EffPKfPfEviT_T9_T10_S3_lS5_S3_lS4_T11_S3_li.uses_flat_scratch, 0
	.set _ZL29rocblas_internal_gemmt_kernelIiLi16ELi32ELi8ELc78ELc84ELc85ELb0ELb0EffPKfPfEviT_T9_T10_S3_lS5_S3_lS4_T11_S3_li.has_dyn_sized_stack, 0
	.set _ZL29rocblas_internal_gemmt_kernelIiLi16ELi32ELi8ELc78ELc84ELc85ELb0ELb0EffPKfPfEviT_T9_T10_S3_lS5_S3_lS4_T11_S3_li.has_recursion, 0
	.set _ZL29rocblas_internal_gemmt_kernelIiLi16ELi32ELi8ELc78ELc84ELc85ELb0ELb0EffPKfPfEviT_T9_T10_S3_lS5_S3_lS4_T11_S3_li.has_indirect_call, 0
	.section	.AMDGPU.csdata,"",@progbits
; Kernel info:
; codeLenInByte = 1428
; TotalNumSgprs: 26
; NumVgprs: 42
; ScratchSize: 0
; MemoryBound: 0
; FloatMode: 240
; IeeeMode: 1
; LDSByteSize: 2048 bytes/workgroup (compile time only)
; SGPRBlocks: 0
; VGPRBlocks: 5
; NumSGPRsForWavesPerEU: 26
; NumVGPRsForWavesPerEU: 42
; Occupancy: 16
; WaveLimiterHint : 0
; COMPUTE_PGM_RSRC2:SCRATCH_EN: 0
; COMPUTE_PGM_RSRC2:USER_SGPR: 6
; COMPUTE_PGM_RSRC2:TRAP_HANDLER: 0
; COMPUTE_PGM_RSRC2:TGID_X_EN: 1
; COMPUTE_PGM_RSRC2:TGID_Y_EN: 1
; COMPUTE_PGM_RSRC2:TGID_Z_EN: 1
; COMPUTE_PGM_RSRC2:TIDIG_COMP_CNT: 1
	.section	.text._ZL29rocblas_internal_gemmt_kernelIiLi16ELi32ELi8ELc78ELc67ELc85ELb0ELb0EffPKfPfEviT_T9_T10_S3_lS5_S3_lS4_T11_S3_li,"axG",@progbits,_ZL29rocblas_internal_gemmt_kernelIiLi16ELi32ELi8ELc78ELc67ELc85ELb0ELb0EffPKfPfEviT_T9_T10_S3_lS5_S3_lS4_T11_S3_li,comdat
	.globl	_ZL29rocblas_internal_gemmt_kernelIiLi16ELi32ELi8ELc78ELc67ELc85ELb0ELb0EffPKfPfEviT_T9_T10_S3_lS5_S3_lS4_T11_S3_li ; -- Begin function _ZL29rocblas_internal_gemmt_kernelIiLi16ELi32ELi8ELc78ELc67ELc85ELb0ELb0EffPKfPfEviT_T9_T10_S3_lS5_S3_lS4_T11_S3_li
	.p2align	8
	.type	_ZL29rocblas_internal_gemmt_kernelIiLi16ELi32ELi8ELc78ELc67ELc85ELb0ELb0EffPKfPfEviT_T9_T10_S3_lS5_S3_lS4_T11_S3_li,@function
_ZL29rocblas_internal_gemmt_kernelIiLi16ELi32ELi8ELc78ELc67ELc85ELb0ELb0EffPKfPfEviT_T9_T10_S3_lS5_S3_lS4_T11_S3_li: ; @_ZL29rocblas_internal_gemmt_kernelIiLi16ELi32ELi8ELc78ELc67ELc85ELb0ELb0EffPKfPfEviT_T9_T10_S3_lS5_S3_lS4_T11_S3_li
; %bb.0:
	s_clause 0x1
	s_load_dword s9, s[4:5], 0x40
	s_load_dwordx4 s[12:15], s[4:5], 0x0
	s_waitcnt lgkmcnt(0)
	v_cmp_neq_f32_e64 s0, s9, 1.0
	s_and_b32 vcc_lo, exec_lo, s0
	s_cbranch_vccnz .LBB20_2
; %bb.1:
	v_cmp_neq_f32_e64 s0, s14, 0
	s_cmp_lg_u32 s13, 0
	s_cselect_b32 s1, -1, 0
	s_and_b32 s0, s1, s0
.LBB20_2:
	s_andn2_b32 vcc_lo, exec_lo, s0
	s_cbranch_vccnz .LBB20_26
; %bb.3:
	s_lshl_b32 s10, s6, 5
	s_lshl_b32 s11, s7, 5
	v_cmp_eq_f32_e64 s0, s14, 0
	s_cmp_lt_i32 s13, 1
	v_mov_b32_e32 v13, 0
	s_cselect_b32 s1, -1, 0
	v_mov_b32_e32 v8, 0
	v_mov_b32_e32 v7, 0
	;; [unrolled: 1-line block ×3, first 2 shown]
	s_or_b32 s0, s0, s1
	s_mov_b32 s15, 0
	s_and_b32 vcc_lo, exec_lo, s0
	s_cbranch_vccnz .LBB20_10
; %bb.4:
	s_clause 0x1
	s_load_dword s2, s[4:5], 0x18
	s_load_dwordx2 s[6:7], s[4:5], 0x10
	v_lshl_add_u32 v2, v1, 4, v0
	s_clause 0x1
	s_load_dwordx4 s[16:19], s[4:5], 0x20
	s_load_dword s20, s[4:5], 0x30
	v_and_b32_e32 v9, 7, v0
	s_load_dwordx2 s[22:23], s[4:5], 0x38
	v_and_b32_e32 v6, 31, v2
	v_lshrrev_b32_e32 v3, 3, v2
	v_lshrrev_b32_e32 v10, 5, v2
	v_lshlrev_b32_e32 v4, 2, v9
	v_lshlrev_b32_e32 v14, 2, v0
	v_or_b32_e32 v5, s10, v6
	v_add_nc_u32_e32 v2, s11, v3
	v_lshlrev_b32_e32 v7, 2, v6
	v_lshl_or_b32 v3, v3, 5, v4
	v_add_nc_u32_e32 v6, s10, v6
	v_cmp_gt_i32_e32 vcc_lo, s12, v5
	v_cmp_gt_i32_e64 s0, s12, v2
	v_lshl_or_b32 v11, v10, 7, v7
	s_waitcnt lgkmcnt(0)
	v_mad_i64_i32 v[4:5], null, v10, s2, 0
	v_ashrrev_i32_e32 v7, 31, v6
	s_mul_i32 s1, s17, s8
	s_mul_hi_u32 s17, s16, s8
	v_mad_i64_i32 v[16:17], null, s20, v9, 0
	s_add_i32 s17, s17, s1
	v_lshlrev_b64 v[4:5], 2, v[4:5]
	s_mul_i32 s16, s16, s8
	v_add_nc_u32_e32 v12, 0x400, v3
	s_lshl_b64 s[16:17], s[16:17], 2
	v_ashrrev_i32_e32 v3, 31, v2
	v_lshlrev_b64 v[6:7], 2, v[6:7]
	v_add_co_u32 v8, s1, v4, s16
	v_add_co_ci_u32_e64 v13, null, s17, v5, s1
	s_mul_i32 s1, s23, s8
	s_mul_hi_u32 s16, s22, s8
	v_lshlrev_b64 v[4:5], 2, v[16:17]
	s_add_i32 s17, s16, s1
	s_mul_i32 s16, s22, s8
	v_lshlrev_b64 v[2:3], 2, v[2:3]
	s_lshl_b64 s[16:17], s[16:17], 2
	v_lshl_add_u32 v15, v1, 5, 0x400
	v_add_co_u32 v4, s1, s16, v4
	v_add_co_ci_u32_e64 v5, null, s17, v5, s1
	v_add_co_u32 v6, s1, v8, v6
	v_add_co_ci_u32_e64 v7, null, v13, v7, s1
	;; [unrolled: 2-line block ×5, first 2 shown]
	v_mov_b32_e32 v6, 0
	v_mov_b32_e32 v7, 0
	;; [unrolled: 1-line block ×4, first 2 shown]
	s_ashr_i32 s3, s2, 31
	s_ashr_i32 s21, s20, 31
	s_lshl_b64 s[2:3], s[2:3], 5
	s_lshl_b64 s[6:7], s[20:21], 5
	s_branch .LBB20_6
.LBB20_5:                               ;   in Loop: Header=BB20_6 Depth=1
	s_or_b32 exec_lo, exec_lo, s1
	s_waitcnt vmcnt(0)
	ds_write_b32 v12, v17
	s_waitcnt lgkmcnt(0)
	s_barrier
	buffer_gl0_inv
	ds_read_b128 v[16:19], v15
	ds_read2_b32 v[32:33], v14 offset1:16
	ds_read_b128 v[20:23], v15 offset:512
	ds_read2_b32 v[34:35], v14 offset0:32 offset1:48
	ds_read2_b32 v[36:37], v14 offset0:64 offset1:80
	;; [unrolled: 1-line block ×3, first 2 shown]
	ds_read_b128 v[24:27], v15 offset:16
	ds_read2_b32 v[40:41], v14 offset0:128 offset1:144
	ds_read_b128 v[28:31], v15 offset:528
	v_add_co_u32 v2, s1, v2, s2
	v_add_co_ci_u32_e64 v3, null, s3, v3, s1
	v_add_co_u32 v4, s1, v4, s6
	v_add_co_ci_u32_e64 v5, null, s7, v5, s1
	s_add_i32 s15, s15, 8
	s_cmp_lt_i32 s15, s13
	s_waitcnt lgkmcnt(7)
	v_fmac_f32_e32 v13, v32, v16
	v_fmac_f32_e32 v8, v33, v16
	s_waitcnt lgkmcnt(6)
	v_fmac_f32_e32 v7, v32, v20
	v_fmac_f32_e32 v6, v33, v20
	ds_read2_b32 v[32:33], v14 offset0:160 offset1:176
	s_waitcnt lgkmcnt(6)
	v_fmac_f32_e32 v13, v34, v17
	v_fmac_f32_e32 v8, v35, v17
	v_fmac_f32_e32 v7, v34, v21
	v_fmac_f32_e32 v6, v35, v21
	ds_read2_b32 v[16:17], v14 offset0:192 offset1:208
	s_waitcnt lgkmcnt(6)
	v_fmac_f32_e32 v13, v36, v18
	v_fmac_f32_e32 v8, v37, v18
	;; [unrolled: 6-line block ×3, first 2 shown]
	v_fmac_f32_e32 v7, v38, v23
	v_fmac_f32_e32 v6, v39, v23
	s_waitcnt lgkmcnt(0)
	v_fmac_f32_e32 v13, v40, v24
	v_fmac_f32_e32 v8, v41, v24
	;; [unrolled: 1-line block ×4, first 2 shown]
	s_barrier
	v_fmac_f32_e32 v13, v32, v25
	v_fmac_f32_e32 v8, v33, v25
	;; [unrolled: 1-line block ×4, first 2 shown]
	buffer_gl0_inv
	v_fmac_f32_e32 v13, v16, v26
	v_fmac_f32_e32 v8, v17, v26
	;; [unrolled: 1-line block ×8, first 2 shown]
	s_cbranch_scc0 .LBB20_10
.LBB20_6:                               ; =>This Inner Loop Header: Depth=1
	v_add_nc_u32_e32 v16, s15, v10
	v_cmp_gt_i32_e64 s1, s13, v16
	v_mov_b32_e32 v16, 0
	s_and_b32 s16, vcc_lo, s1
	s_and_saveexec_b32 s1, s16
	s_cbranch_execz .LBB20_8
; %bb.7:                                ;   in Loop: Header=BB20_6 Depth=1
	global_load_dword v16, v[2:3], off
.LBB20_8:                               ;   in Loop: Header=BB20_6 Depth=1
	s_or_b32 exec_lo, exec_lo, s1
	v_add_nc_u32_e32 v17, s15, v9
	s_waitcnt vmcnt(0)
	ds_write_b32 v11, v16
	v_cmp_gt_i32_e64 s1, s13, v17
	v_mov_b32_e32 v17, 0
	s_and_b32 s16, s1, s0
	s_and_saveexec_b32 s1, s16
	s_cbranch_execz .LBB20_5
; %bb.9:                                ;   in Loop: Header=BB20_6 Depth=1
	global_load_dword v17, v[4:5], off
	s_branch .LBB20_5
.LBB20_10:
	s_clause 0x2
	s_load_dword s2, s[4:5], 0x50
	s_load_dwordx2 s[6:7], s[4:5], 0x58
	s_load_dwordx2 s[4:5], s[4:5], 0x48
	v_add_nc_u32_e32 v10, s11, v1
	v_add_nc_u32_e32 v0, s10, v0
	v_cmp_gt_i32_e64 s0, s12, v10
	v_cmp_le_i32_e32 vcc_lo, v0, v10
	s_waitcnt lgkmcnt(0)
	v_mad_i64_i32 v[1:2], null, v10, s2, 0
	s_mul_i32 s1, s7, s8
	s_mul_hi_u32 s3, s6, s8
	s_mul_i32 s6, s6, s8
	s_add_i32 s7, s3, s1
	s_lshl_b64 s[6:7], s[6:7], 2
	v_lshlrev_b64 v[2:3], 2, v[1:2]
	s_add_u32 s3, s4, s6
	s_addc_u32 s4, s5, s7
	v_cmp_neq_f32_e64 s5, s9, 0
	v_ashrrev_i32_e32 v1, 31, v0
	s_and_b32 s6, s0, vcc_lo
	v_add_co_u32 v4, s1, s3, v2
	v_add_co_ci_u32_e64 v5, null, s4, v3, s1
	v_cndmask_b32_e64 v9, 0, 1, s5
	s_and_saveexec_b32 s1, s6
	s_cbranch_execz .LBB20_14
; %bb.11:
	v_lshlrev_b64 v[2:3], 2, v[0:1]
	v_mul_f32_e32 v11, s14, v13
	v_add_co_u32 v2, vcc_lo, v4, v2
	v_add_co_ci_u32_e64 v3, null, v5, v3, vcc_lo
	s_andn2_b32 vcc_lo, exec_lo, s5
	s_cbranch_vccnz .LBB20_13
; %bb.12:
	global_load_dword v12, v[2:3], off
	s_waitcnt vmcnt(0)
	v_fmac_f32_e32 v11, s9, v12
.LBB20_13:
	global_store_dword v[2:3], v11, off
.LBB20_14:
	s_or_b32 exec_lo, exec_lo, s1
	v_add_nc_u32_e32 v2, 16, v0
	v_cmp_le_i32_e32 vcc_lo, v2, v10
	v_ashrrev_i32_e32 v3, 31, v2
	s_and_b32 s0, s0, vcc_lo
	s_and_saveexec_b32 s1, s0
	s_cbranch_execz .LBB20_18
; %bb.15:
	v_lshlrev_b64 v[11:12], 2, v[2:3]
	v_cmp_ne_u32_e32 vcc_lo, 1, v9
	v_mul_f32_e32 v8, s14, v8
	v_add_co_u32 v4, s0, v4, v11
	v_add_co_ci_u32_e64 v5, null, v5, v12, s0
	s_cbranch_vccnz .LBB20_17
; %bb.16:
	global_load_dword v11, v[4:5], off
	s_waitcnt vmcnt(0)
	v_fmac_f32_e32 v8, s9, v11
.LBB20_17:
	global_store_dword v[4:5], v8, off
.LBB20_18:
	s_or_b32 exec_lo, exec_lo, s1
	v_add_nc_u32_e32 v8, 16, v10
	v_mad_i64_i32 v[4:5], null, v8, s2, 0
	v_cmp_gt_i32_e64 s0, s12, v8
	v_cmp_le_i32_e32 vcc_lo, v0, v8
	v_lshlrev_b64 v[4:5], 2, v[4:5]
	v_add_co_u32 v4, s1, s3, v4
	v_add_co_ci_u32_e64 v5, null, s4, v5, s1
	s_and_b32 s1, s0, vcc_lo
	s_and_saveexec_b32 s2, s1
	s_cbranch_execz .LBB20_22
; %bb.19:
	v_lshlrev_b64 v[0:1], 2, v[0:1]
	v_cmp_ne_u32_e32 vcc_lo, 1, v9
	v_mul_f32_e32 v7, s14, v7
	v_add_co_u32 v0, s1, v4, v0
	v_add_co_ci_u32_e64 v1, null, v5, v1, s1
	s_cbranch_vccnz .LBB20_21
; %bb.20:
	global_load_dword v10, v[0:1], off
	s_waitcnt vmcnt(0)
	v_fmac_f32_e32 v7, s9, v10
.LBB20_21:
	global_store_dword v[0:1], v7, off
.LBB20_22:
	s_or_b32 exec_lo, exec_lo, s2
	v_cmp_le_i32_e32 vcc_lo, v2, v8
	s_and_b32 s0, s0, vcc_lo
	s_and_saveexec_b32 s1, s0
	s_cbranch_execz .LBB20_26
; %bb.23:
	v_lshlrev_b64 v[0:1], 2, v[2:3]
	v_cmp_ne_u32_e32 vcc_lo, 1, v9
	v_mul_f32_e32 v2, s14, v6
	v_add_co_u32 v0, s0, v4, v0
	v_add_co_ci_u32_e64 v1, null, v5, v1, s0
	s_cbranch_vccnz .LBB20_25
; %bb.24:
	global_load_dword v3, v[0:1], off
	s_waitcnt vmcnt(0)
	v_fmac_f32_e32 v2, s9, v3
.LBB20_25:
	global_store_dword v[0:1], v2, off
.LBB20_26:
	s_endpgm
	.section	.rodata,"a",@progbits
	.p2align	6, 0x0
	.amdhsa_kernel _ZL29rocblas_internal_gemmt_kernelIiLi16ELi32ELi8ELc78ELc67ELc85ELb0ELb0EffPKfPfEviT_T9_T10_S3_lS5_S3_lS4_T11_S3_li
		.amdhsa_group_segment_fixed_size 2048
		.amdhsa_private_segment_fixed_size 0
		.amdhsa_kernarg_size 100
		.amdhsa_user_sgpr_count 6
		.amdhsa_user_sgpr_private_segment_buffer 1
		.amdhsa_user_sgpr_dispatch_ptr 0
		.amdhsa_user_sgpr_queue_ptr 0
		.amdhsa_user_sgpr_kernarg_segment_ptr 1
		.amdhsa_user_sgpr_dispatch_id 0
		.amdhsa_user_sgpr_flat_scratch_init 0
		.amdhsa_user_sgpr_private_segment_size 0
		.amdhsa_wavefront_size32 1
		.amdhsa_uses_dynamic_stack 0
		.amdhsa_system_sgpr_private_segment_wavefront_offset 0
		.amdhsa_system_sgpr_workgroup_id_x 1
		.amdhsa_system_sgpr_workgroup_id_y 1
		.amdhsa_system_sgpr_workgroup_id_z 1
		.amdhsa_system_sgpr_workgroup_info 0
		.amdhsa_system_vgpr_workitem_id 1
		.amdhsa_next_free_vgpr 42
		.amdhsa_next_free_sgpr 24
		.amdhsa_reserve_vcc 1
		.amdhsa_reserve_flat_scratch 0
		.amdhsa_float_round_mode_32 0
		.amdhsa_float_round_mode_16_64 0
		.amdhsa_float_denorm_mode_32 3
		.amdhsa_float_denorm_mode_16_64 3
		.amdhsa_dx10_clamp 1
		.amdhsa_ieee_mode 1
		.amdhsa_fp16_overflow 0
		.amdhsa_workgroup_processor_mode 1
		.amdhsa_memory_ordered 1
		.amdhsa_forward_progress 1
		.amdhsa_shared_vgpr_count 0
		.amdhsa_exception_fp_ieee_invalid_op 0
		.amdhsa_exception_fp_denorm_src 0
		.amdhsa_exception_fp_ieee_div_zero 0
		.amdhsa_exception_fp_ieee_overflow 0
		.amdhsa_exception_fp_ieee_underflow 0
		.amdhsa_exception_fp_ieee_inexact 0
		.amdhsa_exception_int_div_zero 0
	.end_amdhsa_kernel
	.section	.text._ZL29rocblas_internal_gemmt_kernelIiLi16ELi32ELi8ELc78ELc67ELc85ELb0ELb0EffPKfPfEviT_T9_T10_S3_lS5_S3_lS4_T11_S3_li,"axG",@progbits,_ZL29rocblas_internal_gemmt_kernelIiLi16ELi32ELi8ELc78ELc67ELc85ELb0ELb0EffPKfPfEviT_T9_T10_S3_lS5_S3_lS4_T11_S3_li,comdat
.Lfunc_end20:
	.size	_ZL29rocblas_internal_gemmt_kernelIiLi16ELi32ELi8ELc78ELc67ELc85ELb0ELb0EffPKfPfEviT_T9_T10_S3_lS5_S3_lS4_T11_S3_li, .Lfunc_end20-_ZL29rocblas_internal_gemmt_kernelIiLi16ELi32ELi8ELc78ELc67ELc85ELb0ELb0EffPKfPfEviT_T9_T10_S3_lS5_S3_lS4_T11_S3_li
                                        ; -- End function
	.set _ZL29rocblas_internal_gemmt_kernelIiLi16ELi32ELi8ELc78ELc67ELc85ELb0ELb0EffPKfPfEviT_T9_T10_S3_lS5_S3_lS4_T11_S3_li.num_vgpr, 42
	.set _ZL29rocblas_internal_gemmt_kernelIiLi16ELi32ELi8ELc78ELc67ELc85ELb0ELb0EffPKfPfEviT_T9_T10_S3_lS5_S3_lS4_T11_S3_li.num_agpr, 0
	.set _ZL29rocblas_internal_gemmt_kernelIiLi16ELi32ELi8ELc78ELc67ELc85ELb0ELb0EffPKfPfEviT_T9_T10_S3_lS5_S3_lS4_T11_S3_li.numbered_sgpr, 24
	.set _ZL29rocblas_internal_gemmt_kernelIiLi16ELi32ELi8ELc78ELc67ELc85ELb0ELb0EffPKfPfEviT_T9_T10_S3_lS5_S3_lS4_T11_S3_li.num_named_barrier, 0
	.set _ZL29rocblas_internal_gemmt_kernelIiLi16ELi32ELi8ELc78ELc67ELc85ELb0ELb0EffPKfPfEviT_T9_T10_S3_lS5_S3_lS4_T11_S3_li.private_seg_size, 0
	.set _ZL29rocblas_internal_gemmt_kernelIiLi16ELi32ELi8ELc78ELc67ELc85ELb0ELb0EffPKfPfEviT_T9_T10_S3_lS5_S3_lS4_T11_S3_li.uses_vcc, 1
	.set _ZL29rocblas_internal_gemmt_kernelIiLi16ELi32ELi8ELc78ELc67ELc85ELb0ELb0EffPKfPfEviT_T9_T10_S3_lS5_S3_lS4_T11_S3_li.uses_flat_scratch, 0
	.set _ZL29rocblas_internal_gemmt_kernelIiLi16ELi32ELi8ELc78ELc67ELc85ELb0ELb0EffPKfPfEviT_T9_T10_S3_lS5_S3_lS4_T11_S3_li.has_dyn_sized_stack, 0
	.set _ZL29rocblas_internal_gemmt_kernelIiLi16ELi32ELi8ELc78ELc67ELc85ELb0ELb0EffPKfPfEviT_T9_T10_S3_lS5_S3_lS4_T11_S3_li.has_recursion, 0
	.set _ZL29rocblas_internal_gemmt_kernelIiLi16ELi32ELi8ELc78ELc67ELc85ELb0ELb0EffPKfPfEviT_T9_T10_S3_lS5_S3_lS4_T11_S3_li.has_indirect_call, 0
	.section	.AMDGPU.csdata,"",@progbits
; Kernel info:
; codeLenInByte = 1428
; TotalNumSgprs: 26
; NumVgprs: 42
; ScratchSize: 0
; MemoryBound: 0
; FloatMode: 240
; IeeeMode: 1
; LDSByteSize: 2048 bytes/workgroup (compile time only)
; SGPRBlocks: 0
; VGPRBlocks: 5
; NumSGPRsForWavesPerEU: 26
; NumVGPRsForWavesPerEU: 42
; Occupancy: 16
; WaveLimiterHint : 0
; COMPUTE_PGM_RSRC2:SCRATCH_EN: 0
; COMPUTE_PGM_RSRC2:USER_SGPR: 6
; COMPUTE_PGM_RSRC2:TRAP_HANDLER: 0
; COMPUTE_PGM_RSRC2:TGID_X_EN: 1
; COMPUTE_PGM_RSRC2:TGID_Y_EN: 1
; COMPUTE_PGM_RSRC2:TGID_Z_EN: 1
; COMPUTE_PGM_RSRC2:TIDIG_COMP_CNT: 1
	.section	.text._ZL29rocblas_internal_gemmt_kernelIiLi16ELi32ELi8ELc84ELc78ELc85ELb0ELb0EffPKfPfEviT_T9_T10_S3_lS5_S3_lS4_T11_S3_li,"axG",@progbits,_ZL29rocblas_internal_gemmt_kernelIiLi16ELi32ELi8ELc84ELc78ELc85ELb0ELb0EffPKfPfEviT_T9_T10_S3_lS5_S3_lS4_T11_S3_li,comdat
	.globl	_ZL29rocblas_internal_gemmt_kernelIiLi16ELi32ELi8ELc84ELc78ELc85ELb0ELb0EffPKfPfEviT_T9_T10_S3_lS5_S3_lS4_T11_S3_li ; -- Begin function _ZL29rocblas_internal_gemmt_kernelIiLi16ELi32ELi8ELc84ELc78ELc85ELb0ELb0EffPKfPfEviT_T9_T10_S3_lS5_S3_lS4_T11_S3_li
	.p2align	8
	.type	_ZL29rocblas_internal_gemmt_kernelIiLi16ELi32ELi8ELc84ELc78ELc85ELb0ELb0EffPKfPfEviT_T9_T10_S3_lS5_S3_lS4_T11_S3_li,@function
_ZL29rocblas_internal_gemmt_kernelIiLi16ELi32ELi8ELc84ELc78ELc85ELb0ELb0EffPKfPfEviT_T9_T10_S3_lS5_S3_lS4_T11_S3_li: ; @_ZL29rocblas_internal_gemmt_kernelIiLi16ELi32ELi8ELc84ELc78ELc85ELb0ELb0EffPKfPfEviT_T9_T10_S3_lS5_S3_lS4_T11_S3_li
; %bb.0:
	s_clause 0x1
	s_load_dword s2, s[4:5], 0x40
	s_load_dwordx4 s[12:15], s[4:5], 0x0
	s_waitcnt lgkmcnt(0)
	v_cmp_neq_f32_e64 s0, s2, 1.0
	s_and_b32 vcc_lo, exec_lo, s0
	s_cbranch_vccnz .LBB21_2
; %bb.1:
	v_cmp_neq_f32_e64 s0, s14, 0
	s_cmp_lg_u32 s13, 0
	s_cselect_b32 s1, -1, 0
	s_and_b32 s0, s1, s0
.LBB21_2:
	s_andn2_b32 vcc_lo, exec_lo, s0
	s_cbranch_vccnz .LBB21_26
; %bb.3:
	s_lshl_b32 s3, s6, 5
	s_lshl_b32 s6, s7, 5
	v_cmp_eq_f32_e64 s0, s14, 0
	s_cmp_lt_i32 s13, 1
	v_mov_b32_e32 v10, 0
	s_cselect_b32 s1, -1, 0
	v_mov_b32_e32 v8, 0
	v_mov_b32_e32 v7, 0
	;; [unrolled: 1-line block ×3, first 2 shown]
	s_or_b32 s0, s0, s1
	s_mov_b32 s7, 0
	s_and_b32 vcc_lo, exec_lo, s0
	s_cbranch_vccnz .LBB21_10
; %bb.4:
	s_clause 0x1
	s_load_dword s0, s[4:5], 0x18
	s_load_dwordx2 s[10:11], s[4:5], 0x10
	v_lshl_add_u32 v2, v1, 4, v0
	s_clause 0x2
	s_load_dwordx4 s[16:19], s[4:5], 0x20
	s_load_dword s1, s[4:5], 0x30
	s_load_dwordx2 s[20:21], s[4:5], 0x38
	v_and_b32_e32 v9, 7, v0
	v_lshlrev_b32_e32 v11, 2, v0
	v_lshl_add_u32 v12, v1, 5, 0x400
	v_and_b32_e32 v4, 31, v2
	v_lshrrev_b32_e32 v3, 3, v2
	v_lshrrev_b32_e32 v13, 5, v2
	v_lshlrev_b32_e32 v7, 2, v9
	v_add_nc_u32_e32 v2, s3, v4
	v_add_nc_u32_e32 v5, s6, v3
	v_or_b32_e32 v6, s3, v4
	v_lshl_or_b32 v8, v3, 5, v7
	v_lshlrev_b32_e32 v4, 2, v4
	v_lshlrev_b32_e32 v16, 2, v13
	v_cmp_gt_i32_e32 vcc_lo, s12, v6
	s_waitcnt lgkmcnt(0)
	v_mad_i64_i32 v[2:3], null, s0, v2, 0
	v_lshl_or_b32 v14, v13, 7, v4
	v_cmp_gt_i32_e64 s0, s12, v5
	s_mul_i32 s9, s17, s8
	s_mul_hi_u32 s15, s16, s8
	v_mad_i64_i32 v[4:5], null, s1, v5, 0
	v_lshlrev_b64 v[2:3], 2, v[2:3]
	s_mul_i32 s16, s16, s8
	s_add_i32 s17, s15, s9
	v_add_nc_u32_e32 v15, 0x400, v8
	s_lshl_b64 s[16:17], s[16:17], 2
	s_mul_hi_u32 s9, s20, s8
	v_add_co_u32 v8, s1, v2, s16
	v_add_co_ci_u32_e64 v10, null, s17, v3, s1
	s_mul_i32 s1, s21, s8
	v_lshlrev_b64 v[2:3], 2, v[4:5]
	s_add_i32 s17, s9, s1
	s_mul_i32 s16, s20, s8
	v_mov_b32_e32 v6, 0
	s_lshl_b64 s[16:17], s[16:17], 2
	v_add_co_u32 v2, s1, v2, s16
	v_add_co_ci_u32_e64 v3, null, s17, v3, s1
	v_add_co_u32 v4, s1, v8, v16
	v_add_co_ci_u32_e64 v5, null, 0, v10, s1
	;; [unrolled: 2-line block ×5, first 2 shown]
	v_mov_b32_e32 v7, 0
	v_mov_b32_e32 v8, 0
	;; [unrolled: 1-line block ×3, first 2 shown]
	s_branch .LBB21_6
.LBB21_5:                               ;   in Loop: Header=BB21_6 Depth=1
	s_or_b32 exec_lo, exec_lo, s1
	s_waitcnt vmcnt(0)
	ds_write_b32 v15, v17
	s_waitcnt lgkmcnt(0)
	s_barrier
	buffer_gl0_inv
	ds_read_b128 v[16:19], v12
	ds_read2_b32 v[32:33], v11 offset1:16
	ds_read_b128 v[20:23], v12 offset:512
	ds_read2_b32 v[34:35], v11 offset0:32 offset1:48
	ds_read2_b32 v[36:37], v11 offset0:64 offset1:80
	;; [unrolled: 1-line block ×3, first 2 shown]
	ds_read_b128 v[24:27], v12 offset:16
	ds_read2_b32 v[40:41], v11 offset0:128 offset1:144
	ds_read_b128 v[28:31], v12 offset:528
	v_add_co_u32 v2, s1, v2, 32
	v_add_co_ci_u32_e64 v3, null, 0, v3, s1
	v_add_co_u32 v4, s1, v4, 32
	v_add_co_ci_u32_e64 v5, null, 0, v5, s1
	s_add_i32 s7, s7, 8
	s_cmp_lt_i32 s7, s13
	s_waitcnt lgkmcnt(7)
	v_fmac_f32_e32 v10, v32, v16
	v_fmac_f32_e32 v8, v33, v16
	s_waitcnt lgkmcnt(6)
	v_fmac_f32_e32 v7, v32, v20
	v_fmac_f32_e32 v6, v33, v20
	ds_read2_b32 v[32:33], v11 offset0:160 offset1:176
	s_waitcnt lgkmcnt(6)
	v_fmac_f32_e32 v10, v34, v17
	v_fmac_f32_e32 v8, v35, v17
	v_fmac_f32_e32 v7, v34, v21
	v_fmac_f32_e32 v6, v35, v21
	ds_read2_b32 v[16:17], v11 offset0:192 offset1:208
	s_waitcnt lgkmcnt(6)
	v_fmac_f32_e32 v10, v36, v18
	v_fmac_f32_e32 v8, v37, v18
	;; [unrolled: 6-line block ×3, first 2 shown]
	v_fmac_f32_e32 v7, v38, v23
	v_fmac_f32_e32 v6, v39, v23
	s_waitcnt lgkmcnt(0)
	v_fmac_f32_e32 v10, v40, v24
	v_fmac_f32_e32 v8, v41, v24
	;; [unrolled: 1-line block ×4, first 2 shown]
	s_barrier
	v_fmac_f32_e32 v10, v32, v25
	v_fmac_f32_e32 v8, v33, v25
	v_fmac_f32_e32 v7, v32, v29
	v_fmac_f32_e32 v6, v33, v29
	buffer_gl0_inv
	v_fmac_f32_e32 v10, v16, v26
	v_fmac_f32_e32 v8, v17, v26
	;; [unrolled: 1-line block ×8, first 2 shown]
	s_cbranch_scc0 .LBB21_10
.LBB21_6:                               ; =>This Inner Loop Header: Depth=1
	v_add_nc_u32_e32 v16, s7, v13
	v_cmp_gt_i32_e64 s1, s13, v16
	v_mov_b32_e32 v16, 0
	s_and_b32 s9, vcc_lo, s1
	s_and_saveexec_b32 s1, s9
	s_cbranch_execz .LBB21_8
; %bb.7:                                ;   in Loop: Header=BB21_6 Depth=1
	global_load_dword v16, v[2:3], off
.LBB21_8:                               ;   in Loop: Header=BB21_6 Depth=1
	s_or_b32 exec_lo, exec_lo, s1
	v_add_nc_u32_e32 v17, s7, v9
	s_waitcnt vmcnt(0)
	ds_write_b32 v14, v16
	v_cmp_gt_i32_e64 s1, s13, v17
	v_mov_b32_e32 v17, 0
	s_and_b32 s9, s1, s0
	s_and_saveexec_b32 s1, s9
	s_cbranch_execz .LBB21_5
; %bb.9:                                ;   in Loop: Header=BB21_6 Depth=1
	global_load_dword v17, v[4:5], off
	s_branch .LBB21_5
.LBB21_10:
	s_clause 0x2
	s_load_dword s7, s[4:5], 0x50
	s_load_dwordx2 s[10:11], s[4:5], 0x58
	s_load_dwordx2 s[4:5], s[4:5], 0x48
	v_add_nc_u32_e32 v11, s6, v1
	v_add_nc_u32_e32 v0, s3, v0
	v_cmp_gt_i32_e64 s0, s12, v11
	v_cmp_le_i32_e32 vcc_lo, v0, v11
	s_waitcnt lgkmcnt(0)
	v_mad_i64_i32 v[1:2], null, v11, s7, 0
	s_mul_i32 s1, s11, s8
	s_mul_hi_u32 s3, s10, s8
	s_mul_i32 s8, s10, s8
	s_add_i32 s9, s3, s1
	s_lshl_b64 s[8:9], s[8:9], 2
	v_lshlrev_b64 v[2:3], 2, v[1:2]
	s_add_u32 s3, s4, s8
	s_addc_u32 s4, s5, s9
	v_cmp_neq_f32_e64 s5, s2, 0
	v_ashrrev_i32_e32 v1, 31, v0
	s_and_b32 s6, s0, vcc_lo
	v_add_co_u32 v4, s1, s3, v2
	v_add_co_ci_u32_e64 v5, null, s4, v3, s1
	v_cndmask_b32_e64 v9, 0, 1, s5
	s_and_saveexec_b32 s1, s6
	s_cbranch_execz .LBB21_14
; %bb.11:
	v_lshlrev_b64 v[2:3], 2, v[0:1]
	v_mul_f32_e32 v10, s14, v10
	v_add_co_u32 v2, vcc_lo, v4, v2
	v_add_co_ci_u32_e64 v3, null, v5, v3, vcc_lo
	s_andn2_b32 vcc_lo, exec_lo, s5
	s_cbranch_vccnz .LBB21_13
; %bb.12:
	global_load_dword v12, v[2:3], off
	s_waitcnt vmcnt(0)
	v_fmac_f32_e32 v10, s2, v12
.LBB21_13:
	global_store_dword v[2:3], v10, off
.LBB21_14:
	s_or_b32 exec_lo, exec_lo, s1
	v_add_nc_u32_e32 v2, 16, v0
	v_cmp_le_i32_e32 vcc_lo, v2, v11
	v_ashrrev_i32_e32 v3, 31, v2
	s_and_b32 s0, s0, vcc_lo
	s_and_saveexec_b32 s1, s0
	s_cbranch_execz .LBB21_18
; %bb.15:
	v_lshlrev_b64 v[12:13], 2, v[2:3]
	v_cmp_ne_u32_e32 vcc_lo, 1, v9
	v_mul_f32_e32 v8, s14, v8
	v_add_co_u32 v4, s0, v4, v12
	v_add_co_ci_u32_e64 v5, null, v5, v13, s0
	s_cbranch_vccnz .LBB21_17
; %bb.16:
	global_load_dword v10, v[4:5], off
	s_waitcnt vmcnt(0)
	v_fmac_f32_e32 v8, s2, v10
.LBB21_17:
	global_store_dword v[4:5], v8, off
.LBB21_18:
	s_or_b32 exec_lo, exec_lo, s1
	v_add_nc_u32_e32 v8, 16, v11
	v_mad_i64_i32 v[4:5], null, v8, s7, 0
	v_cmp_gt_i32_e64 s0, s12, v8
	v_cmp_le_i32_e32 vcc_lo, v0, v8
	v_lshlrev_b64 v[4:5], 2, v[4:5]
	v_add_co_u32 v4, s1, s3, v4
	v_add_co_ci_u32_e64 v5, null, s4, v5, s1
	s_and_b32 s1, s0, vcc_lo
	s_and_saveexec_b32 s3, s1
	s_cbranch_execz .LBB21_22
; %bb.19:
	v_lshlrev_b64 v[0:1], 2, v[0:1]
	v_cmp_ne_u32_e32 vcc_lo, 1, v9
	v_mul_f32_e32 v7, s14, v7
	v_add_co_u32 v0, s1, v4, v0
	v_add_co_ci_u32_e64 v1, null, v5, v1, s1
	s_cbranch_vccnz .LBB21_21
; %bb.20:
	global_load_dword v10, v[0:1], off
	s_waitcnt vmcnt(0)
	v_fmac_f32_e32 v7, s2, v10
.LBB21_21:
	global_store_dword v[0:1], v7, off
.LBB21_22:
	s_or_b32 exec_lo, exec_lo, s3
	v_cmp_le_i32_e32 vcc_lo, v2, v8
	s_and_b32 s0, s0, vcc_lo
	s_and_saveexec_b32 s1, s0
	s_cbranch_execz .LBB21_26
; %bb.23:
	v_lshlrev_b64 v[0:1], 2, v[2:3]
	v_cmp_ne_u32_e32 vcc_lo, 1, v9
	v_mul_f32_e32 v2, s14, v6
	v_add_co_u32 v0, s0, v4, v0
	v_add_co_ci_u32_e64 v1, null, v5, v1, s0
	s_cbranch_vccnz .LBB21_25
; %bb.24:
	global_load_dword v3, v[0:1], off
	s_waitcnt vmcnt(0)
	v_fmac_f32_e32 v2, s2, v3
.LBB21_25:
	global_store_dword v[0:1], v2, off
.LBB21_26:
	s_endpgm
	.section	.rodata,"a",@progbits
	.p2align	6, 0x0
	.amdhsa_kernel _ZL29rocblas_internal_gemmt_kernelIiLi16ELi32ELi8ELc84ELc78ELc85ELb0ELb0EffPKfPfEviT_T9_T10_S3_lS5_S3_lS4_T11_S3_li
		.amdhsa_group_segment_fixed_size 2048
		.amdhsa_private_segment_fixed_size 0
		.amdhsa_kernarg_size 100
		.amdhsa_user_sgpr_count 6
		.amdhsa_user_sgpr_private_segment_buffer 1
		.amdhsa_user_sgpr_dispatch_ptr 0
		.amdhsa_user_sgpr_queue_ptr 0
		.amdhsa_user_sgpr_kernarg_segment_ptr 1
		.amdhsa_user_sgpr_dispatch_id 0
		.amdhsa_user_sgpr_flat_scratch_init 0
		.amdhsa_user_sgpr_private_segment_size 0
		.amdhsa_wavefront_size32 1
		.amdhsa_uses_dynamic_stack 0
		.amdhsa_system_sgpr_private_segment_wavefront_offset 0
		.amdhsa_system_sgpr_workgroup_id_x 1
		.amdhsa_system_sgpr_workgroup_id_y 1
		.amdhsa_system_sgpr_workgroup_id_z 1
		.amdhsa_system_sgpr_workgroup_info 0
		.amdhsa_system_vgpr_workitem_id 1
		.amdhsa_next_free_vgpr 42
		.amdhsa_next_free_sgpr 22
		.amdhsa_reserve_vcc 1
		.amdhsa_reserve_flat_scratch 0
		.amdhsa_float_round_mode_32 0
		.amdhsa_float_round_mode_16_64 0
		.amdhsa_float_denorm_mode_32 3
		.amdhsa_float_denorm_mode_16_64 3
		.amdhsa_dx10_clamp 1
		.amdhsa_ieee_mode 1
		.amdhsa_fp16_overflow 0
		.amdhsa_workgroup_processor_mode 1
		.amdhsa_memory_ordered 1
		.amdhsa_forward_progress 1
		.amdhsa_shared_vgpr_count 0
		.amdhsa_exception_fp_ieee_invalid_op 0
		.amdhsa_exception_fp_denorm_src 0
		.amdhsa_exception_fp_ieee_div_zero 0
		.amdhsa_exception_fp_ieee_overflow 0
		.amdhsa_exception_fp_ieee_underflow 0
		.amdhsa_exception_fp_ieee_inexact 0
		.amdhsa_exception_int_div_zero 0
	.end_amdhsa_kernel
	.section	.text._ZL29rocblas_internal_gemmt_kernelIiLi16ELi32ELi8ELc84ELc78ELc85ELb0ELb0EffPKfPfEviT_T9_T10_S3_lS5_S3_lS4_T11_S3_li,"axG",@progbits,_ZL29rocblas_internal_gemmt_kernelIiLi16ELi32ELi8ELc84ELc78ELc85ELb0ELb0EffPKfPfEviT_T9_T10_S3_lS5_S3_lS4_T11_S3_li,comdat
.Lfunc_end21:
	.size	_ZL29rocblas_internal_gemmt_kernelIiLi16ELi32ELi8ELc84ELc78ELc85ELb0ELb0EffPKfPfEviT_T9_T10_S3_lS5_S3_lS4_T11_S3_li, .Lfunc_end21-_ZL29rocblas_internal_gemmt_kernelIiLi16ELi32ELi8ELc84ELc78ELc85ELb0ELb0EffPKfPfEviT_T9_T10_S3_lS5_S3_lS4_T11_S3_li
                                        ; -- End function
	.set _ZL29rocblas_internal_gemmt_kernelIiLi16ELi32ELi8ELc84ELc78ELc85ELb0ELb0EffPKfPfEviT_T9_T10_S3_lS5_S3_lS4_T11_S3_li.num_vgpr, 42
	.set _ZL29rocblas_internal_gemmt_kernelIiLi16ELi32ELi8ELc84ELc78ELc85ELb0ELb0EffPKfPfEviT_T9_T10_S3_lS5_S3_lS4_T11_S3_li.num_agpr, 0
	.set _ZL29rocblas_internal_gemmt_kernelIiLi16ELi32ELi8ELc84ELc78ELc85ELb0ELb0EffPKfPfEviT_T9_T10_S3_lS5_S3_lS4_T11_S3_li.numbered_sgpr, 22
	.set _ZL29rocblas_internal_gemmt_kernelIiLi16ELi32ELi8ELc84ELc78ELc85ELb0ELb0EffPKfPfEviT_T9_T10_S3_lS5_S3_lS4_T11_S3_li.num_named_barrier, 0
	.set _ZL29rocblas_internal_gemmt_kernelIiLi16ELi32ELi8ELc84ELc78ELc85ELb0ELb0EffPKfPfEviT_T9_T10_S3_lS5_S3_lS4_T11_S3_li.private_seg_size, 0
	.set _ZL29rocblas_internal_gemmt_kernelIiLi16ELi32ELi8ELc84ELc78ELc85ELb0ELb0EffPKfPfEviT_T9_T10_S3_lS5_S3_lS4_T11_S3_li.uses_vcc, 1
	.set _ZL29rocblas_internal_gemmt_kernelIiLi16ELi32ELi8ELc84ELc78ELc85ELb0ELb0EffPKfPfEviT_T9_T10_S3_lS5_S3_lS4_T11_S3_li.uses_flat_scratch, 0
	.set _ZL29rocblas_internal_gemmt_kernelIiLi16ELi32ELi8ELc84ELc78ELc85ELb0ELb0EffPKfPfEviT_T9_T10_S3_lS5_S3_lS4_T11_S3_li.has_dyn_sized_stack, 0
	.set _ZL29rocblas_internal_gemmt_kernelIiLi16ELi32ELi8ELc84ELc78ELc85ELb0ELb0EffPKfPfEviT_T9_T10_S3_lS5_S3_lS4_T11_S3_li.has_recursion, 0
	.set _ZL29rocblas_internal_gemmt_kernelIiLi16ELi32ELi8ELc84ELc78ELc85ELb0ELb0EffPKfPfEviT_T9_T10_S3_lS5_S3_lS4_T11_S3_li.has_indirect_call, 0
	.section	.AMDGPU.csdata,"",@progbits
; Kernel info:
; codeLenInByte = 1392
; TotalNumSgprs: 24
; NumVgprs: 42
; ScratchSize: 0
; MemoryBound: 0
; FloatMode: 240
; IeeeMode: 1
; LDSByteSize: 2048 bytes/workgroup (compile time only)
; SGPRBlocks: 0
; VGPRBlocks: 5
; NumSGPRsForWavesPerEU: 24
; NumVGPRsForWavesPerEU: 42
; Occupancy: 16
; WaveLimiterHint : 0
; COMPUTE_PGM_RSRC2:SCRATCH_EN: 0
; COMPUTE_PGM_RSRC2:USER_SGPR: 6
; COMPUTE_PGM_RSRC2:TRAP_HANDLER: 0
; COMPUTE_PGM_RSRC2:TGID_X_EN: 1
; COMPUTE_PGM_RSRC2:TGID_Y_EN: 1
; COMPUTE_PGM_RSRC2:TGID_Z_EN: 1
; COMPUTE_PGM_RSRC2:TIDIG_COMP_CNT: 1
	.section	.text._ZL29rocblas_internal_gemmt_kernelIiLi16ELi32ELi8ELc84ELc84ELc85ELb0ELb0EffPKfPfEviT_T9_T10_S3_lS5_S3_lS4_T11_S3_li,"axG",@progbits,_ZL29rocblas_internal_gemmt_kernelIiLi16ELi32ELi8ELc84ELc84ELc85ELb0ELb0EffPKfPfEviT_T9_T10_S3_lS5_S3_lS4_T11_S3_li,comdat
	.globl	_ZL29rocblas_internal_gemmt_kernelIiLi16ELi32ELi8ELc84ELc84ELc85ELb0ELb0EffPKfPfEviT_T9_T10_S3_lS5_S3_lS4_T11_S3_li ; -- Begin function _ZL29rocblas_internal_gemmt_kernelIiLi16ELi32ELi8ELc84ELc84ELc85ELb0ELb0EffPKfPfEviT_T9_T10_S3_lS5_S3_lS4_T11_S3_li
	.p2align	8
	.type	_ZL29rocblas_internal_gemmt_kernelIiLi16ELi32ELi8ELc84ELc84ELc85ELb0ELb0EffPKfPfEviT_T9_T10_S3_lS5_S3_lS4_T11_S3_li,@function
_ZL29rocblas_internal_gemmt_kernelIiLi16ELi32ELi8ELc84ELc84ELc85ELb0ELb0EffPKfPfEviT_T9_T10_S3_lS5_S3_lS4_T11_S3_li: ; @_ZL29rocblas_internal_gemmt_kernelIiLi16ELi32ELi8ELc84ELc84ELc85ELb0ELb0EffPKfPfEviT_T9_T10_S3_lS5_S3_lS4_T11_S3_li
; %bb.0:
	s_clause 0x1
	s_load_dword s9, s[4:5], 0x40
	s_load_dwordx4 s[12:15], s[4:5], 0x0
	s_waitcnt lgkmcnt(0)
	v_cmp_neq_f32_e64 s0, s9, 1.0
	s_and_b32 vcc_lo, exec_lo, s0
	s_cbranch_vccnz .LBB22_2
; %bb.1:
	v_cmp_neq_f32_e64 s0, s14, 0
	s_cmp_lg_u32 s13, 0
	s_cselect_b32 s1, -1, 0
	s_and_b32 s0, s1, s0
.LBB22_2:
	s_andn2_b32 vcc_lo, exec_lo, s0
	s_cbranch_vccnz .LBB22_26
; %bb.3:
	s_lshl_b32 s6, s6, 5
	s_lshl_b32 s7, s7, 5
	v_cmp_eq_f32_e64 s0, s14, 0
	s_cmp_lt_i32 s13, 1
	v_mov_b32_e32 v12, 0
	s_cselect_b32 s1, -1, 0
	v_mov_b32_e32 v8, 0
	v_mov_b32_e32 v7, 0
	;; [unrolled: 1-line block ×3, first 2 shown]
	s_or_b32 s0, s0, s1
	s_mov_b32 s10, 0
	s_and_b32 vcc_lo, exec_lo, s0
	s_cbranch_vccnz .LBB22_10
; %bb.4:
	s_clause 0x1
	s_load_dword s0, s[4:5], 0x18
	s_load_dwordx2 s[2:3], s[4:5], 0x10
	v_lshl_add_u32 v2, v1, 4, v0
	s_clause 0x2
	s_load_dwordx4 s[16:19], s[4:5], 0x20
	s_load_dword s20, s[4:5], 0x30
	s_load_dwordx2 s[22:23], s[4:5], 0x38
	v_and_b32_e32 v9, 7, v0
	v_lshlrev_b32_e32 v10, 2, v0
	v_lshl_add_u32 v11, v1, 5, 0x400
	v_and_b32_e32 v3, 31, v2
	v_lshrrev_b32_e32 v4, 3, v2
	v_lshlrev_b32_e32 v5, 2, v9
	v_lshrrev_b32_e32 v13, 5, v2
	v_add_nc_u32_e32 v7, s6, v3
	v_add_nc_u32_e32 v2, s7, v4
	v_lshl_or_b32 v8, v4, 5, v5
	v_or_b32_e32 v6, s6, v3
	v_lshlrev_b32_e32 v3, 2, v3
	v_lshlrev_b32_e32 v16, 2, v13
	v_add_nc_u32_e32 v15, 0x400, v8
	s_waitcnt lgkmcnt(0)
	v_mad_i64_i32 v[4:5], null, s0, v7, 0
	v_cmp_gt_i32_e32 vcc_lo, s12, v6
	s_mul_i32 s1, s17, s8
	s_mul_hi_u32 s11, s16, s8
	v_mad_i64_i32 v[6:7], null, s20, v9, 0
	s_mul_i32 s16, s16, s8
	v_lshlrev_b64 v[4:5], 2, v[4:5]
	s_add_i32 s17, s11, s1
	v_lshl_or_b32 v14, v13, 7, v3
	s_lshl_b64 s[16:17], s[16:17], 2
	v_ashrrev_i32_e32 v3, 31, v2
	s_mul_hi_u32 s11, s22, s8
	v_add_co_u32 v8, s1, v4, s16
	v_add_co_ci_u32_e64 v12, null, s17, v5, s1
	s_mul_i32 s1, s23, s8
	v_lshlrev_b64 v[4:5], 2, v[6:7]
	s_add_i32 s17, s11, s1
	s_mul_i32 s16, s22, s8
	v_cmp_gt_i32_e64 s0, s12, v2
	s_lshl_b64 s[16:17], s[16:17], 2
	v_lshlrev_b64 v[2:3], 2, v[2:3]
	v_add_co_u32 v4, s1, s16, v4
	v_add_co_ci_u32_e64 v5, null, s17, v5, s1
	v_add_co_u32 v7, s1, v8, v16
	v_add_co_ci_u32_e64 v8, null, 0, v12, s1
	;; [unrolled: 2-line block ×4, first 2 shown]
	v_add_co_u32 v4, s1, s18, v4
	v_mov_b32_e32 v6, 0
	v_add_co_ci_u32_e64 v5, null, s19, v5, s1
	v_mov_b32_e32 v7, 0
	v_mov_b32_e32 v8, 0
	;; [unrolled: 1-line block ×3, first 2 shown]
	s_ashr_i32 s21, s20, 31
	s_lshl_b64 s[2:3], s[20:21], 5
	s_branch .LBB22_6
.LBB22_5:                               ;   in Loop: Header=BB22_6 Depth=1
	s_or_b32 exec_lo, exec_lo, s1
	s_waitcnt vmcnt(0)
	ds_write_b32 v15, v17
	s_waitcnt lgkmcnt(0)
	s_barrier
	buffer_gl0_inv
	ds_read_b128 v[16:19], v11
	ds_read2_b32 v[32:33], v10 offset1:16
	ds_read_b128 v[20:23], v11 offset:512
	ds_read2_b32 v[34:35], v10 offset0:32 offset1:48
	ds_read2_b32 v[36:37], v10 offset0:64 offset1:80
	;; [unrolled: 1-line block ×3, first 2 shown]
	ds_read_b128 v[24:27], v11 offset:16
	ds_read2_b32 v[40:41], v10 offset0:128 offset1:144
	ds_read_b128 v[28:31], v11 offset:528
	v_add_co_u32 v2, s1, v2, 32
	v_add_co_ci_u32_e64 v3, null, 0, v3, s1
	v_add_co_u32 v4, s1, v4, s2
	v_add_co_ci_u32_e64 v5, null, s3, v5, s1
	s_add_i32 s10, s10, 8
	s_cmp_lt_i32 s10, s13
	s_waitcnt lgkmcnt(7)
	v_fmac_f32_e32 v12, v32, v16
	v_fmac_f32_e32 v8, v33, v16
	s_waitcnt lgkmcnt(6)
	v_fmac_f32_e32 v7, v32, v20
	v_fmac_f32_e32 v6, v33, v20
	ds_read2_b32 v[32:33], v10 offset0:160 offset1:176
	s_waitcnt lgkmcnt(6)
	v_fmac_f32_e32 v12, v34, v17
	v_fmac_f32_e32 v8, v35, v17
	v_fmac_f32_e32 v7, v34, v21
	v_fmac_f32_e32 v6, v35, v21
	ds_read2_b32 v[16:17], v10 offset0:192 offset1:208
	s_waitcnt lgkmcnt(6)
	v_fmac_f32_e32 v12, v36, v18
	v_fmac_f32_e32 v8, v37, v18
	;; [unrolled: 6-line block ×3, first 2 shown]
	v_fmac_f32_e32 v7, v38, v23
	v_fmac_f32_e32 v6, v39, v23
	s_waitcnt lgkmcnt(0)
	v_fmac_f32_e32 v12, v40, v24
	v_fmac_f32_e32 v8, v41, v24
	;; [unrolled: 1-line block ×4, first 2 shown]
	s_barrier
	v_fmac_f32_e32 v12, v32, v25
	v_fmac_f32_e32 v8, v33, v25
	;; [unrolled: 1-line block ×4, first 2 shown]
	buffer_gl0_inv
	v_fmac_f32_e32 v12, v16, v26
	v_fmac_f32_e32 v8, v17, v26
	;; [unrolled: 1-line block ×8, first 2 shown]
	s_cbranch_scc0 .LBB22_10
.LBB22_6:                               ; =>This Inner Loop Header: Depth=1
	v_add_nc_u32_e32 v16, s10, v13
	v_cmp_gt_i32_e64 s1, s13, v16
	v_mov_b32_e32 v16, 0
	s_and_b32 s11, vcc_lo, s1
	s_and_saveexec_b32 s1, s11
	s_cbranch_execz .LBB22_8
; %bb.7:                                ;   in Loop: Header=BB22_6 Depth=1
	global_load_dword v16, v[2:3], off
.LBB22_8:                               ;   in Loop: Header=BB22_6 Depth=1
	s_or_b32 exec_lo, exec_lo, s1
	v_add_nc_u32_e32 v17, s10, v9
	s_waitcnt vmcnt(0)
	ds_write_b32 v14, v16
	v_cmp_gt_i32_e64 s1, s13, v17
	v_mov_b32_e32 v17, 0
	s_and_b32 s11, s1, s0
	s_and_saveexec_b32 s1, s11
	s_cbranch_execz .LBB22_5
; %bb.9:                                ;   in Loop: Header=BB22_6 Depth=1
	global_load_dword v17, v[4:5], off
	s_branch .LBB22_5
.LBB22_10:
	s_clause 0x2
	s_load_dword s2, s[4:5], 0x50
	s_load_dwordx2 s[10:11], s[4:5], 0x58
	s_load_dwordx2 s[4:5], s[4:5], 0x48
	v_add_nc_u32_e32 v10, s7, v1
	v_add_nc_u32_e32 v0, s6, v0
	v_cmp_gt_i32_e64 s0, s12, v10
	v_cmp_le_i32_e32 vcc_lo, v0, v10
	s_waitcnt lgkmcnt(0)
	v_mad_i64_i32 v[1:2], null, v10, s2, 0
	s_mul_i32 s1, s11, s8
	s_mul_hi_u32 s3, s10, s8
	s_mul_i32 s6, s10, s8
	s_add_i32 s7, s3, s1
	s_lshl_b64 s[6:7], s[6:7], 2
	v_lshlrev_b64 v[2:3], 2, v[1:2]
	s_add_u32 s3, s4, s6
	s_addc_u32 s4, s5, s7
	v_cmp_neq_f32_e64 s5, s9, 0
	v_ashrrev_i32_e32 v1, 31, v0
	s_and_b32 s6, s0, vcc_lo
	v_add_co_u32 v4, s1, s3, v2
	v_add_co_ci_u32_e64 v5, null, s4, v3, s1
	v_cndmask_b32_e64 v9, 0, 1, s5
	s_and_saveexec_b32 s1, s6
	s_cbranch_execz .LBB22_14
; %bb.11:
	v_lshlrev_b64 v[2:3], 2, v[0:1]
	v_mul_f32_e32 v11, s14, v12
	v_add_co_u32 v2, vcc_lo, v4, v2
	v_add_co_ci_u32_e64 v3, null, v5, v3, vcc_lo
	s_andn2_b32 vcc_lo, exec_lo, s5
	s_cbranch_vccnz .LBB22_13
; %bb.12:
	global_load_dword v12, v[2:3], off
	s_waitcnt vmcnt(0)
	v_fmac_f32_e32 v11, s9, v12
.LBB22_13:
	global_store_dword v[2:3], v11, off
.LBB22_14:
	s_or_b32 exec_lo, exec_lo, s1
	v_add_nc_u32_e32 v2, 16, v0
	v_cmp_le_i32_e32 vcc_lo, v2, v10
	v_ashrrev_i32_e32 v3, 31, v2
	s_and_b32 s0, s0, vcc_lo
	s_and_saveexec_b32 s1, s0
	s_cbranch_execz .LBB22_18
; %bb.15:
	v_lshlrev_b64 v[11:12], 2, v[2:3]
	v_cmp_ne_u32_e32 vcc_lo, 1, v9
	v_mul_f32_e32 v8, s14, v8
	v_add_co_u32 v4, s0, v4, v11
	v_add_co_ci_u32_e64 v5, null, v5, v12, s0
	s_cbranch_vccnz .LBB22_17
; %bb.16:
	global_load_dword v11, v[4:5], off
	s_waitcnt vmcnt(0)
	v_fmac_f32_e32 v8, s9, v11
.LBB22_17:
	global_store_dword v[4:5], v8, off
.LBB22_18:
	s_or_b32 exec_lo, exec_lo, s1
	v_add_nc_u32_e32 v8, 16, v10
	v_mad_i64_i32 v[4:5], null, v8, s2, 0
	v_cmp_gt_i32_e64 s0, s12, v8
	v_cmp_le_i32_e32 vcc_lo, v0, v8
	v_lshlrev_b64 v[4:5], 2, v[4:5]
	v_add_co_u32 v4, s1, s3, v4
	v_add_co_ci_u32_e64 v5, null, s4, v5, s1
	s_and_b32 s1, s0, vcc_lo
	s_and_saveexec_b32 s2, s1
	s_cbranch_execz .LBB22_22
; %bb.19:
	v_lshlrev_b64 v[0:1], 2, v[0:1]
	v_cmp_ne_u32_e32 vcc_lo, 1, v9
	v_mul_f32_e32 v7, s14, v7
	v_add_co_u32 v0, s1, v4, v0
	v_add_co_ci_u32_e64 v1, null, v5, v1, s1
	s_cbranch_vccnz .LBB22_21
; %bb.20:
	global_load_dword v10, v[0:1], off
	s_waitcnt vmcnt(0)
	v_fmac_f32_e32 v7, s9, v10
.LBB22_21:
	global_store_dword v[0:1], v7, off
.LBB22_22:
	s_or_b32 exec_lo, exec_lo, s2
	v_cmp_le_i32_e32 vcc_lo, v2, v8
	s_and_b32 s0, s0, vcc_lo
	s_and_saveexec_b32 s1, s0
	s_cbranch_execz .LBB22_26
; %bb.23:
	v_lshlrev_b64 v[0:1], 2, v[2:3]
	v_cmp_ne_u32_e32 vcc_lo, 1, v9
	v_mul_f32_e32 v2, s14, v6
	v_add_co_u32 v0, s0, v4, v0
	v_add_co_ci_u32_e64 v1, null, v5, v1, s0
	s_cbranch_vccnz .LBB22_25
; %bb.24:
	global_load_dword v3, v[0:1], off
	s_waitcnt vmcnt(0)
	v_fmac_f32_e32 v2, s9, v3
.LBB22_25:
	global_store_dword v[0:1], v2, off
.LBB22_26:
	s_endpgm
	.section	.rodata,"a",@progbits
	.p2align	6, 0x0
	.amdhsa_kernel _ZL29rocblas_internal_gemmt_kernelIiLi16ELi32ELi8ELc84ELc84ELc85ELb0ELb0EffPKfPfEviT_T9_T10_S3_lS5_S3_lS4_T11_S3_li
		.amdhsa_group_segment_fixed_size 2048
		.amdhsa_private_segment_fixed_size 0
		.amdhsa_kernarg_size 100
		.amdhsa_user_sgpr_count 6
		.amdhsa_user_sgpr_private_segment_buffer 1
		.amdhsa_user_sgpr_dispatch_ptr 0
		.amdhsa_user_sgpr_queue_ptr 0
		.amdhsa_user_sgpr_kernarg_segment_ptr 1
		.amdhsa_user_sgpr_dispatch_id 0
		.amdhsa_user_sgpr_flat_scratch_init 0
		.amdhsa_user_sgpr_private_segment_size 0
		.amdhsa_wavefront_size32 1
		.amdhsa_uses_dynamic_stack 0
		.amdhsa_system_sgpr_private_segment_wavefront_offset 0
		.amdhsa_system_sgpr_workgroup_id_x 1
		.amdhsa_system_sgpr_workgroup_id_y 1
		.amdhsa_system_sgpr_workgroup_id_z 1
		.amdhsa_system_sgpr_workgroup_info 0
		.amdhsa_system_vgpr_workitem_id 1
		.amdhsa_next_free_vgpr 42
		.amdhsa_next_free_sgpr 24
		.amdhsa_reserve_vcc 1
		.amdhsa_reserve_flat_scratch 0
		.amdhsa_float_round_mode_32 0
		.amdhsa_float_round_mode_16_64 0
		.amdhsa_float_denorm_mode_32 3
		.amdhsa_float_denorm_mode_16_64 3
		.amdhsa_dx10_clamp 1
		.amdhsa_ieee_mode 1
		.amdhsa_fp16_overflow 0
		.amdhsa_workgroup_processor_mode 1
		.amdhsa_memory_ordered 1
		.amdhsa_forward_progress 1
		.amdhsa_shared_vgpr_count 0
		.amdhsa_exception_fp_ieee_invalid_op 0
		.amdhsa_exception_fp_denorm_src 0
		.amdhsa_exception_fp_ieee_div_zero 0
		.amdhsa_exception_fp_ieee_overflow 0
		.amdhsa_exception_fp_ieee_underflow 0
		.amdhsa_exception_fp_ieee_inexact 0
		.amdhsa_exception_int_div_zero 0
	.end_amdhsa_kernel
	.section	.text._ZL29rocblas_internal_gemmt_kernelIiLi16ELi32ELi8ELc84ELc84ELc85ELb0ELb0EffPKfPfEviT_T9_T10_S3_lS5_S3_lS4_T11_S3_li,"axG",@progbits,_ZL29rocblas_internal_gemmt_kernelIiLi16ELi32ELi8ELc84ELc84ELc85ELb0ELb0EffPKfPfEviT_T9_T10_S3_lS5_S3_lS4_T11_S3_li,comdat
.Lfunc_end22:
	.size	_ZL29rocblas_internal_gemmt_kernelIiLi16ELi32ELi8ELc84ELc84ELc85ELb0ELb0EffPKfPfEviT_T9_T10_S3_lS5_S3_lS4_T11_S3_li, .Lfunc_end22-_ZL29rocblas_internal_gemmt_kernelIiLi16ELi32ELi8ELc84ELc84ELc85ELb0ELb0EffPKfPfEviT_T9_T10_S3_lS5_S3_lS4_T11_S3_li
                                        ; -- End function
	.set _ZL29rocblas_internal_gemmt_kernelIiLi16ELi32ELi8ELc84ELc84ELc85ELb0ELb0EffPKfPfEviT_T9_T10_S3_lS5_S3_lS4_T11_S3_li.num_vgpr, 42
	.set _ZL29rocblas_internal_gemmt_kernelIiLi16ELi32ELi8ELc84ELc84ELc85ELb0ELb0EffPKfPfEviT_T9_T10_S3_lS5_S3_lS4_T11_S3_li.num_agpr, 0
	.set _ZL29rocblas_internal_gemmt_kernelIiLi16ELi32ELi8ELc84ELc84ELc85ELb0ELb0EffPKfPfEviT_T9_T10_S3_lS5_S3_lS4_T11_S3_li.numbered_sgpr, 24
	.set _ZL29rocblas_internal_gemmt_kernelIiLi16ELi32ELi8ELc84ELc84ELc85ELb0ELb0EffPKfPfEviT_T9_T10_S3_lS5_S3_lS4_T11_S3_li.num_named_barrier, 0
	.set _ZL29rocblas_internal_gemmt_kernelIiLi16ELi32ELi8ELc84ELc84ELc85ELb0ELb0EffPKfPfEviT_T9_T10_S3_lS5_S3_lS4_T11_S3_li.private_seg_size, 0
	.set _ZL29rocblas_internal_gemmt_kernelIiLi16ELi32ELi8ELc84ELc84ELc85ELb0ELb0EffPKfPfEviT_T9_T10_S3_lS5_S3_lS4_T11_S3_li.uses_vcc, 1
	.set _ZL29rocblas_internal_gemmt_kernelIiLi16ELi32ELi8ELc84ELc84ELc85ELb0ELb0EffPKfPfEviT_T9_T10_S3_lS5_S3_lS4_T11_S3_li.uses_flat_scratch, 0
	.set _ZL29rocblas_internal_gemmt_kernelIiLi16ELi32ELi8ELc84ELc84ELc85ELb0ELb0EffPKfPfEviT_T9_T10_S3_lS5_S3_lS4_T11_S3_li.has_dyn_sized_stack, 0
	.set _ZL29rocblas_internal_gemmt_kernelIiLi16ELi32ELi8ELc84ELc84ELc85ELb0ELb0EffPKfPfEviT_T9_T10_S3_lS5_S3_lS4_T11_S3_li.has_recursion, 0
	.set _ZL29rocblas_internal_gemmt_kernelIiLi16ELi32ELi8ELc84ELc84ELc85ELb0ELb0EffPKfPfEviT_T9_T10_S3_lS5_S3_lS4_T11_S3_li.has_indirect_call, 0
	.section	.AMDGPU.csdata,"",@progbits
; Kernel info:
; codeLenInByte = 1412
; TotalNumSgprs: 26
; NumVgprs: 42
; ScratchSize: 0
; MemoryBound: 0
; FloatMode: 240
; IeeeMode: 1
; LDSByteSize: 2048 bytes/workgroup (compile time only)
; SGPRBlocks: 0
; VGPRBlocks: 5
; NumSGPRsForWavesPerEU: 26
; NumVGPRsForWavesPerEU: 42
; Occupancy: 16
; WaveLimiterHint : 0
; COMPUTE_PGM_RSRC2:SCRATCH_EN: 0
; COMPUTE_PGM_RSRC2:USER_SGPR: 6
; COMPUTE_PGM_RSRC2:TRAP_HANDLER: 0
; COMPUTE_PGM_RSRC2:TGID_X_EN: 1
; COMPUTE_PGM_RSRC2:TGID_Y_EN: 1
; COMPUTE_PGM_RSRC2:TGID_Z_EN: 1
; COMPUTE_PGM_RSRC2:TIDIG_COMP_CNT: 1
	.section	.text._ZL29rocblas_internal_gemmt_kernelIiLi16ELi32ELi8ELc84ELc67ELc85ELb0ELb0EffPKfPfEviT_T9_T10_S3_lS5_S3_lS4_T11_S3_li,"axG",@progbits,_ZL29rocblas_internal_gemmt_kernelIiLi16ELi32ELi8ELc84ELc67ELc85ELb0ELb0EffPKfPfEviT_T9_T10_S3_lS5_S3_lS4_T11_S3_li,comdat
	.globl	_ZL29rocblas_internal_gemmt_kernelIiLi16ELi32ELi8ELc84ELc67ELc85ELb0ELb0EffPKfPfEviT_T9_T10_S3_lS5_S3_lS4_T11_S3_li ; -- Begin function _ZL29rocblas_internal_gemmt_kernelIiLi16ELi32ELi8ELc84ELc67ELc85ELb0ELb0EffPKfPfEviT_T9_T10_S3_lS5_S3_lS4_T11_S3_li
	.p2align	8
	.type	_ZL29rocblas_internal_gemmt_kernelIiLi16ELi32ELi8ELc84ELc67ELc85ELb0ELb0EffPKfPfEviT_T9_T10_S3_lS5_S3_lS4_T11_S3_li,@function
_ZL29rocblas_internal_gemmt_kernelIiLi16ELi32ELi8ELc84ELc67ELc85ELb0ELb0EffPKfPfEviT_T9_T10_S3_lS5_S3_lS4_T11_S3_li: ; @_ZL29rocblas_internal_gemmt_kernelIiLi16ELi32ELi8ELc84ELc67ELc85ELb0ELb0EffPKfPfEviT_T9_T10_S3_lS5_S3_lS4_T11_S3_li
; %bb.0:
	s_clause 0x1
	s_load_dword s9, s[4:5], 0x40
	s_load_dwordx4 s[12:15], s[4:5], 0x0
	s_waitcnt lgkmcnt(0)
	v_cmp_neq_f32_e64 s0, s9, 1.0
	s_and_b32 vcc_lo, exec_lo, s0
	s_cbranch_vccnz .LBB23_2
; %bb.1:
	v_cmp_neq_f32_e64 s0, s14, 0
	s_cmp_lg_u32 s13, 0
	s_cselect_b32 s1, -1, 0
	s_and_b32 s0, s1, s0
.LBB23_2:
	s_andn2_b32 vcc_lo, exec_lo, s0
	s_cbranch_vccnz .LBB23_26
; %bb.3:
	s_lshl_b32 s6, s6, 5
	s_lshl_b32 s7, s7, 5
	v_cmp_eq_f32_e64 s0, s14, 0
	s_cmp_lt_i32 s13, 1
	v_mov_b32_e32 v12, 0
	s_cselect_b32 s1, -1, 0
	v_mov_b32_e32 v8, 0
	v_mov_b32_e32 v7, 0
	v_mov_b32_e32 v6, 0
	s_or_b32 s0, s0, s1
	s_mov_b32 s10, 0
	s_and_b32 vcc_lo, exec_lo, s0
	s_cbranch_vccnz .LBB23_10
; %bb.4:
	s_clause 0x1
	s_load_dword s0, s[4:5], 0x18
	s_load_dwordx2 s[2:3], s[4:5], 0x10
	v_lshl_add_u32 v2, v1, 4, v0
	s_clause 0x2
	s_load_dwordx4 s[16:19], s[4:5], 0x20
	s_load_dword s20, s[4:5], 0x30
	s_load_dwordx2 s[22:23], s[4:5], 0x38
	v_and_b32_e32 v9, 7, v0
	v_lshlrev_b32_e32 v10, 2, v0
	v_lshl_add_u32 v11, v1, 5, 0x400
	v_and_b32_e32 v3, 31, v2
	v_lshrrev_b32_e32 v4, 3, v2
	v_lshlrev_b32_e32 v5, 2, v9
	v_lshrrev_b32_e32 v13, 5, v2
	v_add_nc_u32_e32 v7, s6, v3
	v_add_nc_u32_e32 v2, s7, v4
	v_lshl_or_b32 v8, v4, 5, v5
	v_or_b32_e32 v6, s6, v3
	v_lshlrev_b32_e32 v3, 2, v3
	v_lshlrev_b32_e32 v16, 2, v13
	v_add_nc_u32_e32 v15, 0x400, v8
	s_waitcnt lgkmcnt(0)
	v_mad_i64_i32 v[4:5], null, s0, v7, 0
	v_cmp_gt_i32_e32 vcc_lo, s12, v6
	s_mul_i32 s1, s17, s8
	s_mul_hi_u32 s11, s16, s8
	v_mad_i64_i32 v[6:7], null, s20, v9, 0
	s_mul_i32 s16, s16, s8
	v_lshlrev_b64 v[4:5], 2, v[4:5]
	s_add_i32 s17, s11, s1
	v_lshl_or_b32 v14, v13, 7, v3
	s_lshl_b64 s[16:17], s[16:17], 2
	v_ashrrev_i32_e32 v3, 31, v2
	s_mul_hi_u32 s11, s22, s8
	v_add_co_u32 v8, s1, v4, s16
	v_add_co_ci_u32_e64 v12, null, s17, v5, s1
	s_mul_i32 s1, s23, s8
	v_lshlrev_b64 v[4:5], 2, v[6:7]
	s_add_i32 s17, s11, s1
	s_mul_i32 s16, s22, s8
	v_cmp_gt_i32_e64 s0, s12, v2
	s_lshl_b64 s[16:17], s[16:17], 2
	v_lshlrev_b64 v[2:3], 2, v[2:3]
	v_add_co_u32 v4, s1, s16, v4
	v_add_co_ci_u32_e64 v5, null, s17, v5, s1
	v_add_co_u32 v7, s1, v8, v16
	v_add_co_ci_u32_e64 v8, null, 0, v12, s1
	;; [unrolled: 2-line block ×4, first 2 shown]
	v_add_co_u32 v4, s1, s18, v4
	v_mov_b32_e32 v6, 0
	v_add_co_ci_u32_e64 v5, null, s19, v5, s1
	v_mov_b32_e32 v7, 0
	v_mov_b32_e32 v8, 0
	;; [unrolled: 1-line block ×3, first 2 shown]
	s_ashr_i32 s21, s20, 31
	s_lshl_b64 s[2:3], s[20:21], 5
	s_branch .LBB23_6
.LBB23_5:                               ;   in Loop: Header=BB23_6 Depth=1
	s_or_b32 exec_lo, exec_lo, s1
	s_waitcnt vmcnt(0)
	ds_write_b32 v15, v17
	s_waitcnt lgkmcnt(0)
	s_barrier
	buffer_gl0_inv
	ds_read_b128 v[16:19], v11
	ds_read2_b32 v[32:33], v10 offset1:16
	ds_read_b128 v[20:23], v11 offset:512
	ds_read2_b32 v[34:35], v10 offset0:32 offset1:48
	ds_read2_b32 v[36:37], v10 offset0:64 offset1:80
	;; [unrolled: 1-line block ×3, first 2 shown]
	ds_read_b128 v[24:27], v11 offset:16
	ds_read2_b32 v[40:41], v10 offset0:128 offset1:144
	ds_read_b128 v[28:31], v11 offset:528
	v_add_co_u32 v2, s1, v2, 32
	v_add_co_ci_u32_e64 v3, null, 0, v3, s1
	v_add_co_u32 v4, s1, v4, s2
	v_add_co_ci_u32_e64 v5, null, s3, v5, s1
	s_add_i32 s10, s10, 8
	s_cmp_lt_i32 s10, s13
	s_waitcnt lgkmcnt(7)
	v_fmac_f32_e32 v12, v32, v16
	v_fmac_f32_e32 v8, v33, v16
	s_waitcnt lgkmcnt(6)
	v_fmac_f32_e32 v7, v32, v20
	v_fmac_f32_e32 v6, v33, v20
	ds_read2_b32 v[32:33], v10 offset0:160 offset1:176
	s_waitcnt lgkmcnt(6)
	v_fmac_f32_e32 v12, v34, v17
	v_fmac_f32_e32 v8, v35, v17
	v_fmac_f32_e32 v7, v34, v21
	v_fmac_f32_e32 v6, v35, v21
	ds_read2_b32 v[16:17], v10 offset0:192 offset1:208
	s_waitcnt lgkmcnt(6)
	v_fmac_f32_e32 v12, v36, v18
	v_fmac_f32_e32 v8, v37, v18
	;; [unrolled: 6-line block ×3, first 2 shown]
	v_fmac_f32_e32 v7, v38, v23
	v_fmac_f32_e32 v6, v39, v23
	s_waitcnt lgkmcnt(0)
	v_fmac_f32_e32 v12, v40, v24
	v_fmac_f32_e32 v8, v41, v24
	;; [unrolled: 1-line block ×4, first 2 shown]
	s_barrier
	v_fmac_f32_e32 v12, v32, v25
	v_fmac_f32_e32 v8, v33, v25
	;; [unrolled: 1-line block ×4, first 2 shown]
	buffer_gl0_inv
	v_fmac_f32_e32 v12, v16, v26
	v_fmac_f32_e32 v8, v17, v26
	;; [unrolled: 1-line block ×8, first 2 shown]
	s_cbranch_scc0 .LBB23_10
.LBB23_6:                               ; =>This Inner Loop Header: Depth=1
	v_add_nc_u32_e32 v16, s10, v13
	v_cmp_gt_i32_e64 s1, s13, v16
	v_mov_b32_e32 v16, 0
	s_and_b32 s11, vcc_lo, s1
	s_and_saveexec_b32 s1, s11
	s_cbranch_execz .LBB23_8
; %bb.7:                                ;   in Loop: Header=BB23_6 Depth=1
	global_load_dword v16, v[2:3], off
.LBB23_8:                               ;   in Loop: Header=BB23_6 Depth=1
	s_or_b32 exec_lo, exec_lo, s1
	v_add_nc_u32_e32 v17, s10, v9
	s_waitcnt vmcnt(0)
	ds_write_b32 v14, v16
	v_cmp_gt_i32_e64 s1, s13, v17
	v_mov_b32_e32 v17, 0
	s_and_b32 s11, s1, s0
	s_and_saveexec_b32 s1, s11
	s_cbranch_execz .LBB23_5
; %bb.9:                                ;   in Loop: Header=BB23_6 Depth=1
	global_load_dword v17, v[4:5], off
	s_branch .LBB23_5
.LBB23_10:
	s_clause 0x2
	s_load_dword s2, s[4:5], 0x50
	s_load_dwordx2 s[10:11], s[4:5], 0x58
	s_load_dwordx2 s[4:5], s[4:5], 0x48
	v_add_nc_u32_e32 v10, s7, v1
	v_add_nc_u32_e32 v0, s6, v0
	v_cmp_gt_i32_e64 s0, s12, v10
	v_cmp_le_i32_e32 vcc_lo, v0, v10
	s_waitcnt lgkmcnt(0)
	v_mad_i64_i32 v[1:2], null, v10, s2, 0
	s_mul_i32 s1, s11, s8
	s_mul_hi_u32 s3, s10, s8
	s_mul_i32 s6, s10, s8
	s_add_i32 s7, s3, s1
	s_lshl_b64 s[6:7], s[6:7], 2
	v_lshlrev_b64 v[2:3], 2, v[1:2]
	s_add_u32 s3, s4, s6
	s_addc_u32 s4, s5, s7
	v_cmp_neq_f32_e64 s5, s9, 0
	v_ashrrev_i32_e32 v1, 31, v0
	s_and_b32 s6, s0, vcc_lo
	v_add_co_u32 v4, s1, s3, v2
	v_add_co_ci_u32_e64 v5, null, s4, v3, s1
	v_cndmask_b32_e64 v9, 0, 1, s5
	s_and_saveexec_b32 s1, s6
	s_cbranch_execz .LBB23_14
; %bb.11:
	v_lshlrev_b64 v[2:3], 2, v[0:1]
	v_mul_f32_e32 v11, s14, v12
	v_add_co_u32 v2, vcc_lo, v4, v2
	v_add_co_ci_u32_e64 v3, null, v5, v3, vcc_lo
	s_andn2_b32 vcc_lo, exec_lo, s5
	s_cbranch_vccnz .LBB23_13
; %bb.12:
	global_load_dword v12, v[2:3], off
	s_waitcnt vmcnt(0)
	v_fmac_f32_e32 v11, s9, v12
.LBB23_13:
	global_store_dword v[2:3], v11, off
.LBB23_14:
	s_or_b32 exec_lo, exec_lo, s1
	v_add_nc_u32_e32 v2, 16, v0
	v_cmp_le_i32_e32 vcc_lo, v2, v10
	v_ashrrev_i32_e32 v3, 31, v2
	s_and_b32 s0, s0, vcc_lo
	s_and_saveexec_b32 s1, s0
	s_cbranch_execz .LBB23_18
; %bb.15:
	v_lshlrev_b64 v[11:12], 2, v[2:3]
	v_cmp_ne_u32_e32 vcc_lo, 1, v9
	v_mul_f32_e32 v8, s14, v8
	v_add_co_u32 v4, s0, v4, v11
	v_add_co_ci_u32_e64 v5, null, v5, v12, s0
	s_cbranch_vccnz .LBB23_17
; %bb.16:
	global_load_dword v11, v[4:5], off
	s_waitcnt vmcnt(0)
	v_fmac_f32_e32 v8, s9, v11
.LBB23_17:
	global_store_dword v[4:5], v8, off
.LBB23_18:
	s_or_b32 exec_lo, exec_lo, s1
	v_add_nc_u32_e32 v8, 16, v10
	v_mad_i64_i32 v[4:5], null, v8, s2, 0
	v_cmp_gt_i32_e64 s0, s12, v8
	v_cmp_le_i32_e32 vcc_lo, v0, v8
	v_lshlrev_b64 v[4:5], 2, v[4:5]
	v_add_co_u32 v4, s1, s3, v4
	v_add_co_ci_u32_e64 v5, null, s4, v5, s1
	s_and_b32 s1, s0, vcc_lo
	s_and_saveexec_b32 s2, s1
	s_cbranch_execz .LBB23_22
; %bb.19:
	v_lshlrev_b64 v[0:1], 2, v[0:1]
	v_cmp_ne_u32_e32 vcc_lo, 1, v9
	v_mul_f32_e32 v7, s14, v7
	v_add_co_u32 v0, s1, v4, v0
	v_add_co_ci_u32_e64 v1, null, v5, v1, s1
	s_cbranch_vccnz .LBB23_21
; %bb.20:
	global_load_dword v10, v[0:1], off
	s_waitcnt vmcnt(0)
	v_fmac_f32_e32 v7, s9, v10
.LBB23_21:
	global_store_dword v[0:1], v7, off
.LBB23_22:
	s_or_b32 exec_lo, exec_lo, s2
	v_cmp_le_i32_e32 vcc_lo, v2, v8
	s_and_b32 s0, s0, vcc_lo
	s_and_saveexec_b32 s1, s0
	s_cbranch_execz .LBB23_26
; %bb.23:
	v_lshlrev_b64 v[0:1], 2, v[2:3]
	v_cmp_ne_u32_e32 vcc_lo, 1, v9
	v_mul_f32_e32 v2, s14, v6
	v_add_co_u32 v0, s0, v4, v0
	v_add_co_ci_u32_e64 v1, null, v5, v1, s0
	s_cbranch_vccnz .LBB23_25
; %bb.24:
	global_load_dword v3, v[0:1], off
	s_waitcnt vmcnt(0)
	v_fmac_f32_e32 v2, s9, v3
.LBB23_25:
	global_store_dword v[0:1], v2, off
.LBB23_26:
	s_endpgm
	.section	.rodata,"a",@progbits
	.p2align	6, 0x0
	.amdhsa_kernel _ZL29rocblas_internal_gemmt_kernelIiLi16ELi32ELi8ELc84ELc67ELc85ELb0ELb0EffPKfPfEviT_T9_T10_S3_lS5_S3_lS4_T11_S3_li
		.amdhsa_group_segment_fixed_size 2048
		.amdhsa_private_segment_fixed_size 0
		.amdhsa_kernarg_size 100
		.amdhsa_user_sgpr_count 6
		.amdhsa_user_sgpr_private_segment_buffer 1
		.amdhsa_user_sgpr_dispatch_ptr 0
		.amdhsa_user_sgpr_queue_ptr 0
		.amdhsa_user_sgpr_kernarg_segment_ptr 1
		.amdhsa_user_sgpr_dispatch_id 0
		.amdhsa_user_sgpr_flat_scratch_init 0
		.amdhsa_user_sgpr_private_segment_size 0
		.amdhsa_wavefront_size32 1
		.amdhsa_uses_dynamic_stack 0
		.amdhsa_system_sgpr_private_segment_wavefront_offset 0
		.amdhsa_system_sgpr_workgroup_id_x 1
		.amdhsa_system_sgpr_workgroup_id_y 1
		.amdhsa_system_sgpr_workgroup_id_z 1
		.amdhsa_system_sgpr_workgroup_info 0
		.amdhsa_system_vgpr_workitem_id 1
		.amdhsa_next_free_vgpr 42
		.amdhsa_next_free_sgpr 24
		.amdhsa_reserve_vcc 1
		.amdhsa_reserve_flat_scratch 0
		.amdhsa_float_round_mode_32 0
		.amdhsa_float_round_mode_16_64 0
		.amdhsa_float_denorm_mode_32 3
		.amdhsa_float_denorm_mode_16_64 3
		.amdhsa_dx10_clamp 1
		.amdhsa_ieee_mode 1
		.amdhsa_fp16_overflow 0
		.amdhsa_workgroup_processor_mode 1
		.amdhsa_memory_ordered 1
		.amdhsa_forward_progress 1
		.amdhsa_shared_vgpr_count 0
		.amdhsa_exception_fp_ieee_invalid_op 0
		.amdhsa_exception_fp_denorm_src 0
		.amdhsa_exception_fp_ieee_div_zero 0
		.amdhsa_exception_fp_ieee_overflow 0
		.amdhsa_exception_fp_ieee_underflow 0
		.amdhsa_exception_fp_ieee_inexact 0
		.amdhsa_exception_int_div_zero 0
	.end_amdhsa_kernel
	.section	.text._ZL29rocblas_internal_gemmt_kernelIiLi16ELi32ELi8ELc84ELc67ELc85ELb0ELb0EffPKfPfEviT_T9_T10_S3_lS5_S3_lS4_T11_S3_li,"axG",@progbits,_ZL29rocblas_internal_gemmt_kernelIiLi16ELi32ELi8ELc84ELc67ELc85ELb0ELb0EffPKfPfEviT_T9_T10_S3_lS5_S3_lS4_T11_S3_li,comdat
.Lfunc_end23:
	.size	_ZL29rocblas_internal_gemmt_kernelIiLi16ELi32ELi8ELc84ELc67ELc85ELb0ELb0EffPKfPfEviT_T9_T10_S3_lS5_S3_lS4_T11_S3_li, .Lfunc_end23-_ZL29rocblas_internal_gemmt_kernelIiLi16ELi32ELi8ELc84ELc67ELc85ELb0ELb0EffPKfPfEviT_T9_T10_S3_lS5_S3_lS4_T11_S3_li
                                        ; -- End function
	.set _ZL29rocblas_internal_gemmt_kernelIiLi16ELi32ELi8ELc84ELc67ELc85ELb0ELb0EffPKfPfEviT_T9_T10_S3_lS5_S3_lS4_T11_S3_li.num_vgpr, 42
	.set _ZL29rocblas_internal_gemmt_kernelIiLi16ELi32ELi8ELc84ELc67ELc85ELb0ELb0EffPKfPfEviT_T9_T10_S3_lS5_S3_lS4_T11_S3_li.num_agpr, 0
	.set _ZL29rocblas_internal_gemmt_kernelIiLi16ELi32ELi8ELc84ELc67ELc85ELb0ELb0EffPKfPfEviT_T9_T10_S3_lS5_S3_lS4_T11_S3_li.numbered_sgpr, 24
	.set _ZL29rocblas_internal_gemmt_kernelIiLi16ELi32ELi8ELc84ELc67ELc85ELb0ELb0EffPKfPfEviT_T9_T10_S3_lS5_S3_lS4_T11_S3_li.num_named_barrier, 0
	.set _ZL29rocblas_internal_gemmt_kernelIiLi16ELi32ELi8ELc84ELc67ELc85ELb0ELb0EffPKfPfEviT_T9_T10_S3_lS5_S3_lS4_T11_S3_li.private_seg_size, 0
	.set _ZL29rocblas_internal_gemmt_kernelIiLi16ELi32ELi8ELc84ELc67ELc85ELb0ELb0EffPKfPfEviT_T9_T10_S3_lS5_S3_lS4_T11_S3_li.uses_vcc, 1
	.set _ZL29rocblas_internal_gemmt_kernelIiLi16ELi32ELi8ELc84ELc67ELc85ELb0ELb0EffPKfPfEviT_T9_T10_S3_lS5_S3_lS4_T11_S3_li.uses_flat_scratch, 0
	.set _ZL29rocblas_internal_gemmt_kernelIiLi16ELi32ELi8ELc84ELc67ELc85ELb0ELb0EffPKfPfEviT_T9_T10_S3_lS5_S3_lS4_T11_S3_li.has_dyn_sized_stack, 0
	.set _ZL29rocblas_internal_gemmt_kernelIiLi16ELi32ELi8ELc84ELc67ELc85ELb0ELb0EffPKfPfEviT_T9_T10_S3_lS5_S3_lS4_T11_S3_li.has_recursion, 0
	.set _ZL29rocblas_internal_gemmt_kernelIiLi16ELi32ELi8ELc84ELc67ELc85ELb0ELb0EffPKfPfEviT_T9_T10_S3_lS5_S3_lS4_T11_S3_li.has_indirect_call, 0
	.section	.AMDGPU.csdata,"",@progbits
; Kernel info:
; codeLenInByte = 1412
; TotalNumSgprs: 26
; NumVgprs: 42
; ScratchSize: 0
; MemoryBound: 0
; FloatMode: 240
; IeeeMode: 1
; LDSByteSize: 2048 bytes/workgroup (compile time only)
; SGPRBlocks: 0
; VGPRBlocks: 5
; NumSGPRsForWavesPerEU: 26
; NumVGPRsForWavesPerEU: 42
; Occupancy: 16
; WaveLimiterHint : 0
; COMPUTE_PGM_RSRC2:SCRATCH_EN: 0
; COMPUTE_PGM_RSRC2:USER_SGPR: 6
; COMPUTE_PGM_RSRC2:TRAP_HANDLER: 0
; COMPUTE_PGM_RSRC2:TGID_X_EN: 1
; COMPUTE_PGM_RSRC2:TGID_Y_EN: 1
; COMPUTE_PGM_RSRC2:TGID_Z_EN: 1
; COMPUTE_PGM_RSRC2:TIDIG_COMP_CNT: 1
	.section	.text._ZL29rocblas_internal_gemmt_kernelIiLi16ELi32ELi8ELc67ELc78ELc85ELb0ELb0EffPKfPfEviT_T9_T10_S3_lS5_S3_lS4_T11_S3_li,"axG",@progbits,_ZL29rocblas_internal_gemmt_kernelIiLi16ELi32ELi8ELc67ELc78ELc85ELb0ELb0EffPKfPfEviT_T9_T10_S3_lS5_S3_lS4_T11_S3_li,comdat
	.globl	_ZL29rocblas_internal_gemmt_kernelIiLi16ELi32ELi8ELc67ELc78ELc85ELb0ELb0EffPKfPfEviT_T9_T10_S3_lS5_S3_lS4_T11_S3_li ; -- Begin function _ZL29rocblas_internal_gemmt_kernelIiLi16ELi32ELi8ELc67ELc78ELc85ELb0ELb0EffPKfPfEviT_T9_T10_S3_lS5_S3_lS4_T11_S3_li
	.p2align	8
	.type	_ZL29rocblas_internal_gemmt_kernelIiLi16ELi32ELi8ELc67ELc78ELc85ELb0ELb0EffPKfPfEviT_T9_T10_S3_lS5_S3_lS4_T11_S3_li,@function
_ZL29rocblas_internal_gemmt_kernelIiLi16ELi32ELi8ELc67ELc78ELc85ELb0ELb0EffPKfPfEviT_T9_T10_S3_lS5_S3_lS4_T11_S3_li: ; @_ZL29rocblas_internal_gemmt_kernelIiLi16ELi32ELi8ELc67ELc78ELc85ELb0ELb0EffPKfPfEviT_T9_T10_S3_lS5_S3_lS4_T11_S3_li
; %bb.0:
	s_clause 0x1
	s_load_dword s2, s[4:5], 0x40
	s_load_dwordx4 s[12:15], s[4:5], 0x0
	s_waitcnt lgkmcnt(0)
	v_cmp_neq_f32_e64 s0, s2, 1.0
	s_and_b32 vcc_lo, exec_lo, s0
	s_cbranch_vccnz .LBB24_2
; %bb.1:
	v_cmp_neq_f32_e64 s0, s14, 0
	s_cmp_lg_u32 s13, 0
	s_cselect_b32 s1, -1, 0
	s_and_b32 s0, s1, s0
.LBB24_2:
	s_andn2_b32 vcc_lo, exec_lo, s0
	s_cbranch_vccnz .LBB24_26
; %bb.3:
	s_lshl_b32 s3, s6, 5
	s_lshl_b32 s6, s7, 5
	v_cmp_eq_f32_e64 s0, s14, 0
	s_cmp_lt_i32 s13, 1
	v_mov_b32_e32 v10, 0
	s_cselect_b32 s1, -1, 0
	v_mov_b32_e32 v8, 0
	v_mov_b32_e32 v7, 0
	;; [unrolled: 1-line block ×3, first 2 shown]
	s_or_b32 s0, s0, s1
	s_mov_b32 s7, 0
	s_and_b32 vcc_lo, exec_lo, s0
	s_cbranch_vccnz .LBB24_10
; %bb.4:
	s_clause 0x1
	s_load_dword s0, s[4:5], 0x18
	s_load_dwordx2 s[10:11], s[4:5], 0x10
	v_lshl_add_u32 v2, v1, 4, v0
	s_clause 0x2
	s_load_dwordx4 s[16:19], s[4:5], 0x20
	s_load_dword s1, s[4:5], 0x30
	s_load_dwordx2 s[20:21], s[4:5], 0x38
	v_and_b32_e32 v9, 7, v0
	v_lshlrev_b32_e32 v11, 2, v0
	v_lshl_add_u32 v12, v1, 5, 0x400
	v_and_b32_e32 v4, 31, v2
	v_lshrrev_b32_e32 v3, 3, v2
	v_lshrrev_b32_e32 v13, 5, v2
	v_lshlrev_b32_e32 v7, 2, v9
	v_add_nc_u32_e32 v2, s3, v4
	v_add_nc_u32_e32 v5, s6, v3
	v_or_b32_e32 v6, s3, v4
	v_lshl_or_b32 v8, v3, 5, v7
	v_lshlrev_b32_e32 v4, 2, v4
	v_lshlrev_b32_e32 v16, 2, v13
	v_cmp_gt_i32_e32 vcc_lo, s12, v6
	s_waitcnt lgkmcnt(0)
	v_mad_i64_i32 v[2:3], null, s0, v2, 0
	v_lshl_or_b32 v14, v13, 7, v4
	v_cmp_gt_i32_e64 s0, s12, v5
	s_mul_i32 s9, s17, s8
	s_mul_hi_u32 s15, s16, s8
	v_mad_i64_i32 v[4:5], null, s1, v5, 0
	v_lshlrev_b64 v[2:3], 2, v[2:3]
	s_mul_i32 s16, s16, s8
	s_add_i32 s17, s15, s9
	v_add_nc_u32_e32 v15, 0x400, v8
	s_lshl_b64 s[16:17], s[16:17], 2
	s_mul_hi_u32 s9, s20, s8
	v_add_co_u32 v8, s1, v2, s16
	v_add_co_ci_u32_e64 v10, null, s17, v3, s1
	s_mul_i32 s1, s21, s8
	v_lshlrev_b64 v[2:3], 2, v[4:5]
	s_add_i32 s17, s9, s1
	s_mul_i32 s16, s20, s8
	v_mov_b32_e32 v6, 0
	s_lshl_b64 s[16:17], s[16:17], 2
	v_add_co_u32 v2, s1, v2, s16
	v_add_co_ci_u32_e64 v3, null, s17, v3, s1
	v_add_co_u32 v4, s1, v8, v16
	v_add_co_ci_u32_e64 v5, null, 0, v10, s1
	;; [unrolled: 2-line block ×5, first 2 shown]
	v_mov_b32_e32 v7, 0
	v_mov_b32_e32 v8, 0
	;; [unrolled: 1-line block ×3, first 2 shown]
	s_branch .LBB24_6
.LBB24_5:                               ;   in Loop: Header=BB24_6 Depth=1
	s_or_b32 exec_lo, exec_lo, s1
	s_waitcnt vmcnt(0)
	ds_write_b32 v15, v17
	s_waitcnt lgkmcnt(0)
	s_barrier
	buffer_gl0_inv
	ds_read_b128 v[16:19], v12
	ds_read2_b32 v[32:33], v11 offset1:16
	ds_read_b128 v[20:23], v12 offset:512
	ds_read2_b32 v[34:35], v11 offset0:32 offset1:48
	ds_read2_b32 v[36:37], v11 offset0:64 offset1:80
	;; [unrolled: 1-line block ×3, first 2 shown]
	ds_read_b128 v[24:27], v12 offset:16
	ds_read2_b32 v[40:41], v11 offset0:128 offset1:144
	ds_read_b128 v[28:31], v12 offset:528
	v_add_co_u32 v2, s1, v2, 32
	v_add_co_ci_u32_e64 v3, null, 0, v3, s1
	v_add_co_u32 v4, s1, v4, 32
	v_add_co_ci_u32_e64 v5, null, 0, v5, s1
	s_add_i32 s7, s7, 8
	s_cmp_lt_i32 s7, s13
	s_waitcnt lgkmcnt(7)
	v_fmac_f32_e32 v10, v32, v16
	v_fmac_f32_e32 v8, v33, v16
	s_waitcnt lgkmcnt(6)
	v_fmac_f32_e32 v7, v32, v20
	v_fmac_f32_e32 v6, v33, v20
	ds_read2_b32 v[32:33], v11 offset0:160 offset1:176
	s_waitcnt lgkmcnt(6)
	v_fmac_f32_e32 v10, v34, v17
	v_fmac_f32_e32 v8, v35, v17
	v_fmac_f32_e32 v7, v34, v21
	v_fmac_f32_e32 v6, v35, v21
	ds_read2_b32 v[16:17], v11 offset0:192 offset1:208
	s_waitcnt lgkmcnt(6)
	v_fmac_f32_e32 v10, v36, v18
	v_fmac_f32_e32 v8, v37, v18
	;; [unrolled: 6-line block ×3, first 2 shown]
	v_fmac_f32_e32 v7, v38, v23
	v_fmac_f32_e32 v6, v39, v23
	s_waitcnt lgkmcnt(0)
	v_fmac_f32_e32 v10, v40, v24
	v_fmac_f32_e32 v8, v41, v24
	;; [unrolled: 1-line block ×4, first 2 shown]
	s_barrier
	v_fmac_f32_e32 v10, v32, v25
	v_fmac_f32_e32 v8, v33, v25
	;; [unrolled: 1-line block ×4, first 2 shown]
	buffer_gl0_inv
	v_fmac_f32_e32 v10, v16, v26
	v_fmac_f32_e32 v8, v17, v26
	;; [unrolled: 1-line block ×8, first 2 shown]
	s_cbranch_scc0 .LBB24_10
.LBB24_6:                               ; =>This Inner Loop Header: Depth=1
	v_add_nc_u32_e32 v16, s7, v13
	v_cmp_gt_i32_e64 s1, s13, v16
	v_mov_b32_e32 v16, 0
	s_and_b32 s9, vcc_lo, s1
	s_and_saveexec_b32 s1, s9
	s_cbranch_execz .LBB24_8
; %bb.7:                                ;   in Loop: Header=BB24_6 Depth=1
	global_load_dword v16, v[2:3], off
.LBB24_8:                               ;   in Loop: Header=BB24_6 Depth=1
	s_or_b32 exec_lo, exec_lo, s1
	v_add_nc_u32_e32 v17, s7, v9
	s_waitcnt vmcnt(0)
	ds_write_b32 v14, v16
	v_cmp_gt_i32_e64 s1, s13, v17
	v_mov_b32_e32 v17, 0
	s_and_b32 s9, s1, s0
	s_and_saveexec_b32 s1, s9
	s_cbranch_execz .LBB24_5
; %bb.9:                                ;   in Loop: Header=BB24_6 Depth=1
	global_load_dword v17, v[4:5], off
	s_branch .LBB24_5
.LBB24_10:
	s_clause 0x2
	s_load_dword s7, s[4:5], 0x50
	s_load_dwordx2 s[10:11], s[4:5], 0x58
	s_load_dwordx2 s[4:5], s[4:5], 0x48
	v_add_nc_u32_e32 v11, s6, v1
	v_add_nc_u32_e32 v0, s3, v0
	v_cmp_gt_i32_e64 s0, s12, v11
	v_cmp_le_i32_e32 vcc_lo, v0, v11
	s_waitcnt lgkmcnt(0)
	v_mad_i64_i32 v[1:2], null, v11, s7, 0
	s_mul_i32 s1, s11, s8
	s_mul_hi_u32 s3, s10, s8
	s_mul_i32 s8, s10, s8
	s_add_i32 s9, s3, s1
	s_lshl_b64 s[8:9], s[8:9], 2
	v_lshlrev_b64 v[2:3], 2, v[1:2]
	s_add_u32 s3, s4, s8
	s_addc_u32 s4, s5, s9
	v_cmp_neq_f32_e64 s5, s2, 0
	v_ashrrev_i32_e32 v1, 31, v0
	s_and_b32 s6, s0, vcc_lo
	v_add_co_u32 v4, s1, s3, v2
	v_add_co_ci_u32_e64 v5, null, s4, v3, s1
	v_cndmask_b32_e64 v9, 0, 1, s5
	s_and_saveexec_b32 s1, s6
	s_cbranch_execz .LBB24_14
; %bb.11:
	v_lshlrev_b64 v[2:3], 2, v[0:1]
	v_mul_f32_e32 v10, s14, v10
	v_add_co_u32 v2, vcc_lo, v4, v2
	v_add_co_ci_u32_e64 v3, null, v5, v3, vcc_lo
	s_andn2_b32 vcc_lo, exec_lo, s5
	s_cbranch_vccnz .LBB24_13
; %bb.12:
	global_load_dword v12, v[2:3], off
	s_waitcnt vmcnt(0)
	v_fmac_f32_e32 v10, s2, v12
.LBB24_13:
	global_store_dword v[2:3], v10, off
.LBB24_14:
	s_or_b32 exec_lo, exec_lo, s1
	v_add_nc_u32_e32 v2, 16, v0
	v_cmp_le_i32_e32 vcc_lo, v2, v11
	v_ashrrev_i32_e32 v3, 31, v2
	s_and_b32 s0, s0, vcc_lo
	s_and_saveexec_b32 s1, s0
	s_cbranch_execz .LBB24_18
; %bb.15:
	v_lshlrev_b64 v[12:13], 2, v[2:3]
	v_cmp_ne_u32_e32 vcc_lo, 1, v9
	v_mul_f32_e32 v8, s14, v8
	v_add_co_u32 v4, s0, v4, v12
	v_add_co_ci_u32_e64 v5, null, v5, v13, s0
	s_cbranch_vccnz .LBB24_17
; %bb.16:
	global_load_dword v10, v[4:5], off
	s_waitcnt vmcnt(0)
	v_fmac_f32_e32 v8, s2, v10
.LBB24_17:
	global_store_dword v[4:5], v8, off
.LBB24_18:
	s_or_b32 exec_lo, exec_lo, s1
	v_add_nc_u32_e32 v8, 16, v11
	v_mad_i64_i32 v[4:5], null, v8, s7, 0
	v_cmp_gt_i32_e64 s0, s12, v8
	v_cmp_le_i32_e32 vcc_lo, v0, v8
	v_lshlrev_b64 v[4:5], 2, v[4:5]
	v_add_co_u32 v4, s1, s3, v4
	v_add_co_ci_u32_e64 v5, null, s4, v5, s1
	s_and_b32 s1, s0, vcc_lo
	s_and_saveexec_b32 s3, s1
	s_cbranch_execz .LBB24_22
; %bb.19:
	v_lshlrev_b64 v[0:1], 2, v[0:1]
	v_cmp_ne_u32_e32 vcc_lo, 1, v9
	v_mul_f32_e32 v7, s14, v7
	v_add_co_u32 v0, s1, v4, v0
	v_add_co_ci_u32_e64 v1, null, v5, v1, s1
	s_cbranch_vccnz .LBB24_21
; %bb.20:
	global_load_dword v10, v[0:1], off
	s_waitcnt vmcnt(0)
	v_fmac_f32_e32 v7, s2, v10
.LBB24_21:
	global_store_dword v[0:1], v7, off
.LBB24_22:
	s_or_b32 exec_lo, exec_lo, s3
	v_cmp_le_i32_e32 vcc_lo, v2, v8
	s_and_b32 s0, s0, vcc_lo
	s_and_saveexec_b32 s1, s0
	s_cbranch_execz .LBB24_26
; %bb.23:
	v_lshlrev_b64 v[0:1], 2, v[2:3]
	v_cmp_ne_u32_e32 vcc_lo, 1, v9
	v_mul_f32_e32 v2, s14, v6
	v_add_co_u32 v0, s0, v4, v0
	v_add_co_ci_u32_e64 v1, null, v5, v1, s0
	s_cbranch_vccnz .LBB24_25
; %bb.24:
	global_load_dword v3, v[0:1], off
	s_waitcnt vmcnt(0)
	v_fmac_f32_e32 v2, s2, v3
.LBB24_25:
	global_store_dword v[0:1], v2, off
.LBB24_26:
	s_endpgm
	.section	.rodata,"a",@progbits
	.p2align	6, 0x0
	.amdhsa_kernel _ZL29rocblas_internal_gemmt_kernelIiLi16ELi32ELi8ELc67ELc78ELc85ELb0ELb0EffPKfPfEviT_T9_T10_S3_lS5_S3_lS4_T11_S3_li
		.amdhsa_group_segment_fixed_size 2048
		.amdhsa_private_segment_fixed_size 0
		.amdhsa_kernarg_size 100
		.amdhsa_user_sgpr_count 6
		.amdhsa_user_sgpr_private_segment_buffer 1
		.amdhsa_user_sgpr_dispatch_ptr 0
		.amdhsa_user_sgpr_queue_ptr 0
		.amdhsa_user_sgpr_kernarg_segment_ptr 1
		.amdhsa_user_sgpr_dispatch_id 0
		.amdhsa_user_sgpr_flat_scratch_init 0
		.amdhsa_user_sgpr_private_segment_size 0
		.amdhsa_wavefront_size32 1
		.amdhsa_uses_dynamic_stack 0
		.amdhsa_system_sgpr_private_segment_wavefront_offset 0
		.amdhsa_system_sgpr_workgroup_id_x 1
		.amdhsa_system_sgpr_workgroup_id_y 1
		.amdhsa_system_sgpr_workgroup_id_z 1
		.amdhsa_system_sgpr_workgroup_info 0
		.amdhsa_system_vgpr_workitem_id 1
		.amdhsa_next_free_vgpr 42
		.amdhsa_next_free_sgpr 22
		.amdhsa_reserve_vcc 1
		.amdhsa_reserve_flat_scratch 0
		.amdhsa_float_round_mode_32 0
		.amdhsa_float_round_mode_16_64 0
		.amdhsa_float_denorm_mode_32 3
		.amdhsa_float_denorm_mode_16_64 3
		.amdhsa_dx10_clamp 1
		.amdhsa_ieee_mode 1
		.amdhsa_fp16_overflow 0
		.amdhsa_workgroup_processor_mode 1
		.amdhsa_memory_ordered 1
		.amdhsa_forward_progress 1
		.amdhsa_shared_vgpr_count 0
		.amdhsa_exception_fp_ieee_invalid_op 0
		.amdhsa_exception_fp_denorm_src 0
		.amdhsa_exception_fp_ieee_div_zero 0
		.amdhsa_exception_fp_ieee_overflow 0
		.amdhsa_exception_fp_ieee_underflow 0
		.amdhsa_exception_fp_ieee_inexact 0
		.amdhsa_exception_int_div_zero 0
	.end_amdhsa_kernel
	.section	.text._ZL29rocblas_internal_gemmt_kernelIiLi16ELi32ELi8ELc67ELc78ELc85ELb0ELb0EffPKfPfEviT_T9_T10_S3_lS5_S3_lS4_T11_S3_li,"axG",@progbits,_ZL29rocblas_internal_gemmt_kernelIiLi16ELi32ELi8ELc67ELc78ELc85ELb0ELb0EffPKfPfEviT_T9_T10_S3_lS5_S3_lS4_T11_S3_li,comdat
.Lfunc_end24:
	.size	_ZL29rocblas_internal_gemmt_kernelIiLi16ELi32ELi8ELc67ELc78ELc85ELb0ELb0EffPKfPfEviT_T9_T10_S3_lS5_S3_lS4_T11_S3_li, .Lfunc_end24-_ZL29rocblas_internal_gemmt_kernelIiLi16ELi32ELi8ELc67ELc78ELc85ELb0ELb0EffPKfPfEviT_T9_T10_S3_lS5_S3_lS4_T11_S3_li
                                        ; -- End function
	.set _ZL29rocblas_internal_gemmt_kernelIiLi16ELi32ELi8ELc67ELc78ELc85ELb0ELb0EffPKfPfEviT_T9_T10_S3_lS5_S3_lS4_T11_S3_li.num_vgpr, 42
	.set _ZL29rocblas_internal_gemmt_kernelIiLi16ELi32ELi8ELc67ELc78ELc85ELb0ELb0EffPKfPfEviT_T9_T10_S3_lS5_S3_lS4_T11_S3_li.num_agpr, 0
	.set _ZL29rocblas_internal_gemmt_kernelIiLi16ELi32ELi8ELc67ELc78ELc85ELb0ELb0EffPKfPfEviT_T9_T10_S3_lS5_S3_lS4_T11_S3_li.numbered_sgpr, 22
	.set _ZL29rocblas_internal_gemmt_kernelIiLi16ELi32ELi8ELc67ELc78ELc85ELb0ELb0EffPKfPfEviT_T9_T10_S3_lS5_S3_lS4_T11_S3_li.num_named_barrier, 0
	.set _ZL29rocblas_internal_gemmt_kernelIiLi16ELi32ELi8ELc67ELc78ELc85ELb0ELb0EffPKfPfEviT_T9_T10_S3_lS5_S3_lS4_T11_S3_li.private_seg_size, 0
	.set _ZL29rocblas_internal_gemmt_kernelIiLi16ELi32ELi8ELc67ELc78ELc85ELb0ELb0EffPKfPfEviT_T9_T10_S3_lS5_S3_lS4_T11_S3_li.uses_vcc, 1
	.set _ZL29rocblas_internal_gemmt_kernelIiLi16ELi32ELi8ELc67ELc78ELc85ELb0ELb0EffPKfPfEviT_T9_T10_S3_lS5_S3_lS4_T11_S3_li.uses_flat_scratch, 0
	.set _ZL29rocblas_internal_gemmt_kernelIiLi16ELi32ELi8ELc67ELc78ELc85ELb0ELb0EffPKfPfEviT_T9_T10_S3_lS5_S3_lS4_T11_S3_li.has_dyn_sized_stack, 0
	.set _ZL29rocblas_internal_gemmt_kernelIiLi16ELi32ELi8ELc67ELc78ELc85ELb0ELb0EffPKfPfEviT_T9_T10_S3_lS5_S3_lS4_T11_S3_li.has_recursion, 0
	.set _ZL29rocblas_internal_gemmt_kernelIiLi16ELi32ELi8ELc67ELc78ELc85ELb0ELb0EffPKfPfEviT_T9_T10_S3_lS5_S3_lS4_T11_S3_li.has_indirect_call, 0
	.section	.AMDGPU.csdata,"",@progbits
; Kernel info:
; codeLenInByte = 1392
; TotalNumSgprs: 24
; NumVgprs: 42
; ScratchSize: 0
; MemoryBound: 0
; FloatMode: 240
; IeeeMode: 1
; LDSByteSize: 2048 bytes/workgroup (compile time only)
; SGPRBlocks: 0
; VGPRBlocks: 5
; NumSGPRsForWavesPerEU: 24
; NumVGPRsForWavesPerEU: 42
; Occupancy: 16
; WaveLimiterHint : 0
; COMPUTE_PGM_RSRC2:SCRATCH_EN: 0
; COMPUTE_PGM_RSRC2:USER_SGPR: 6
; COMPUTE_PGM_RSRC2:TRAP_HANDLER: 0
; COMPUTE_PGM_RSRC2:TGID_X_EN: 1
; COMPUTE_PGM_RSRC2:TGID_Y_EN: 1
; COMPUTE_PGM_RSRC2:TGID_Z_EN: 1
; COMPUTE_PGM_RSRC2:TIDIG_COMP_CNT: 1
	.section	.text._ZL29rocblas_internal_gemmt_kernelIiLi16ELi32ELi8ELc67ELc84ELc85ELb0ELb0EffPKfPfEviT_T9_T10_S3_lS5_S3_lS4_T11_S3_li,"axG",@progbits,_ZL29rocblas_internal_gemmt_kernelIiLi16ELi32ELi8ELc67ELc84ELc85ELb0ELb0EffPKfPfEviT_T9_T10_S3_lS5_S3_lS4_T11_S3_li,comdat
	.globl	_ZL29rocblas_internal_gemmt_kernelIiLi16ELi32ELi8ELc67ELc84ELc85ELb0ELb0EffPKfPfEviT_T9_T10_S3_lS5_S3_lS4_T11_S3_li ; -- Begin function _ZL29rocblas_internal_gemmt_kernelIiLi16ELi32ELi8ELc67ELc84ELc85ELb0ELb0EffPKfPfEviT_T9_T10_S3_lS5_S3_lS4_T11_S3_li
	.p2align	8
	.type	_ZL29rocblas_internal_gemmt_kernelIiLi16ELi32ELi8ELc67ELc84ELc85ELb0ELb0EffPKfPfEviT_T9_T10_S3_lS5_S3_lS4_T11_S3_li,@function
_ZL29rocblas_internal_gemmt_kernelIiLi16ELi32ELi8ELc67ELc84ELc85ELb0ELb0EffPKfPfEviT_T9_T10_S3_lS5_S3_lS4_T11_S3_li: ; @_ZL29rocblas_internal_gemmt_kernelIiLi16ELi32ELi8ELc67ELc84ELc85ELb0ELb0EffPKfPfEviT_T9_T10_S3_lS5_S3_lS4_T11_S3_li
; %bb.0:
	s_clause 0x1
	s_load_dword s9, s[4:5], 0x40
	s_load_dwordx4 s[12:15], s[4:5], 0x0
	s_waitcnt lgkmcnt(0)
	v_cmp_neq_f32_e64 s0, s9, 1.0
	s_and_b32 vcc_lo, exec_lo, s0
	s_cbranch_vccnz .LBB25_2
; %bb.1:
	v_cmp_neq_f32_e64 s0, s14, 0
	s_cmp_lg_u32 s13, 0
	s_cselect_b32 s1, -1, 0
	s_and_b32 s0, s1, s0
.LBB25_2:
	s_andn2_b32 vcc_lo, exec_lo, s0
	s_cbranch_vccnz .LBB25_26
; %bb.3:
	s_lshl_b32 s6, s6, 5
	s_lshl_b32 s7, s7, 5
	v_cmp_eq_f32_e64 s0, s14, 0
	s_cmp_lt_i32 s13, 1
	v_mov_b32_e32 v12, 0
	s_cselect_b32 s1, -1, 0
	v_mov_b32_e32 v8, 0
	v_mov_b32_e32 v7, 0
	;; [unrolled: 1-line block ×3, first 2 shown]
	s_or_b32 s0, s0, s1
	s_mov_b32 s10, 0
	s_and_b32 vcc_lo, exec_lo, s0
	s_cbranch_vccnz .LBB25_10
; %bb.4:
	s_clause 0x1
	s_load_dword s0, s[4:5], 0x18
	s_load_dwordx2 s[2:3], s[4:5], 0x10
	v_lshl_add_u32 v2, v1, 4, v0
	s_clause 0x2
	s_load_dwordx4 s[16:19], s[4:5], 0x20
	s_load_dword s20, s[4:5], 0x30
	s_load_dwordx2 s[22:23], s[4:5], 0x38
	v_and_b32_e32 v9, 7, v0
	v_lshlrev_b32_e32 v10, 2, v0
	v_lshl_add_u32 v11, v1, 5, 0x400
	v_and_b32_e32 v3, 31, v2
	v_lshrrev_b32_e32 v4, 3, v2
	v_lshlrev_b32_e32 v5, 2, v9
	v_lshrrev_b32_e32 v13, 5, v2
	v_add_nc_u32_e32 v7, s6, v3
	v_add_nc_u32_e32 v2, s7, v4
	v_lshl_or_b32 v8, v4, 5, v5
	v_or_b32_e32 v6, s6, v3
	v_lshlrev_b32_e32 v3, 2, v3
	v_lshlrev_b32_e32 v16, 2, v13
	v_add_nc_u32_e32 v15, 0x400, v8
	s_waitcnt lgkmcnt(0)
	v_mad_i64_i32 v[4:5], null, s0, v7, 0
	v_cmp_gt_i32_e32 vcc_lo, s12, v6
	s_mul_i32 s1, s17, s8
	s_mul_hi_u32 s11, s16, s8
	v_mad_i64_i32 v[6:7], null, s20, v9, 0
	s_mul_i32 s16, s16, s8
	v_lshlrev_b64 v[4:5], 2, v[4:5]
	s_add_i32 s17, s11, s1
	v_lshl_or_b32 v14, v13, 7, v3
	s_lshl_b64 s[16:17], s[16:17], 2
	v_ashrrev_i32_e32 v3, 31, v2
	s_mul_hi_u32 s11, s22, s8
	v_add_co_u32 v8, s1, v4, s16
	v_add_co_ci_u32_e64 v12, null, s17, v5, s1
	s_mul_i32 s1, s23, s8
	v_lshlrev_b64 v[4:5], 2, v[6:7]
	s_add_i32 s17, s11, s1
	s_mul_i32 s16, s22, s8
	v_cmp_gt_i32_e64 s0, s12, v2
	s_lshl_b64 s[16:17], s[16:17], 2
	v_lshlrev_b64 v[2:3], 2, v[2:3]
	v_add_co_u32 v4, s1, s16, v4
	v_add_co_ci_u32_e64 v5, null, s17, v5, s1
	v_add_co_u32 v7, s1, v8, v16
	v_add_co_ci_u32_e64 v8, null, 0, v12, s1
	;; [unrolled: 2-line block ×4, first 2 shown]
	v_add_co_u32 v4, s1, s18, v4
	v_mov_b32_e32 v6, 0
	v_add_co_ci_u32_e64 v5, null, s19, v5, s1
	v_mov_b32_e32 v7, 0
	v_mov_b32_e32 v8, 0
	;; [unrolled: 1-line block ×3, first 2 shown]
	s_ashr_i32 s21, s20, 31
	s_lshl_b64 s[2:3], s[20:21], 5
	s_branch .LBB25_6
.LBB25_5:                               ;   in Loop: Header=BB25_6 Depth=1
	s_or_b32 exec_lo, exec_lo, s1
	s_waitcnt vmcnt(0)
	ds_write_b32 v15, v17
	s_waitcnt lgkmcnt(0)
	s_barrier
	buffer_gl0_inv
	ds_read_b128 v[16:19], v11
	ds_read2_b32 v[32:33], v10 offset1:16
	ds_read_b128 v[20:23], v11 offset:512
	ds_read2_b32 v[34:35], v10 offset0:32 offset1:48
	ds_read2_b32 v[36:37], v10 offset0:64 offset1:80
	;; [unrolled: 1-line block ×3, first 2 shown]
	ds_read_b128 v[24:27], v11 offset:16
	ds_read2_b32 v[40:41], v10 offset0:128 offset1:144
	ds_read_b128 v[28:31], v11 offset:528
	v_add_co_u32 v2, s1, v2, 32
	v_add_co_ci_u32_e64 v3, null, 0, v3, s1
	v_add_co_u32 v4, s1, v4, s2
	v_add_co_ci_u32_e64 v5, null, s3, v5, s1
	s_add_i32 s10, s10, 8
	s_cmp_lt_i32 s10, s13
	s_waitcnt lgkmcnt(7)
	v_fmac_f32_e32 v12, v32, v16
	v_fmac_f32_e32 v8, v33, v16
	s_waitcnt lgkmcnt(6)
	v_fmac_f32_e32 v7, v32, v20
	v_fmac_f32_e32 v6, v33, v20
	ds_read2_b32 v[32:33], v10 offset0:160 offset1:176
	s_waitcnt lgkmcnt(6)
	v_fmac_f32_e32 v12, v34, v17
	v_fmac_f32_e32 v8, v35, v17
	v_fmac_f32_e32 v7, v34, v21
	v_fmac_f32_e32 v6, v35, v21
	ds_read2_b32 v[16:17], v10 offset0:192 offset1:208
	s_waitcnt lgkmcnt(6)
	v_fmac_f32_e32 v12, v36, v18
	v_fmac_f32_e32 v8, v37, v18
	;; [unrolled: 6-line block ×3, first 2 shown]
	v_fmac_f32_e32 v7, v38, v23
	v_fmac_f32_e32 v6, v39, v23
	s_waitcnt lgkmcnt(0)
	v_fmac_f32_e32 v12, v40, v24
	v_fmac_f32_e32 v8, v41, v24
	v_fmac_f32_e32 v7, v40, v28
	v_fmac_f32_e32 v6, v41, v28
	s_barrier
	v_fmac_f32_e32 v12, v32, v25
	v_fmac_f32_e32 v8, v33, v25
	;; [unrolled: 1-line block ×4, first 2 shown]
	buffer_gl0_inv
	v_fmac_f32_e32 v12, v16, v26
	v_fmac_f32_e32 v8, v17, v26
	;; [unrolled: 1-line block ×8, first 2 shown]
	s_cbranch_scc0 .LBB25_10
.LBB25_6:                               ; =>This Inner Loop Header: Depth=1
	v_add_nc_u32_e32 v16, s10, v13
	v_cmp_gt_i32_e64 s1, s13, v16
	v_mov_b32_e32 v16, 0
	s_and_b32 s11, vcc_lo, s1
	s_and_saveexec_b32 s1, s11
	s_cbranch_execz .LBB25_8
; %bb.7:                                ;   in Loop: Header=BB25_6 Depth=1
	global_load_dword v16, v[2:3], off
.LBB25_8:                               ;   in Loop: Header=BB25_6 Depth=1
	s_or_b32 exec_lo, exec_lo, s1
	v_add_nc_u32_e32 v17, s10, v9
	s_waitcnt vmcnt(0)
	ds_write_b32 v14, v16
	v_cmp_gt_i32_e64 s1, s13, v17
	v_mov_b32_e32 v17, 0
	s_and_b32 s11, s1, s0
	s_and_saveexec_b32 s1, s11
	s_cbranch_execz .LBB25_5
; %bb.9:                                ;   in Loop: Header=BB25_6 Depth=1
	global_load_dword v17, v[4:5], off
	s_branch .LBB25_5
.LBB25_10:
	s_clause 0x2
	s_load_dword s2, s[4:5], 0x50
	s_load_dwordx2 s[10:11], s[4:5], 0x58
	s_load_dwordx2 s[4:5], s[4:5], 0x48
	v_add_nc_u32_e32 v10, s7, v1
	v_add_nc_u32_e32 v0, s6, v0
	v_cmp_gt_i32_e64 s0, s12, v10
	v_cmp_le_i32_e32 vcc_lo, v0, v10
	s_waitcnt lgkmcnt(0)
	v_mad_i64_i32 v[1:2], null, v10, s2, 0
	s_mul_i32 s1, s11, s8
	s_mul_hi_u32 s3, s10, s8
	s_mul_i32 s6, s10, s8
	s_add_i32 s7, s3, s1
	s_lshl_b64 s[6:7], s[6:7], 2
	v_lshlrev_b64 v[2:3], 2, v[1:2]
	s_add_u32 s3, s4, s6
	s_addc_u32 s4, s5, s7
	v_cmp_neq_f32_e64 s5, s9, 0
	v_ashrrev_i32_e32 v1, 31, v0
	s_and_b32 s6, s0, vcc_lo
	v_add_co_u32 v4, s1, s3, v2
	v_add_co_ci_u32_e64 v5, null, s4, v3, s1
	v_cndmask_b32_e64 v9, 0, 1, s5
	s_and_saveexec_b32 s1, s6
	s_cbranch_execz .LBB25_14
; %bb.11:
	v_lshlrev_b64 v[2:3], 2, v[0:1]
	v_mul_f32_e32 v11, s14, v12
	v_add_co_u32 v2, vcc_lo, v4, v2
	v_add_co_ci_u32_e64 v3, null, v5, v3, vcc_lo
	s_andn2_b32 vcc_lo, exec_lo, s5
	s_cbranch_vccnz .LBB25_13
; %bb.12:
	global_load_dword v12, v[2:3], off
	s_waitcnt vmcnt(0)
	v_fmac_f32_e32 v11, s9, v12
.LBB25_13:
	global_store_dword v[2:3], v11, off
.LBB25_14:
	s_or_b32 exec_lo, exec_lo, s1
	v_add_nc_u32_e32 v2, 16, v0
	v_cmp_le_i32_e32 vcc_lo, v2, v10
	v_ashrrev_i32_e32 v3, 31, v2
	s_and_b32 s0, s0, vcc_lo
	s_and_saveexec_b32 s1, s0
	s_cbranch_execz .LBB25_18
; %bb.15:
	v_lshlrev_b64 v[11:12], 2, v[2:3]
	v_cmp_ne_u32_e32 vcc_lo, 1, v9
	v_mul_f32_e32 v8, s14, v8
	v_add_co_u32 v4, s0, v4, v11
	v_add_co_ci_u32_e64 v5, null, v5, v12, s0
	s_cbranch_vccnz .LBB25_17
; %bb.16:
	global_load_dword v11, v[4:5], off
	s_waitcnt vmcnt(0)
	v_fmac_f32_e32 v8, s9, v11
.LBB25_17:
	global_store_dword v[4:5], v8, off
.LBB25_18:
	s_or_b32 exec_lo, exec_lo, s1
	v_add_nc_u32_e32 v8, 16, v10
	v_mad_i64_i32 v[4:5], null, v8, s2, 0
	v_cmp_gt_i32_e64 s0, s12, v8
	v_cmp_le_i32_e32 vcc_lo, v0, v8
	v_lshlrev_b64 v[4:5], 2, v[4:5]
	v_add_co_u32 v4, s1, s3, v4
	v_add_co_ci_u32_e64 v5, null, s4, v5, s1
	s_and_b32 s1, s0, vcc_lo
	s_and_saveexec_b32 s2, s1
	s_cbranch_execz .LBB25_22
; %bb.19:
	v_lshlrev_b64 v[0:1], 2, v[0:1]
	v_cmp_ne_u32_e32 vcc_lo, 1, v9
	v_mul_f32_e32 v7, s14, v7
	v_add_co_u32 v0, s1, v4, v0
	v_add_co_ci_u32_e64 v1, null, v5, v1, s1
	s_cbranch_vccnz .LBB25_21
; %bb.20:
	global_load_dword v10, v[0:1], off
	s_waitcnt vmcnt(0)
	v_fmac_f32_e32 v7, s9, v10
.LBB25_21:
	global_store_dword v[0:1], v7, off
.LBB25_22:
	s_or_b32 exec_lo, exec_lo, s2
	v_cmp_le_i32_e32 vcc_lo, v2, v8
	s_and_b32 s0, s0, vcc_lo
	s_and_saveexec_b32 s1, s0
	s_cbranch_execz .LBB25_26
; %bb.23:
	v_lshlrev_b64 v[0:1], 2, v[2:3]
	v_cmp_ne_u32_e32 vcc_lo, 1, v9
	v_mul_f32_e32 v2, s14, v6
	v_add_co_u32 v0, s0, v4, v0
	v_add_co_ci_u32_e64 v1, null, v5, v1, s0
	s_cbranch_vccnz .LBB25_25
; %bb.24:
	global_load_dword v3, v[0:1], off
	s_waitcnt vmcnt(0)
	v_fmac_f32_e32 v2, s9, v3
.LBB25_25:
	global_store_dword v[0:1], v2, off
.LBB25_26:
	s_endpgm
	.section	.rodata,"a",@progbits
	.p2align	6, 0x0
	.amdhsa_kernel _ZL29rocblas_internal_gemmt_kernelIiLi16ELi32ELi8ELc67ELc84ELc85ELb0ELb0EffPKfPfEviT_T9_T10_S3_lS5_S3_lS4_T11_S3_li
		.amdhsa_group_segment_fixed_size 2048
		.amdhsa_private_segment_fixed_size 0
		.amdhsa_kernarg_size 100
		.amdhsa_user_sgpr_count 6
		.amdhsa_user_sgpr_private_segment_buffer 1
		.amdhsa_user_sgpr_dispatch_ptr 0
		.amdhsa_user_sgpr_queue_ptr 0
		.amdhsa_user_sgpr_kernarg_segment_ptr 1
		.amdhsa_user_sgpr_dispatch_id 0
		.amdhsa_user_sgpr_flat_scratch_init 0
		.amdhsa_user_sgpr_private_segment_size 0
		.amdhsa_wavefront_size32 1
		.amdhsa_uses_dynamic_stack 0
		.amdhsa_system_sgpr_private_segment_wavefront_offset 0
		.amdhsa_system_sgpr_workgroup_id_x 1
		.amdhsa_system_sgpr_workgroup_id_y 1
		.amdhsa_system_sgpr_workgroup_id_z 1
		.amdhsa_system_sgpr_workgroup_info 0
		.amdhsa_system_vgpr_workitem_id 1
		.amdhsa_next_free_vgpr 42
		.amdhsa_next_free_sgpr 24
		.amdhsa_reserve_vcc 1
		.amdhsa_reserve_flat_scratch 0
		.amdhsa_float_round_mode_32 0
		.amdhsa_float_round_mode_16_64 0
		.amdhsa_float_denorm_mode_32 3
		.amdhsa_float_denorm_mode_16_64 3
		.amdhsa_dx10_clamp 1
		.amdhsa_ieee_mode 1
		.amdhsa_fp16_overflow 0
		.amdhsa_workgroup_processor_mode 1
		.amdhsa_memory_ordered 1
		.amdhsa_forward_progress 1
		.amdhsa_shared_vgpr_count 0
		.amdhsa_exception_fp_ieee_invalid_op 0
		.amdhsa_exception_fp_denorm_src 0
		.amdhsa_exception_fp_ieee_div_zero 0
		.amdhsa_exception_fp_ieee_overflow 0
		.amdhsa_exception_fp_ieee_underflow 0
		.amdhsa_exception_fp_ieee_inexact 0
		.amdhsa_exception_int_div_zero 0
	.end_amdhsa_kernel
	.section	.text._ZL29rocblas_internal_gemmt_kernelIiLi16ELi32ELi8ELc67ELc84ELc85ELb0ELb0EffPKfPfEviT_T9_T10_S3_lS5_S3_lS4_T11_S3_li,"axG",@progbits,_ZL29rocblas_internal_gemmt_kernelIiLi16ELi32ELi8ELc67ELc84ELc85ELb0ELb0EffPKfPfEviT_T9_T10_S3_lS5_S3_lS4_T11_S3_li,comdat
.Lfunc_end25:
	.size	_ZL29rocblas_internal_gemmt_kernelIiLi16ELi32ELi8ELc67ELc84ELc85ELb0ELb0EffPKfPfEviT_T9_T10_S3_lS5_S3_lS4_T11_S3_li, .Lfunc_end25-_ZL29rocblas_internal_gemmt_kernelIiLi16ELi32ELi8ELc67ELc84ELc85ELb0ELb0EffPKfPfEviT_T9_T10_S3_lS5_S3_lS4_T11_S3_li
                                        ; -- End function
	.set _ZL29rocblas_internal_gemmt_kernelIiLi16ELi32ELi8ELc67ELc84ELc85ELb0ELb0EffPKfPfEviT_T9_T10_S3_lS5_S3_lS4_T11_S3_li.num_vgpr, 42
	.set _ZL29rocblas_internal_gemmt_kernelIiLi16ELi32ELi8ELc67ELc84ELc85ELb0ELb0EffPKfPfEviT_T9_T10_S3_lS5_S3_lS4_T11_S3_li.num_agpr, 0
	.set _ZL29rocblas_internal_gemmt_kernelIiLi16ELi32ELi8ELc67ELc84ELc85ELb0ELb0EffPKfPfEviT_T9_T10_S3_lS5_S3_lS4_T11_S3_li.numbered_sgpr, 24
	.set _ZL29rocblas_internal_gemmt_kernelIiLi16ELi32ELi8ELc67ELc84ELc85ELb0ELb0EffPKfPfEviT_T9_T10_S3_lS5_S3_lS4_T11_S3_li.num_named_barrier, 0
	.set _ZL29rocblas_internal_gemmt_kernelIiLi16ELi32ELi8ELc67ELc84ELc85ELb0ELb0EffPKfPfEviT_T9_T10_S3_lS5_S3_lS4_T11_S3_li.private_seg_size, 0
	.set _ZL29rocblas_internal_gemmt_kernelIiLi16ELi32ELi8ELc67ELc84ELc85ELb0ELb0EffPKfPfEviT_T9_T10_S3_lS5_S3_lS4_T11_S3_li.uses_vcc, 1
	.set _ZL29rocblas_internal_gemmt_kernelIiLi16ELi32ELi8ELc67ELc84ELc85ELb0ELb0EffPKfPfEviT_T9_T10_S3_lS5_S3_lS4_T11_S3_li.uses_flat_scratch, 0
	.set _ZL29rocblas_internal_gemmt_kernelIiLi16ELi32ELi8ELc67ELc84ELc85ELb0ELb0EffPKfPfEviT_T9_T10_S3_lS5_S3_lS4_T11_S3_li.has_dyn_sized_stack, 0
	.set _ZL29rocblas_internal_gemmt_kernelIiLi16ELi32ELi8ELc67ELc84ELc85ELb0ELb0EffPKfPfEviT_T9_T10_S3_lS5_S3_lS4_T11_S3_li.has_recursion, 0
	.set _ZL29rocblas_internal_gemmt_kernelIiLi16ELi32ELi8ELc67ELc84ELc85ELb0ELb0EffPKfPfEviT_T9_T10_S3_lS5_S3_lS4_T11_S3_li.has_indirect_call, 0
	.section	.AMDGPU.csdata,"",@progbits
; Kernel info:
; codeLenInByte = 1412
; TotalNumSgprs: 26
; NumVgprs: 42
; ScratchSize: 0
; MemoryBound: 0
; FloatMode: 240
; IeeeMode: 1
; LDSByteSize: 2048 bytes/workgroup (compile time only)
; SGPRBlocks: 0
; VGPRBlocks: 5
; NumSGPRsForWavesPerEU: 26
; NumVGPRsForWavesPerEU: 42
; Occupancy: 16
; WaveLimiterHint : 0
; COMPUTE_PGM_RSRC2:SCRATCH_EN: 0
; COMPUTE_PGM_RSRC2:USER_SGPR: 6
; COMPUTE_PGM_RSRC2:TRAP_HANDLER: 0
; COMPUTE_PGM_RSRC2:TGID_X_EN: 1
; COMPUTE_PGM_RSRC2:TGID_Y_EN: 1
; COMPUTE_PGM_RSRC2:TGID_Z_EN: 1
; COMPUTE_PGM_RSRC2:TIDIG_COMP_CNT: 1
	.section	.text._ZL29rocblas_internal_gemmt_kernelIiLi16ELi32ELi8ELc67ELc67ELc85ELb0ELb0EffPKfPfEviT_T9_T10_S3_lS5_S3_lS4_T11_S3_li,"axG",@progbits,_ZL29rocblas_internal_gemmt_kernelIiLi16ELi32ELi8ELc67ELc67ELc85ELb0ELb0EffPKfPfEviT_T9_T10_S3_lS5_S3_lS4_T11_S3_li,comdat
	.globl	_ZL29rocblas_internal_gemmt_kernelIiLi16ELi32ELi8ELc67ELc67ELc85ELb0ELb0EffPKfPfEviT_T9_T10_S3_lS5_S3_lS4_T11_S3_li ; -- Begin function _ZL29rocblas_internal_gemmt_kernelIiLi16ELi32ELi8ELc67ELc67ELc85ELb0ELb0EffPKfPfEviT_T9_T10_S3_lS5_S3_lS4_T11_S3_li
	.p2align	8
	.type	_ZL29rocblas_internal_gemmt_kernelIiLi16ELi32ELi8ELc67ELc67ELc85ELb0ELb0EffPKfPfEviT_T9_T10_S3_lS5_S3_lS4_T11_S3_li,@function
_ZL29rocblas_internal_gemmt_kernelIiLi16ELi32ELi8ELc67ELc67ELc85ELb0ELb0EffPKfPfEviT_T9_T10_S3_lS5_S3_lS4_T11_S3_li: ; @_ZL29rocblas_internal_gemmt_kernelIiLi16ELi32ELi8ELc67ELc67ELc85ELb0ELb0EffPKfPfEviT_T9_T10_S3_lS5_S3_lS4_T11_S3_li
; %bb.0:
	s_clause 0x1
	s_load_dword s9, s[4:5], 0x40
	s_load_dwordx4 s[12:15], s[4:5], 0x0
	s_waitcnt lgkmcnt(0)
	v_cmp_neq_f32_e64 s0, s9, 1.0
	s_and_b32 vcc_lo, exec_lo, s0
	s_cbranch_vccnz .LBB26_2
; %bb.1:
	v_cmp_neq_f32_e64 s0, s14, 0
	s_cmp_lg_u32 s13, 0
	s_cselect_b32 s1, -1, 0
	s_and_b32 s0, s1, s0
.LBB26_2:
	s_andn2_b32 vcc_lo, exec_lo, s0
	s_cbranch_vccnz .LBB26_26
; %bb.3:
	s_lshl_b32 s6, s6, 5
	s_lshl_b32 s7, s7, 5
	v_cmp_eq_f32_e64 s0, s14, 0
	s_cmp_lt_i32 s13, 1
	v_mov_b32_e32 v12, 0
	s_cselect_b32 s1, -1, 0
	v_mov_b32_e32 v8, 0
	v_mov_b32_e32 v7, 0
	;; [unrolled: 1-line block ×3, first 2 shown]
	s_or_b32 s0, s0, s1
	s_mov_b32 s10, 0
	s_and_b32 vcc_lo, exec_lo, s0
	s_cbranch_vccnz .LBB26_10
; %bb.4:
	s_clause 0x1
	s_load_dword s0, s[4:5], 0x18
	s_load_dwordx2 s[2:3], s[4:5], 0x10
	v_lshl_add_u32 v2, v1, 4, v0
	s_clause 0x2
	s_load_dwordx4 s[16:19], s[4:5], 0x20
	s_load_dword s20, s[4:5], 0x30
	s_load_dwordx2 s[22:23], s[4:5], 0x38
	v_and_b32_e32 v9, 7, v0
	v_lshlrev_b32_e32 v10, 2, v0
	v_lshl_add_u32 v11, v1, 5, 0x400
	v_and_b32_e32 v3, 31, v2
	v_lshrrev_b32_e32 v4, 3, v2
	v_lshlrev_b32_e32 v5, 2, v9
	v_lshrrev_b32_e32 v13, 5, v2
	v_add_nc_u32_e32 v7, s6, v3
	v_add_nc_u32_e32 v2, s7, v4
	v_lshl_or_b32 v8, v4, 5, v5
	v_or_b32_e32 v6, s6, v3
	v_lshlrev_b32_e32 v3, 2, v3
	v_lshlrev_b32_e32 v16, 2, v13
	v_add_nc_u32_e32 v15, 0x400, v8
	s_waitcnt lgkmcnt(0)
	v_mad_i64_i32 v[4:5], null, s0, v7, 0
	v_cmp_gt_i32_e32 vcc_lo, s12, v6
	s_mul_i32 s1, s17, s8
	s_mul_hi_u32 s11, s16, s8
	v_mad_i64_i32 v[6:7], null, s20, v9, 0
	s_mul_i32 s16, s16, s8
	v_lshlrev_b64 v[4:5], 2, v[4:5]
	s_add_i32 s17, s11, s1
	v_lshl_or_b32 v14, v13, 7, v3
	s_lshl_b64 s[16:17], s[16:17], 2
	v_ashrrev_i32_e32 v3, 31, v2
	s_mul_hi_u32 s11, s22, s8
	v_add_co_u32 v8, s1, v4, s16
	v_add_co_ci_u32_e64 v12, null, s17, v5, s1
	s_mul_i32 s1, s23, s8
	v_lshlrev_b64 v[4:5], 2, v[6:7]
	s_add_i32 s17, s11, s1
	s_mul_i32 s16, s22, s8
	v_cmp_gt_i32_e64 s0, s12, v2
	s_lshl_b64 s[16:17], s[16:17], 2
	v_lshlrev_b64 v[2:3], 2, v[2:3]
	v_add_co_u32 v4, s1, s16, v4
	v_add_co_ci_u32_e64 v5, null, s17, v5, s1
	v_add_co_u32 v7, s1, v8, v16
	v_add_co_ci_u32_e64 v8, null, 0, v12, s1
	;; [unrolled: 2-line block ×4, first 2 shown]
	v_add_co_u32 v4, s1, s18, v4
	v_mov_b32_e32 v6, 0
	v_add_co_ci_u32_e64 v5, null, s19, v5, s1
	v_mov_b32_e32 v7, 0
	v_mov_b32_e32 v8, 0
	;; [unrolled: 1-line block ×3, first 2 shown]
	s_ashr_i32 s21, s20, 31
	s_lshl_b64 s[2:3], s[20:21], 5
	s_branch .LBB26_6
.LBB26_5:                               ;   in Loop: Header=BB26_6 Depth=1
	s_or_b32 exec_lo, exec_lo, s1
	s_waitcnt vmcnt(0)
	ds_write_b32 v15, v17
	s_waitcnt lgkmcnt(0)
	s_barrier
	buffer_gl0_inv
	ds_read_b128 v[16:19], v11
	ds_read2_b32 v[32:33], v10 offset1:16
	ds_read_b128 v[20:23], v11 offset:512
	ds_read2_b32 v[34:35], v10 offset0:32 offset1:48
	ds_read2_b32 v[36:37], v10 offset0:64 offset1:80
	;; [unrolled: 1-line block ×3, first 2 shown]
	ds_read_b128 v[24:27], v11 offset:16
	ds_read2_b32 v[40:41], v10 offset0:128 offset1:144
	ds_read_b128 v[28:31], v11 offset:528
	v_add_co_u32 v2, s1, v2, 32
	v_add_co_ci_u32_e64 v3, null, 0, v3, s1
	v_add_co_u32 v4, s1, v4, s2
	v_add_co_ci_u32_e64 v5, null, s3, v5, s1
	s_add_i32 s10, s10, 8
	s_cmp_lt_i32 s10, s13
	s_waitcnt lgkmcnt(7)
	v_fmac_f32_e32 v12, v32, v16
	v_fmac_f32_e32 v8, v33, v16
	s_waitcnt lgkmcnt(6)
	v_fmac_f32_e32 v7, v32, v20
	v_fmac_f32_e32 v6, v33, v20
	ds_read2_b32 v[32:33], v10 offset0:160 offset1:176
	s_waitcnt lgkmcnt(6)
	v_fmac_f32_e32 v12, v34, v17
	v_fmac_f32_e32 v8, v35, v17
	v_fmac_f32_e32 v7, v34, v21
	v_fmac_f32_e32 v6, v35, v21
	ds_read2_b32 v[16:17], v10 offset0:192 offset1:208
	s_waitcnt lgkmcnt(6)
	v_fmac_f32_e32 v12, v36, v18
	v_fmac_f32_e32 v8, v37, v18
	;; [unrolled: 6-line block ×3, first 2 shown]
	v_fmac_f32_e32 v7, v38, v23
	v_fmac_f32_e32 v6, v39, v23
	s_waitcnt lgkmcnt(0)
	v_fmac_f32_e32 v12, v40, v24
	v_fmac_f32_e32 v8, v41, v24
	;; [unrolled: 1-line block ×4, first 2 shown]
	s_barrier
	v_fmac_f32_e32 v12, v32, v25
	v_fmac_f32_e32 v8, v33, v25
	;; [unrolled: 1-line block ×4, first 2 shown]
	buffer_gl0_inv
	v_fmac_f32_e32 v12, v16, v26
	v_fmac_f32_e32 v8, v17, v26
	v_fmac_f32_e32 v7, v16, v30
	v_fmac_f32_e32 v6, v17, v30
	v_fmac_f32_e32 v12, v20, v27
	v_fmac_f32_e32 v8, v21, v27
	v_fmac_f32_e32 v7, v20, v31
	v_fmac_f32_e32 v6, v21, v31
	s_cbranch_scc0 .LBB26_10
.LBB26_6:                               ; =>This Inner Loop Header: Depth=1
	v_add_nc_u32_e32 v16, s10, v13
	v_cmp_gt_i32_e64 s1, s13, v16
	v_mov_b32_e32 v16, 0
	s_and_b32 s11, vcc_lo, s1
	s_and_saveexec_b32 s1, s11
	s_cbranch_execz .LBB26_8
; %bb.7:                                ;   in Loop: Header=BB26_6 Depth=1
	global_load_dword v16, v[2:3], off
.LBB26_8:                               ;   in Loop: Header=BB26_6 Depth=1
	s_or_b32 exec_lo, exec_lo, s1
	v_add_nc_u32_e32 v17, s10, v9
	s_waitcnt vmcnt(0)
	ds_write_b32 v14, v16
	v_cmp_gt_i32_e64 s1, s13, v17
	v_mov_b32_e32 v17, 0
	s_and_b32 s11, s1, s0
	s_and_saveexec_b32 s1, s11
	s_cbranch_execz .LBB26_5
; %bb.9:                                ;   in Loop: Header=BB26_6 Depth=1
	global_load_dword v17, v[4:5], off
	s_branch .LBB26_5
.LBB26_10:
	s_clause 0x2
	s_load_dword s2, s[4:5], 0x50
	s_load_dwordx2 s[10:11], s[4:5], 0x58
	s_load_dwordx2 s[4:5], s[4:5], 0x48
	v_add_nc_u32_e32 v10, s7, v1
	v_add_nc_u32_e32 v0, s6, v0
	v_cmp_gt_i32_e64 s0, s12, v10
	v_cmp_le_i32_e32 vcc_lo, v0, v10
	s_waitcnt lgkmcnt(0)
	v_mad_i64_i32 v[1:2], null, v10, s2, 0
	s_mul_i32 s1, s11, s8
	s_mul_hi_u32 s3, s10, s8
	s_mul_i32 s6, s10, s8
	s_add_i32 s7, s3, s1
	s_lshl_b64 s[6:7], s[6:7], 2
	v_lshlrev_b64 v[2:3], 2, v[1:2]
	s_add_u32 s3, s4, s6
	s_addc_u32 s4, s5, s7
	v_cmp_neq_f32_e64 s5, s9, 0
	v_ashrrev_i32_e32 v1, 31, v0
	s_and_b32 s6, s0, vcc_lo
	v_add_co_u32 v4, s1, s3, v2
	v_add_co_ci_u32_e64 v5, null, s4, v3, s1
	v_cndmask_b32_e64 v9, 0, 1, s5
	s_and_saveexec_b32 s1, s6
	s_cbranch_execz .LBB26_14
; %bb.11:
	v_lshlrev_b64 v[2:3], 2, v[0:1]
	v_mul_f32_e32 v11, s14, v12
	v_add_co_u32 v2, vcc_lo, v4, v2
	v_add_co_ci_u32_e64 v3, null, v5, v3, vcc_lo
	s_andn2_b32 vcc_lo, exec_lo, s5
	s_cbranch_vccnz .LBB26_13
; %bb.12:
	global_load_dword v12, v[2:3], off
	s_waitcnt vmcnt(0)
	v_fmac_f32_e32 v11, s9, v12
.LBB26_13:
	global_store_dword v[2:3], v11, off
.LBB26_14:
	s_or_b32 exec_lo, exec_lo, s1
	v_add_nc_u32_e32 v2, 16, v0
	v_cmp_le_i32_e32 vcc_lo, v2, v10
	v_ashrrev_i32_e32 v3, 31, v2
	s_and_b32 s0, s0, vcc_lo
	s_and_saveexec_b32 s1, s0
	s_cbranch_execz .LBB26_18
; %bb.15:
	v_lshlrev_b64 v[11:12], 2, v[2:3]
	v_cmp_ne_u32_e32 vcc_lo, 1, v9
	v_mul_f32_e32 v8, s14, v8
	v_add_co_u32 v4, s0, v4, v11
	v_add_co_ci_u32_e64 v5, null, v5, v12, s0
	s_cbranch_vccnz .LBB26_17
; %bb.16:
	global_load_dword v11, v[4:5], off
	s_waitcnt vmcnt(0)
	v_fmac_f32_e32 v8, s9, v11
.LBB26_17:
	global_store_dword v[4:5], v8, off
.LBB26_18:
	s_or_b32 exec_lo, exec_lo, s1
	v_add_nc_u32_e32 v8, 16, v10
	v_mad_i64_i32 v[4:5], null, v8, s2, 0
	v_cmp_gt_i32_e64 s0, s12, v8
	v_cmp_le_i32_e32 vcc_lo, v0, v8
	v_lshlrev_b64 v[4:5], 2, v[4:5]
	v_add_co_u32 v4, s1, s3, v4
	v_add_co_ci_u32_e64 v5, null, s4, v5, s1
	s_and_b32 s1, s0, vcc_lo
	s_and_saveexec_b32 s2, s1
	s_cbranch_execz .LBB26_22
; %bb.19:
	v_lshlrev_b64 v[0:1], 2, v[0:1]
	v_cmp_ne_u32_e32 vcc_lo, 1, v9
	v_mul_f32_e32 v7, s14, v7
	v_add_co_u32 v0, s1, v4, v0
	v_add_co_ci_u32_e64 v1, null, v5, v1, s1
	s_cbranch_vccnz .LBB26_21
; %bb.20:
	global_load_dword v10, v[0:1], off
	s_waitcnt vmcnt(0)
	v_fmac_f32_e32 v7, s9, v10
.LBB26_21:
	global_store_dword v[0:1], v7, off
.LBB26_22:
	s_or_b32 exec_lo, exec_lo, s2
	v_cmp_le_i32_e32 vcc_lo, v2, v8
	s_and_b32 s0, s0, vcc_lo
	s_and_saveexec_b32 s1, s0
	s_cbranch_execz .LBB26_26
; %bb.23:
	v_lshlrev_b64 v[0:1], 2, v[2:3]
	v_cmp_ne_u32_e32 vcc_lo, 1, v9
	v_mul_f32_e32 v2, s14, v6
	v_add_co_u32 v0, s0, v4, v0
	v_add_co_ci_u32_e64 v1, null, v5, v1, s0
	s_cbranch_vccnz .LBB26_25
; %bb.24:
	global_load_dword v3, v[0:1], off
	s_waitcnt vmcnt(0)
	v_fmac_f32_e32 v2, s9, v3
.LBB26_25:
	global_store_dword v[0:1], v2, off
.LBB26_26:
	s_endpgm
	.section	.rodata,"a",@progbits
	.p2align	6, 0x0
	.amdhsa_kernel _ZL29rocblas_internal_gemmt_kernelIiLi16ELi32ELi8ELc67ELc67ELc85ELb0ELb0EffPKfPfEviT_T9_T10_S3_lS5_S3_lS4_T11_S3_li
		.amdhsa_group_segment_fixed_size 2048
		.amdhsa_private_segment_fixed_size 0
		.amdhsa_kernarg_size 100
		.amdhsa_user_sgpr_count 6
		.amdhsa_user_sgpr_private_segment_buffer 1
		.amdhsa_user_sgpr_dispatch_ptr 0
		.amdhsa_user_sgpr_queue_ptr 0
		.amdhsa_user_sgpr_kernarg_segment_ptr 1
		.amdhsa_user_sgpr_dispatch_id 0
		.amdhsa_user_sgpr_flat_scratch_init 0
		.amdhsa_user_sgpr_private_segment_size 0
		.amdhsa_wavefront_size32 1
		.amdhsa_uses_dynamic_stack 0
		.amdhsa_system_sgpr_private_segment_wavefront_offset 0
		.amdhsa_system_sgpr_workgroup_id_x 1
		.amdhsa_system_sgpr_workgroup_id_y 1
		.amdhsa_system_sgpr_workgroup_id_z 1
		.amdhsa_system_sgpr_workgroup_info 0
		.amdhsa_system_vgpr_workitem_id 1
		.amdhsa_next_free_vgpr 42
		.amdhsa_next_free_sgpr 24
		.amdhsa_reserve_vcc 1
		.amdhsa_reserve_flat_scratch 0
		.amdhsa_float_round_mode_32 0
		.amdhsa_float_round_mode_16_64 0
		.amdhsa_float_denorm_mode_32 3
		.amdhsa_float_denorm_mode_16_64 3
		.amdhsa_dx10_clamp 1
		.amdhsa_ieee_mode 1
		.amdhsa_fp16_overflow 0
		.amdhsa_workgroup_processor_mode 1
		.amdhsa_memory_ordered 1
		.amdhsa_forward_progress 1
		.amdhsa_shared_vgpr_count 0
		.amdhsa_exception_fp_ieee_invalid_op 0
		.amdhsa_exception_fp_denorm_src 0
		.amdhsa_exception_fp_ieee_div_zero 0
		.amdhsa_exception_fp_ieee_overflow 0
		.amdhsa_exception_fp_ieee_underflow 0
		.amdhsa_exception_fp_ieee_inexact 0
		.amdhsa_exception_int_div_zero 0
	.end_amdhsa_kernel
	.section	.text._ZL29rocblas_internal_gemmt_kernelIiLi16ELi32ELi8ELc67ELc67ELc85ELb0ELb0EffPKfPfEviT_T9_T10_S3_lS5_S3_lS4_T11_S3_li,"axG",@progbits,_ZL29rocblas_internal_gemmt_kernelIiLi16ELi32ELi8ELc67ELc67ELc85ELb0ELb0EffPKfPfEviT_T9_T10_S3_lS5_S3_lS4_T11_S3_li,comdat
.Lfunc_end26:
	.size	_ZL29rocblas_internal_gemmt_kernelIiLi16ELi32ELi8ELc67ELc67ELc85ELb0ELb0EffPKfPfEviT_T9_T10_S3_lS5_S3_lS4_T11_S3_li, .Lfunc_end26-_ZL29rocblas_internal_gemmt_kernelIiLi16ELi32ELi8ELc67ELc67ELc85ELb0ELb0EffPKfPfEviT_T9_T10_S3_lS5_S3_lS4_T11_S3_li
                                        ; -- End function
	.set _ZL29rocblas_internal_gemmt_kernelIiLi16ELi32ELi8ELc67ELc67ELc85ELb0ELb0EffPKfPfEviT_T9_T10_S3_lS5_S3_lS4_T11_S3_li.num_vgpr, 42
	.set _ZL29rocblas_internal_gemmt_kernelIiLi16ELi32ELi8ELc67ELc67ELc85ELb0ELb0EffPKfPfEviT_T9_T10_S3_lS5_S3_lS4_T11_S3_li.num_agpr, 0
	.set _ZL29rocblas_internal_gemmt_kernelIiLi16ELi32ELi8ELc67ELc67ELc85ELb0ELb0EffPKfPfEviT_T9_T10_S3_lS5_S3_lS4_T11_S3_li.numbered_sgpr, 24
	.set _ZL29rocblas_internal_gemmt_kernelIiLi16ELi32ELi8ELc67ELc67ELc85ELb0ELb0EffPKfPfEviT_T9_T10_S3_lS5_S3_lS4_T11_S3_li.num_named_barrier, 0
	.set _ZL29rocblas_internal_gemmt_kernelIiLi16ELi32ELi8ELc67ELc67ELc85ELb0ELb0EffPKfPfEviT_T9_T10_S3_lS5_S3_lS4_T11_S3_li.private_seg_size, 0
	.set _ZL29rocblas_internal_gemmt_kernelIiLi16ELi32ELi8ELc67ELc67ELc85ELb0ELb0EffPKfPfEviT_T9_T10_S3_lS5_S3_lS4_T11_S3_li.uses_vcc, 1
	.set _ZL29rocblas_internal_gemmt_kernelIiLi16ELi32ELi8ELc67ELc67ELc85ELb0ELb0EffPKfPfEviT_T9_T10_S3_lS5_S3_lS4_T11_S3_li.uses_flat_scratch, 0
	.set _ZL29rocblas_internal_gemmt_kernelIiLi16ELi32ELi8ELc67ELc67ELc85ELb0ELb0EffPKfPfEviT_T9_T10_S3_lS5_S3_lS4_T11_S3_li.has_dyn_sized_stack, 0
	.set _ZL29rocblas_internal_gemmt_kernelIiLi16ELi32ELi8ELc67ELc67ELc85ELb0ELb0EffPKfPfEviT_T9_T10_S3_lS5_S3_lS4_T11_S3_li.has_recursion, 0
	.set _ZL29rocblas_internal_gemmt_kernelIiLi16ELi32ELi8ELc67ELc67ELc85ELb0ELb0EffPKfPfEviT_T9_T10_S3_lS5_S3_lS4_T11_S3_li.has_indirect_call, 0
	.section	.AMDGPU.csdata,"",@progbits
; Kernel info:
; codeLenInByte = 1412
; TotalNumSgprs: 26
; NumVgprs: 42
; ScratchSize: 0
; MemoryBound: 0
; FloatMode: 240
; IeeeMode: 1
; LDSByteSize: 2048 bytes/workgroup (compile time only)
; SGPRBlocks: 0
; VGPRBlocks: 5
; NumSGPRsForWavesPerEU: 26
; NumVGPRsForWavesPerEU: 42
; Occupancy: 16
; WaveLimiterHint : 0
; COMPUTE_PGM_RSRC2:SCRATCH_EN: 0
; COMPUTE_PGM_RSRC2:USER_SGPR: 6
; COMPUTE_PGM_RSRC2:TRAP_HANDLER: 0
; COMPUTE_PGM_RSRC2:TGID_X_EN: 1
; COMPUTE_PGM_RSRC2:TGID_Y_EN: 1
; COMPUTE_PGM_RSRC2:TGID_Z_EN: 1
; COMPUTE_PGM_RSRC2:TIDIG_COMP_CNT: 1
	.section	.text._ZL29rocblas_internal_gemmt_kernelIiLi16ELi32ELi8ELc78ELc78ELc76ELb0ELb0EffPKfPfEviT_T9_T10_S3_lS5_S3_lS4_T11_S3_li,"axG",@progbits,_ZL29rocblas_internal_gemmt_kernelIiLi16ELi32ELi8ELc78ELc78ELc76ELb0ELb0EffPKfPfEviT_T9_T10_S3_lS5_S3_lS4_T11_S3_li,comdat
	.globl	_ZL29rocblas_internal_gemmt_kernelIiLi16ELi32ELi8ELc78ELc78ELc76ELb0ELb0EffPKfPfEviT_T9_T10_S3_lS5_S3_lS4_T11_S3_li ; -- Begin function _ZL29rocblas_internal_gemmt_kernelIiLi16ELi32ELi8ELc78ELc78ELc76ELb0ELb0EffPKfPfEviT_T9_T10_S3_lS5_S3_lS4_T11_S3_li
	.p2align	8
	.type	_ZL29rocblas_internal_gemmt_kernelIiLi16ELi32ELi8ELc78ELc78ELc76ELb0ELb0EffPKfPfEviT_T9_T10_S3_lS5_S3_lS4_T11_S3_li,@function
_ZL29rocblas_internal_gemmt_kernelIiLi16ELi32ELi8ELc78ELc78ELc76ELb0ELb0EffPKfPfEviT_T9_T10_S3_lS5_S3_lS4_T11_S3_li: ; @_ZL29rocblas_internal_gemmt_kernelIiLi16ELi32ELi8ELc78ELc78ELc76ELb0ELb0EffPKfPfEviT_T9_T10_S3_lS5_S3_lS4_T11_S3_li
; %bb.0:
	s_clause 0x1
	s_load_dword s9, s[4:5], 0x40
	s_load_dwordx4 s[12:15], s[4:5], 0x0
	s_waitcnt lgkmcnt(0)
	v_cmp_neq_f32_e64 s0, s9, 1.0
	s_and_b32 vcc_lo, exec_lo, s0
	s_cbranch_vccnz .LBB27_2
; %bb.1:
	v_cmp_neq_f32_e64 s0, s14, 0
	s_cmp_lg_u32 s13, 0
	s_cselect_b32 s1, -1, 0
	s_and_b32 s0, s1, s0
.LBB27_2:
	s_andn2_b32 vcc_lo, exec_lo, s0
	s_cbranch_vccnz .LBB27_26
; %bb.3:
	s_lshl_b32 s6, s6, 5
	s_lshl_b32 s7, s7, 5
	v_cmp_eq_f32_e64 s0, s14, 0
	s_cmp_lt_i32 s13, 1
	v_mov_b32_e32 v13, 0
	s_cselect_b32 s1, -1, 0
	v_mov_b32_e32 v8, 0
	v_mov_b32_e32 v7, 0
	;; [unrolled: 1-line block ×3, first 2 shown]
	s_or_b32 s0, s0, s1
	s_mov_b32 s10, 0
	s_and_b32 vcc_lo, exec_lo, s0
	s_cbranch_vccnz .LBB27_10
; %bb.4:
	s_clause 0x1
	s_load_dword s2, s[4:5], 0x18
	s_load_dwordx2 s[20:21], s[4:5], 0x10
	v_lshl_add_u32 v2, v1, 4, v0
	s_clause 0x2
	s_load_dwordx4 s[16:19], s[4:5], 0x20
	s_load_dword s1, s[4:5], 0x30
	s_load_dwordx2 s[22:23], s[4:5], 0x38
	v_and_b32_e32 v9, 7, v0
	v_lshlrev_b32_e32 v10, 2, v0
	v_lshl_add_u32 v11, v1, 5, 0x400
	v_and_b32_e32 v3, 31, v2
	v_lshrrev_b32_e32 v4, 3, v2
	v_lshlrev_b32_e32 v8, 2, v9
	v_lshrrev_b32_e32 v12, 5, v2
	v_or_b32_e32 v5, s6, v3
	v_add_nc_u32_e32 v6, s7, v4
	v_lshl_or_b32 v13, v4, 5, v8
	v_lshlrev_b32_e32 v7, 2, v3
	v_add_nc_u32_e32 v2, s6, v3
	v_cmp_gt_i32_e32 vcc_lo, s12, v5
	v_cmp_gt_i32_e64 s0, s12, v6
	v_add_nc_u32_e32 v15, 0x400, v13
	s_waitcnt lgkmcnt(0)
	v_mad_i64_i32 v[4:5], null, v12, s2, 0
	v_lshl_or_b32 v14, v12, 7, v7
	s_mul_i32 s3, s17, s8
	s_mul_hi_u32 s11, s16, s8
	v_mad_i64_i32 v[6:7], null, s1, v6, 0
	v_ashrrev_i32_e32 v3, 31, v2
	v_lshlrev_b64 v[4:5], 2, v[4:5]
	s_mul_i32 s16, s16, s8
	s_add_i32 s17, s11, s3
	s_mul_hi_u32 s3, s22, s8
	s_lshl_b64 s[16:17], s[16:17], 2
	v_lshlrev_b64 v[2:3], 2, v[2:3]
	v_add_co_u32 v13, s1, v4, s16
	v_add_co_ci_u32_e64 v16, null, s17, v5, s1
	s_mul_i32 s1, s23, s8
	v_lshlrev_b64 v[4:5], 2, v[6:7]
	s_add_i32 s17, s3, s1
	s_mul_i32 s16, s22, s8
	v_add_co_u32 v2, s1, v13, v2
	s_lshl_b64 s[16:17], s[16:17], 2
	v_add_co_ci_u32_e64 v3, null, v16, v3, s1
	v_add_co_u32 v4, s1, v4, s16
	v_add_co_ci_u32_e64 v5, null, s17, v5, s1
	v_add_co_u32 v2, s1, s20, v2
	;; [unrolled: 2-line block ×3, first 2 shown]
	v_add_co_ci_u32_e64 v5, null, 0, v5, s1
	v_mov_b32_e32 v6, 0
	v_add_co_u32 v4, s1, s18, v4
	v_add_co_ci_u32_e64 v5, null, s19, v5, s1
	v_mov_b32_e32 v7, 0
	v_mov_b32_e32 v8, 0
	v_mov_b32_e32 v13, 0
	s_ashr_i32 s3, s2, 31
	s_lshl_b64 s[2:3], s[2:3], 5
	s_branch .LBB27_6
.LBB27_5:                               ;   in Loop: Header=BB27_6 Depth=1
	s_or_b32 exec_lo, exec_lo, s1
	s_waitcnt vmcnt(0)
	ds_write_b32 v15, v17
	s_waitcnt lgkmcnt(0)
	s_barrier
	buffer_gl0_inv
	ds_read_b128 v[16:19], v11
	ds_read2_b32 v[32:33], v10 offset1:16
	ds_read_b128 v[20:23], v11 offset:512
	ds_read2_b32 v[34:35], v10 offset0:32 offset1:48
	ds_read2_b32 v[36:37], v10 offset0:64 offset1:80
	;; [unrolled: 1-line block ×3, first 2 shown]
	ds_read_b128 v[24:27], v11 offset:16
	ds_read2_b32 v[40:41], v10 offset0:128 offset1:144
	ds_read_b128 v[28:31], v11 offset:528
	v_add_co_u32 v2, s1, v2, s2
	v_add_co_ci_u32_e64 v3, null, s3, v3, s1
	v_add_co_u32 v4, s1, v4, 32
	v_add_co_ci_u32_e64 v5, null, 0, v5, s1
	s_add_i32 s10, s10, 8
	s_cmp_lt_i32 s10, s13
	s_waitcnt lgkmcnt(7)
	v_fmac_f32_e32 v13, v32, v16
	v_fmac_f32_e32 v8, v33, v16
	s_waitcnt lgkmcnt(6)
	v_fmac_f32_e32 v7, v32, v20
	v_fmac_f32_e32 v6, v33, v20
	ds_read2_b32 v[32:33], v10 offset0:160 offset1:176
	s_waitcnt lgkmcnt(6)
	v_fmac_f32_e32 v13, v34, v17
	v_fmac_f32_e32 v8, v35, v17
	v_fmac_f32_e32 v7, v34, v21
	v_fmac_f32_e32 v6, v35, v21
	ds_read2_b32 v[16:17], v10 offset0:192 offset1:208
	s_waitcnt lgkmcnt(6)
	v_fmac_f32_e32 v13, v36, v18
	v_fmac_f32_e32 v8, v37, v18
	;; [unrolled: 6-line block ×3, first 2 shown]
	v_fmac_f32_e32 v7, v38, v23
	v_fmac_f32_e32 v6, v39, v23
	s_waitcnt lgkmcnt(0)
	v_fmac_f32_e32 v13, v40, v24
	v_fmac_f32_e32 v8, v41, v24
	;; [unrolled: 1-line block ×4, first 2 shown]
	s_barrier
	v_fmac_f32_e32 v13, v32, v25
	v_fmac_f32_e32 v8, v33, v25
	;; [unrolled: 1-line block ×4, first 2 shown]
	buffer_gl0_inv
	v_fmac_f32_e32 v13, v16, v26
	v_fmac_f32_e32 v8, v17, v26
	;; [unrolled: 1-line block ×8, first 2 shown]
	s_cbranch_scc0 .LBB27_10
.LBB27_6:                               ; =>This Inner Loop Header: Depth=1
	v_add_nc_u32_e32 v16, s10, v12
	v_cmp_gt_i32_e64 s1, s13, v16
	v_mov_b32_e32 v16, 0
	s_and_b32 s11, vcc_lo, s1
	s_and_saveexec_b32 s1, s11
	s_cbranch_execz .LBB27_8
; %bb.7:                                ;   in Loop: Header=BB27_6 Depth=1
	global_load_dword v16, v[2:3], off
.LBB27_8:                               ;   in Loop: Header=BB27_6 Depth=1
	s_or_b32 exec_lo, exec_lo, s1
	v_add_nc_u32_e32 v17, s10, v9
	s_waitcnt vmcnt(0)
	ds_write_b32 v14, v16
	v_cmp_gt_i32_e64 s1, s13, v17
	v_mov_b32_e32 v17, 0
	s_and_b32 s11, s1, s0
	s_and_saveexec_b32 s1, s11
	s_cbranch_execz .LBB27_5
; %bb.9:                                ;   in Loop: Header=BB27_6 Depth=1
	global_load_dword v17, v[4:5], off
	s_branch .LBB27_5
.LBB27_10:
	s_clause 0x2
	s_load_dword s3, s[4:5], 0x50
	s_load_dwordx2 s[10:11], s[4:5], 0x58
	s_load_dwordx2 s[4:5], s[4:5], 0x48
	v_add_nc_u32_e32 v10, s7, v1
	v_add_nc_u32_e32 v0, s6, v0
	v_cmp_le_i32_e32 vcc_lo, v10, v0
	v_cmp_gt_i32_e64 s0, s12, v0
	s_waitcnt lgkmcnt(0)
	v_mad_i64_i32 v[1:2], null, v10, s3, 0
	s_mul_i32 s1, s11, s8
	s_mul_hi_u32 s2, s10, s8
	s_mul_i32 s6, s10, s8
	s_add_i32 s7, s2, s1
	v_cmp_neq_f32_e64 s2, s9, 0
	s_lshl_b64 s[6:7], s[6:7], 2
	v_lshlrev_b64 v[2:3], 2, v[1:2]
	s_add_u32 s4, s4, s6
	s_addc_u32 s5, s5, s7
	v_ashrrev_i32_e32 v1, 31, v0
	v_cndmask_b32_e64 v9, 0, 1, s2
	s_and_b32 s6, vcc_lo, s0
	v_add_co_u32 v4, s1, s4, v2
	v_add_co_ci_u32_e64 v5, null, s5, v3, s1
	s_and_saveexec_b32 s1, s6
	s_cbranch_execz .LBB27_14
; %bb.11:
	v_lshlrev_b64 v[2:3], 2, v[0:1]
	v_mul_f32_e32 v11, s14, v13
	v_add_co_u32 v2, vcc_lo, v4, v2
	v_add_co_ci_u32_e64 v3, null, v5, v3, vcc_lo
	s_andn2_b32 vcc_lo, exec_lo, s2
	s_cbranch_vccnz .LBB27_13
; %bb.12:
	global_load_dword v12, v[2:3], off
	s_waitcnt vmcnt(0)
	v_fmac_f32_e32 v11, s9, v12
.LBB27_13:
	global_store_dword v[2:3], v11, off
.LBB27_14:
	s_or_b32 exec_lo, exec_lo, s1
	v_add_nc_u32_e32 v2, 16, v0
	v_cmp_le_i32_e32 vcc_lo, v10, v2
	v_cmp_gt_i32_e64 s1, s12, v2
	v_ashrrev_i32_e32 v3, 31, v2
	s_and_b32 s2, vcc_lo, s1
	s_and_saveexec_b32 s6, s2
	s_cbranch_execz .LBB27_18
; %bb.15:
	v_lshlrev_b64 v[11:12], 2, v[2:3]
	v_cmp_ne_u32_e32 vcc_lo, 1, v9
	v_mul_f32_e32 v8, s14, v8
	v_add_co_u32 v4, s2, v4, v11
	v_add_co_ci_u32_e64 v5, null, v5, v12, s2
	s_cbranch_vccnz .LBB27_17
; %bb.16:
	global_load_dword v11, v[4:5], off
	s_waitcnt vmcnt(0)
	v_fmac_f32_e32 v8, s9, v11
.LBB27_17:
	global_store_dword v[4:5], v8, off
.LBB27_18:
	s_or_b32 exec_lo, exec_lo, s6
	v_add_nc_u32_e32 v8, 16, v10
	v_mad_i64_i32 v[4:5], null, v8, s3, 0
	v_cmp_le_i32_e32 vcc_lo, v8, v0
	s_and_b32 s0, vcc_lo, s0
	v_lshlrev_b64 v[4:5], 2, v[4:5]
	v_add_co_u32 v4, s2, s4, v4
	v_add_co_ci_u32_e64 v5, null, s5, v5, s2
	s_and_saveexec_b32 s2, s0
	s_cbranch_execz .LBB27_22
; %bb.19:
	v_lshlrev_b64 v[0:1], 2, v[0:1]
	v_cmp_ne_u32_e32 vcc_lo, 1, v9
	v_mul_f32_e32 v7, s14, v7
	v_add_co_u32 v0, s0, v4, v0
	v_add_co_ci_u32_e64 v1, null, v5, v1, s0
	s_cbranch_vccnz .LBB27_21
; %bb.20:
	global_load_dword v10, v[0:1], off
	s_waitcnt vmcnt(0)
	v_fmac_f32_e32 v7, s9, v10
.LBB27_21:
	global_store_dword v[0:1], v7, off
.LBB27_22:
	s_or_b32 exec_lo, exec_lo, s2
	v_cmp_le_i32_e32 vcc_lo, v8, v2
	s_and_b32 s0, vcc_lo, s1
	s_and_saveexec_b32 s1, s0
	s_cbranch_execz .LBB27_26
; %bb.23:
	v_lshlrev_b64 v[0:1], 2, v[2:3]
	v_cmp_ne_u32_e32 vcc_lo, 1, v9
	v_mul_f32_e32 v2, s14, v6
	v_add_co_u32 v0, s0, v4, v0
	v_add_co_ci_u32_e64 v1, null, v5, v1, s0
	s_cbranch_vccnz .LBB27_25
; %bb.24:
	global_load_dword v3, v[0:1], off
	s_waitcnt vmcnt(0)
	v_fmac_f32_e32 v2, s9, v3
.LBB27_25:
	global_store_dword v[0:1], v2, off
.LBB27_26:
	s_endpgm
	.section	.rodata,"a",@progbits
	.p2align	6, 0x0
	.amdhsa_kernel _ZL29rocblas_internal_gemmt_kernelIiLi16ELi32ELi8ELc78ELc78ELc76ELb0ELb0EffPKfPfEviT_T9_T10_S3_lS5_S3_lS4_T11_S3_li
		.amdhsa_group_segment_fixed_size 2048
		.amdhsa_private_segment_fixed_size 0
		.amdhsa_kernarg_size 100
		.amdhsa_user_sgpr_count 6
		.amdhsa_user_sgpr_private_segment_buffer 1
		.amdhsa_user_sgpr_dispatch_ptr 0
		.amdhsa_user_sgpr_queue_ptr 0
		.amdhsa_user_sgpr_kernarg_segment_ptr 1
		.amdhsa_user_sgpr_dispatch_id 0
		.amdhsa_user_sgpr_flat_scratch_init 0
		.amdhsa_user_sgpr_private_segment_size 0
		.amdhsa_wavefront_size32 1
		.amdhsa_uses_dynamic_stack 0
		.amdhsa_system_sgpr_private_segment_wavefront_offset 0
		.amdhsa_system_sgpr_workgroup_id_x 1
		.amdhsa_system_sgpr_workgroup_id_y 1
		.amdhsa_system_sgpr_workgroup_id_z 1
		.amdhsa_system_sgpr_workgroup_info 0
		.amdhsa_system_vgpr_workitem_id 1
		.amdhsa_next_free_vgpr 42
		.amdhsa_next_free_sgpr 24
		.amdhsa_reserve_vcc 1
		.amdhsa_reserve_flat_scratch 0
		.amdhsa_float_round_mode_32 0
		.amdhsa_float_round_mode_16_64 0
		.amdhsa_float_denorm_mode_32 3
		.amdhsa_float_denorm_mode_16_64 3
		.amdhsa_dx10_clamp 1
		.amdhsa_ieee_mode 1
		.amdhsa_fp16_overflow 0
		.amdhsa_workgroup_processor_mode 1
		.amdhsa_memory_ordered 1
		.amdhsa_forward_progress 1
		.amdhsa_shared_vgpr_count 0
		.amdhsa_exception_fp_ieee_invalid_op 0
		.amdhsa_exception_fp_denorm_src 0
		.amdhsa_exception_fp_ieee_div_zero 0
		.amdhsa_exception_fp_ieee_overflow 0
		.amdhsa_exception_fp_ieee_underflow 0
		.amdhsa_exception_fp_ieee_inexact 0
		.amdhsa_exception_int_div_zero 0
	.end_amdhsa_kernel
	.section	.text._ZL29rocblas_internal_gemmt_kernelIiLi16ELi32ELi8ELc78ELc78ELc76ELb0ELb0EffPKfPfEviT_T9_T10_S3_lS5_S3_lS4_T11_S3_li,"axG",@progbits,_ZL29rocblas_internal_gemmt_kernelIiLi16ELi32ELi8ELc78ELc78ELc76ELb0ELb0EffPKfPfEviT_T9_T10_S3_lS5_S3_lS4_T11_S3_li,comdat
.Lfunc_end27:
	.size	_ZL29rocblas_internal_gemmt_kernelIiLi16ELi32ELi8ELc78ELc78ELc76ELb0ELb0EffPKfPfEviT_T9_T10_S3_lS5_S3_lS4_T11_S3_li, .Lfunc_end27-_ZL29rocblas_internal_gemmt_kernelIiLi16ELi32ELi8ELc78ELc78ELc76ELb0ELb0EffPKfPfEviT_T9_T10_S3_lS5_S3_lS4_T11_S3_li
                                        ; -- End function
	.set _ZL29rocblas_internal_gemmt_kernelIiLi16ELi32ELi8ELc78ELc78ELc76ELb0ELb0EffPKfPfEviT_T9_T10_S3_lS5_S3_lS4_T11_S3_li.num_vgpr, 42
	.set _ZL29rocblas_internal_gemmt_kernelIiLi16ELi32ELi8ELc78ELc78ELc76ELb0ELb0EffPKfPfEviT_T9_T10_S3_lS5_S3_lS4_T11_S3_li.num_agpr, 0
	.set _ZL29rocblas_internal_gemmt_kernelIiLi16ELi32ELi8ELc78ELc78ELc76ELb0ELb0EffPKfPfEviT_T9_T10_S3_lS5_S3_lS4_T11_S3_li.numbered_sgpr, 24
	.set _ZL29rocblas_internal_gemmt_kernelIiLi16ELi32ELi8ELc78ELc78ELc76ELb0ELb0EffPKfPfEviT_T9_T10_S3_lS5_S3_lS4_T11_S3_li.num_named_barrier, 0
	.set _ZL29rocblas_internal_gemmt_kernelIiLi16ELi32ELi8ELc78ELc78ELc76ELb0ELb0EffPKfPfEviT_T9_T10_S3_lS5_S3_lS4_T11_S3_li.private_seg_size, 0
	.set _ZL29rocblas_internal_gemmt_kernelIiLi16ELi32ELi8ELc78ELc78ELc76ELb0ELb0EffPKfPfEviT_T9_T10_S3_lS5_S3_lS4_T11_S3_li.uses_vcc, 1
	.set _ZL29rocblas_internal_gemmt_kernelIiLi16ELi32ELi8ELc78ELc78ELc76ELb0ELb0EffPKfPfEviT_T9_T10_S3_lS5_S3_lS4_T11_S3_li.uses_flat_scratch, 0
	.set _ZL29rocblas_internal_gemmt_kernelIiLi16ELi32ELi8ELc78ELc78ELc76ELb0ELb0EffPKfPfEviT_T9_T10_S3_lS5_S3_lS4_T11_S3_li.has_dyn_sized_stack, 0
	.set _ZL29rocblas_internal_gemmt_kernelIiLi16ELi32ELi8ELc78ELc78ELc76ELb0ELb0EffPKfPfEviT_T9_T10_S3_lS5_S3_lS4_T11_S3_li.has_recursion, 0
	.set _ZL29rocblas_internal_gemmt_kernelIiLi16ELi32ELi8ELc78ELc78ELc76ELb0ELb0EffPKfPfEviT_T9_T10_S3_lS5_S3_lS4_T11_S3_li.has_indirect_call, 0
	.section	.AMDGPU.csdata,"",@progbits
; Kernel info:
; codeLenInByte = 1408
; TotalNumSgprs: 26
; NumVgprs: 42
; ScratchSize: 0
; MemoryBound: 0
; FloatMode: 240
; IeeeMode: 1
; LDSByteSize: 2048 bytes/workgroup (compile time only)
; SGPRBlocks: 0
; VGPRBlocks: 5
; NumSGPRsForWavesPerEU: 26
; NumVGPRsForWavesPerEU: 42
; Occupancy: 16
; WaveLimiterHint : 0
; COMPUTE_PGM_RSRC2:SCRATCH_EN: 0
; COMPUTE_PGM_RSRC2:USER_SGPR: 6
; COMPUTE_PGM_RSRC2:TRAP_HANDLER: 0
; COMPUTE_PGM_RSRC2:TGID_X_EN: 1
; COMPUTE_PGM_RSRC2:TGID_Y_EN: 1
; COMPUTE_PGM_RSRC2:TGID_Z_EN: 1
; COMPUTE_PGM_RSRC2:TIDIG_COMP_CNT: 1
	.section	.text._ZL29rocblas_internal_gemmt_kernelIiLi16ELi32ELi8ELc78ELc84ELc76ELb0ELb0EffPKfPfEviT_T9_T10_S3_lS5_S3_lS4_T11_S3_li,"axG",@progbits,_ZL29rocblas_internal_gemmt_kernelIiLi16ELi32ELi8ELc78ELc84ELc76ELb0ELb0EffPKfPfEviT_T9_T10_S3_lS5_S3_lS4_T11_S3_li,comdat
	.globl	_ZL29rocblas_internal_gemmt_kernelIiLi16ELi32ELi8ELc78ELc84ELc76ELb0ELb0EffPKfPfEviT_T9_T10_S3_lS5_S3_lS4_T11_S3_li ; -- Begin function _ZL29rocblas_internal_gemmt_kernelIiLi16ELi32ELi8ELc78ELc84ELc76ELb0ELb0EffPKfPfEviT_T9_T10_S3_lS5_S3_lS4_T11_S3_li
	.p2align	8
	.type	_ZL29rocblas_internal_gemmt_kernelIiLi16ELi32ELi8ELc78ELc84ELc76ELb0ELb0EffPKfPfEviT_T9_T10_S3_lS5_S3_lS4_T11_S3_li,@function
_ZL29rocblas_internal_gemmt_kernelIiLi16ELi32ELi8ELc78ELc84ELc76ELb0ELb0EffPKfPfEviT_T9_T10_S3_lS5_S3_lS4_T11_S3_li: ; @_ZL29rocblas_internal_gemmt_kernelIiLi16ELi32ELi8ELc78ELc84ELc76ELb0ELb0EffPKfPfEviT_T9_T10_S3_lS5_S3_lS4_T11_S3_li
; %bb.0:
	s_clause 0x1
	s_load_dword s9, s[4:5], 0x40
	s_load_dwordx4 s[12:15], s[4:5], 0x0
	s_waitcnt lgkmcnt(0)
	v_cmp_neq_f32_e64 s0, s9, 1.0
	s_and_b32 vcc_lo, exec_lo, s0
	s_cbranch_vccnz .LBB28_2
; %bb.1:
	v_cmp_neq_f32_e64 s0, s14, 0
	s_cmp_lg_u32 s13, 0
	s_cselect_b32 s1, -1, 0
	s_and_b32 s0, s1, s0
.LBB28_2:
	s_andn2_b32 vcc_lo, exec_lo, s0
	s_cbranch_vccnz .LBB28_26
; %bb.3:
	s_lshl_b32 s10, s6, 5
	s_lshl_b32 s11, s7, 5
	v_cmp_eq_f32_e64 s0, s14, 0
	s_cmp_lt_i32 s13, 1
	v_mov_b32_e32 v13, 0
	s_cselect_b32 s1, -1, 0
	v_mov_b32_e32 v8, 0
	v_mov_b32_e32 v7, 0
	;; [unrolled: 1-line block ×3, first 2 shown]
	s_or_b32 s0, s0, s1
	s_mov_b32 s15, 0
	s_and_b32 vcc_lo, exec_lo, s0
	s_cbranch_vccnz .LBB28_10
; %bb.4:
	s_clause 0x1
	s_load_dword s2, s[4:5], 0x18
	s_load_dwordx2 s[6:7], s[4:5], 0x10
	v_lshl_add_u32 v2, v1, 4, v0
	s_clause 0x1
	s_load_dwordx4 s[16:19], s[4:5], 0x20
	s_load_dword s20, s[4:5], 0x30
	v_and_b32_e32 v9, 7, v0
	s_load_dwordx2 s[22:23], s[4:5], 0x38
	v_and_b32_e32 v6, 31, v2
	v_lshrrev_b32_e32 v3, 3, v2
	v_lshrrev_b32_e32 v10, 5, v2
	v_lshlrev_b32_e32 v4, 2, v9
	v_lshlrev_b32_e32 v14, 2, v0
	v_or_b32_e32 v5, s10, v6
	v_add_nc_u32_e32 v2, s11, v3
	v_lshlrev_b32_e32 v7, 2, v6
	v_lshl_or_b32 v3, v3, 5, v4
	v_add_nc_u32_e32 v6, s10, v6
	v_cmp_gt_i32_e32 vcc_lo, s12, v5
	v_cmp_gt_i32_e64 s0, s12, v2
	v_lshl_or_b32 v11, v10, 7, v7
	s_waitcnt lgkmcnt(0)
	v_mad_i64_i32 v[4:5], null, v10, s2, 0
	v_ashrrev_i32_e32 v7, 31, v6
	s_mul_i32 s1, s17, s8
	s_mul_hi_u32 s17, s16, s8
	v_mad_i64_i32 v[16:17], null, s20, v9, 0
	s_add_i32 s17, s17, s1
	v_lshlrev_b64 v[4:5], 2, v[4:5]
	s_mul_i32 s16, s16, s8
	v_add_nc_u32_e32 v12, 0x400, v3
	s_lshl_b64 s[16:17], s[16:17], 2
	v_ashrrev_i32_e32 v3, 31, v2
	v_lshlrev_b64 v[6:7], 2, v[6:7]
	v_add_co_u32 v8, s1, v4, s16
	v_add_co_ci_u32_e64 v13, null, s17, v5, s1
	s_mul_i32 s1, s23, s8
	s_mul_hi_u32 s16, s22, s8
	v_lshlrev_b64 v[4:5], 2, v[16:17]
	s_add_i32 s17, s16, s1
	s_mul_i32 s16, s22, s8
	v_lshlrev_b64 v[2:3], 2, v[2:3]
	s_lshl_b64 s[16:17], s[16:17], 2
	v_lshl_add_u32 v15, v1, 5, 0x400
	v_add_co_u32 v4, s1, s16, v4
	v_add_co_ci_u32_e64 v5, null, s17, v5, s1
	v_add_co_u32 v6, s1, v8, v6
	v_add_co_ci_u32_e64 v7, null, v13, v7, s1
	;; [unrolled: 2-line block ×5, first 2 shown]
	v_mov_b32_e32 v6, 0
	v_mov_b32_e32 v7, 0
	;; [unrolled: 1-line block ×4, first 2 shown]
	s_ashr_i32 s3, s2, 31
	s_ashr_i32 s21, s20, 31
	s_lshl_b64 s[2:3], s[2:3], 5
	s_lshl_b64 s[6:7], s[20:21], 5
	s_branch .LBB28_6
.LBB28_5:                               ;   in Loop: Header=BB28_6 Depth=1
	s_or_b32 exec_lo, exec_lo, s1
	s_waitcnt vmcnt(0)
	ds_write_b32 v12, v17
	s_waitcnt lgkmcnt(0)
	s_barrier
	buffer_gl0_inv
	ds_read_b128 v[16:19], v15
	ds_read2_b32 v[32:33], v14 offset1:16
	ds_read_b128 v[20:23], v15 offset:512
	ds_read2_b32 v[34:35], v14 offset0:32 offset1:48
	ds_read2_b32 v[36:37], v14 offset0:64 offset1:80
	;; [unrolled: 1-line block ×3, first 2 shown]
	ds_read_b128 v[24:27], v15 offset:16
	ds_read2_b32 v[40:41], v14 offset0:128 offset1:144
	ds_read_b128 v[28:31], v15 offset:528
	v_add_co_u32 v2, s1, v2, s2
	v_add_co_ci_u32_e64 v3, null, s3, v3, s1
	v_add_co_u32 v4, s1, v4, s6
	v_add_co_ci_u32_e64 v5, null, s7, v5, s1
	s_add_i32 s15, s15, 8
	s_cmp_lt_i32 s15, s13
	s_waitcnt lgkmcnt(7)
	v_fmac_f32_e32 v13, v32, v16
	v_fmac_f32_e32 v8, v33, v16
	s_waitcnt lgkmcnt(6)
	v_fmac_f32_e32 v7, v32, v20
	v_fmac_f32_e32 v6, v33, v20
	ds_read2_b32 v[32:33], v14 offset0:160 offset1:176
	s_waitcnt lgkmcnt(6)
	v_fmac_f32_e32 v13, v34, v17
	v_fmac_f32_e32 v8, v35, v17
	v_fmac_f32_e32 v7, v34, v21
	v_fmac_f32_e32 v6, v35, v21
	ds_read2_b32 v[16:17], v14 offset0:192 offset1:208
	s_waitcnt lgkmcnt(6)
	v_fmac_f32_e32 v13, v36, v18
	v_fmac_f32_e32 v8, v37, v18
	;; [unrolled: 6-line block ×3, first 2 shown]
	v_fmac_f32_e32 v7, v38, v23
	v_fmac_f32_e32 v6, v39, v23
	s_waitcnt lgkmcnt(0)
	v_fmac_f32_e32 v13, v40, v24
	v_fmac_f32_e32 v8, v41, v24
	;; [unrolled: 1-line block ×4, first 2 shown]
	s_barrier
	v_fmac_f32_e32 v13, v32, v25
	v_fmac_f32_e32 v8, v33, v25
	;; [unrolled: 1-line block ×4, first 2 shown]
	buffer_gl0_inv
	v_fmac_f32_e32 v13, v16, v26
	v_fmac_f32_e32 v8, v17, v26
	;; [unrolled: 1-line block ×8, first 2 shown]
	s_cbranch_scc0 .LBB28_10
.LBB28_6:                               ; =>This Inner Loop Header: Depth=1
	v_add_nc_u32_e32 v16, s15, v10
	v_cmp_gt_i32_e64 s1, s13, v16
	v_mov_b32_e32 v16, 0
	s_and_b32 s16, vcc_lo, s1
	s_and_saveexec_b32 s1, s16
	s_cbranch_execz .LBB28_8
; %bb.7:                                ;   in Loop: Header=BB28_6 Depth=1
	global_load_dword v16, v[2:3], off
.LBB28_8:                               ;   in Loop: Header=BB28_6 Depth=1
	s_or_b32 exec_lo, exec_lo, s1
	v_add_nc_u32_e32 v17, s15, v9
	s_waitcnt vmcnt(0)
	ds_write_b32 v11, v16
	v_cmp_gt_i32_e64 s1, s13, v17
	v_mov_b32_e32 v17, 0
	s_and_b32 s16, s1, s0
	s_and_saveexec_b32 s1, s16
	s_cbranch_execz .LBB28_5
; %bb.9:                                ;   in Loop: Header=BB28_6 Depth=1
	global_load_dword v17, v[4:5], off
	s_branch .LBB28_5
.LBB28_10:
	s_clause 0x2
	s_load_dword s3, s[4:5], 0x50
	s_load_dwordx2 s[6:7], s[4:5], 0x58
	s_load_dwordx2 s[4:5], s[4:5], 0x48
	v_add_nc_u32_e32 v10, s11, v1
	v_add_nc_u32_e32 v0, s10, v0
	v_cmp_le_i32_e32 vcc_lo, v10, v0
	v_cmp_gt_i32_e64 s0, s12, v0
	s_waitcnt lgkmcnt(0)
	v_mad_i64_i32 v[1:2], null, v10, s3, 0
	s_mul_i32 s1, s7, s8
	s_mul_hi_u32 s2, s6, s8
	s_mul_i32 s6, s6, s8
	s_add_i32 s7, s2, s1
	v_cmp_neq_f32_e64 s2, s9, 0
	s_lshl_b64 s[6:7], s[6:7], 2
	v_lshlrev_b64 v[2:3], 2, v[1:2]
	s_add_u32 s4, s4, s6
	s_addc_u32 s5, s5, s7
	v_ashrrev_i32_e32 v1, 31, v0
	v_cndmask_b32_e64 v9, 0, 1, s2
	s_and_b32 s6, vcc_lo, s0
	v_add_co_u32 v4, s1, s4, v2
	v_add_co_ci_u32_e64 v5, null, s5, v3, s1
	s_and_saveexec_b32 s1, s6
	s_cbranch_execz .LBB28_14
; %bb.11:
	v_lshlrev_b64 v[2:3], 2, v[0:1]
	v_mul_f32_e32 v11, s14, v13
	v_add_co_u32 v2, vcc_lo, v4, v2
	v_add_co_ci_u32_e64 v3, null, v5, v3, vcc_lo
	s_andn2_b32 vcc_lo, exec_lo, s2
	s_cbranch_vccnz .LBB28_13
; %bb.12:
	global_load_dword v12, v[2:3], off
	s_waitcnt vmcnt(0)
	v_fmac_f32_e32 v11, s9, v12
.LBB28_13:
	global_store_dword v[2:3], v11, off
.LBB28_14:
	s_or_b32 exec_lo, exec_lo, s1
	v_add_nc_u32_e32 v2, 16, v0
	v_cmp_le_i32_e32 vcc_lo, v10, v2
	v_cmp_gt_i32_e64 s1, s12, v2
	v_ashrrev_i32_e32 v3, 31, v2
	s_and_b32 s2, vcc_lo, s1
	s_and_saveexec_b32 s6, s2
	s_cbranch_execz .LBB28_18
; %bb.15:
	v_lshlrev_b64 v[11:12], 2, v[2:3]
	v_cmp_ne_u32_e32 vcc_lo, 1, v9
	v_mul_f32_e32 v8, s14, v8
	v_add_co_u32 v4, s2, v4, v11
	v_add_co_ci_u32_e64 v5, null, v5, v12, s2
	s_cbranch_vccnz .LBB28_17
; %bb.16:
	global_load_dword v11, v[4:5], off
	s_waitcnt vmcnt(0)
	v_fmac_f32_e32 v8, s9, v11
.LBB28_17:
	global_store_dword v[4:5], v8, off
.LBB28_18:
	s_or_b32 exec_lo, exec_lo, s6
	v_add_nc_u32_e32 v8, 16, v10
	v_mad_i64_i32 v[4:5], null, v8, s3, 0
	v_cmp_le_i32_e32 vcc_lo, v8, v0
	s_and_b32 s0, vcc_lo, s0
	v_lshlrev_b64 v[4:5], 2, v[4:5]
	v_add_co_u32 v4, s2, s4, v4
	v_add_co_ci_u32_e64 v5, null, s5, v5, s2
	s_and_saveexec_b32 s2, s0
	s_cbranch_execz .LBB28_22
; %bb.19:
	v_lshlrev_b64 v[0:1], 2, v[0:1]
	v_cmp_ne_u32_e32 vcc_lo, 1, v9
	v_mul_f32_e32 v7, s14, v7
	v_add_co_u32 v0, s0, v4, v0
	v_add_co_ci_u32_e64 v1, null, v5, v1, s0
	s_cbranch_vccnz .LBB28_21
; %bb.20:
	global_load_dword v10, v[0:1], off
	s_waitcnt vmcnt(0)
	v_fmac_f32_e32 v7, s9, v10
.LBB28_21:
	global_store_dword v[0:1], v7, off
.LBB28_22:
	s_or_b32 exec_lo, exec_lo, s2
	v_cmp_le_i32_e32 vcc_lo, v8, v2
	s_and_b32 s0, vcc_lo, s1
	s_and_saveexec_b32 s1, s0
	s_cbranch_execz .LBB28_26
; %bb.23:
	v_lshlrev_b64 v[0:1], 2, v[2:3]
	v_cmp_ne_u32_e32 vcc_lo, 1, v9
	v_mul_f32_e32 v2, s14, v6
	v_add_co_u32 v0, s0, v4, v0
	v_add_co_ci_u32_e64 v1, null, v5, v1, s0
	s_cbranch_vccnz .LBB28_25
; %bb.24:
	global_load_dword v3, v[0:1], off
	s_waitcnt vmcnt(0)
	v_fmac_f32_e32 v2, s9, v3
.LBB28_25:
	global_store_dword v[0:1], v2, off
.LBB28_26:
	s_endpgm
	.section	.rodata,"a",@progbits
	.p2align	6, 0x0
	.amdhsa_kernel _ZL29rocblas_internal_gemmt_kernelIiLi16ELi32ELi8ELc78ELc84ELc76ELb0ELb0EffPKfPfEviT_T9_T10_S3_lS5_S3_lS4_T11_S3_li
		.amdhsa_group_segment_fixed_size 2048
		.amdhsa_private_segment_fixed_size 0
		.amdhsa_kernarg_size 100
		.amdhsa_user_sgpr_count 6
		.amdhsa_user_sgpr_private_segment_buffer 1
		.amdhsa_user_sgpr_dispatch_ptr 0
		.amdhsa_user_sgpr_queue_ptr 0
		.amdhsa_user_sgpr_kernarg_segment_ptr 1
		.amdhsa_user_sgpr_dispatch_id 0
		.amdhsa_user_sgpr_flat_scratch_init 0
		.amdhsa_user_sgpr_private_segment_size 0
		.amdhsa_wavefront_size32 1
		.amdhsa_uses_dynamic_stack 0
		.amdhsa_system_sgpr_private_segment_wavefront_offset 0
		.amdhsa_system_sgpr_workgroup_id_x 1
		.amdhsa_system_sgpr_workgroup_id_y 1
		.amdhsa_system_sgpr_workgroup_id_z 1
		.amdhsa_system_sgpr_workgroup_info 0
		.amdhsa_system_vgpr_workitem_id 1
		.amdhsa_next_free_vgpr 42
		.amdhsa_next_free_sgpr 24
		.amdhsa_reserve_vcc 1
		.amdhsa_reserve_flat_scratch 0
		.amdhsa_float_round_mode_32 0
		.amdhsa_float_round_mode_16_64 0
		.amdhsa_float_denorm_mode_32 3
		.amdhsa_float_denorm_mode_16_64 3
		.amdhsa_dx10_clamp 1
		.amdhsa_ieee_mode 1
		.amdhsa_fp16_overflow 0
		.amdhsa_workgroup_processor_mode 1
		.amdhsa_memory_ordered 1
		.amdhsa_forward_progress 1
		.amdhsa_shared_vgpr_count 0
		.amdhsa_exception_fp_ieee_invalid_op 0
		.amdhsa_exception_fp_denorm_src 0
		.amdhsa_exception_fp_ieee_div_zero 0
		.amdhsa_exception_fp_ieee_overflow 0
		.amdhsa_exception_fp_ieee_underflow 0
		.amdhsa_exception_fp_ieee_inexact 0
		.amdhsa_exception_int_div_zero 0
	.end_amdhsa_kernel
	.section	.text._ZL29rocblas_internal_gemmt_kernelIiLi16ELi32ELi8ELc78ELc84ELc76ELb0ELb0EffPKfPfEviT_T9_T10_S3_lS5_S3_lS4_T11_S3_li,"axG",@progbits,_ZL29rocblas_internal_gemmt_kernelIiLi16ELi32ELi8ELc78ELc84ELc76ELb0ELb0EffPKfPfEviT_T9_T10_S3_lS5_S3_lS4_T11_S3_li,comdat
.Lfunc_end28:
	.size	_ZL29rocblas_internal_gemmt_kernelIiLi16ELi32ELi8ELc78ELc84ELc76ELb0ELb0EffPKfPfEviT_T9_T10_S3_lS5_S3_lS4_T11_S3_li, .Lfunc_end28-_ZL29rocblas_internal_gemmt_kernelIiLi16ELi32ELi8ELc78ELc84ELc76ELb0ELb0EffPKfPfEviT_T9_T10_S3_lS5_S3_lS4_T11_S3_li
                                        ; -- End function
	.set _ZL29rocblas_internal_gemmt_kernelIiLi16ELi32ELi8ELc78ELc84ELc76ELb0ELb0EffPKfPfEviT_T9_T10_S3_lS5_S3_lS4_T11_S3_li.num_vgpr, 42
	.set _ZL29rocblas_internal_gemmt_kernelIiLi16ELi32ELi8ELc78ELc84ELc76ELb0ELb0EffPKfPfEviT_T9_T10_S3_lS5_S3_lS4_T11_S3_li.num_agpr, 0
	.set _ZL29rocblas_internal_gemmt_kernelIiLi16ELi32ELi8ELc78ELc84ELc76ELb0ELb0EffPKfPfEviT_T9_T10_S3_lS5_S3_lS4_T11_S3_li.numbered_sgpr, 24
	.set _ZL29rocblas_internal_gemmt_kernelIiLi16ELi32ELi8ELc78ELc84ELc76ELb0ELb0EffPKfPfEviT_T9_T10_S3_lS5_S3_lS4_T11_S3_li.num_named_barrier, 0
	.set _ZL29rocblas_internal_gemmt_kernelIiLi16ELi32ELi8ELc78ELc84ELc76ELb0ELb0EffPKfPfEviT_T9_T10_S3_lS5_S3_lS4_T11_S3_li.private_seg_size, 0
	.set _ZL29rocblas_internal_gemmt_kernelIiLi16ELi32ELi8ELc78ELc84ELc76ELb0ELb0EffPKfPfEviT_T9_T10_S3_lS5_S3_lS4_T11_S3_li.uses_vcc, 1
	.set _ZL29rocblas_internal_gemmt_kernelIiLi16ELi32ELi8ELc78ELc84ELc76ELb0ELb0EffPKfPfEviT_T9_T10_S3_lS5_S3_lS4_T11_S3_li.uses_flat_scratch, 0
	.set _ZL29rocblas_internal_gemmt_kernelIiLi16ELi32ELi8ELc78ELc84ELc76ELb0ELb0EffPKfPfEviT_T9_T10_S3_lS5_S3_lS4_T11_S3_li.has_dyn_sized_stack, 0
	.set _ZL29rocblas_internal_gemmt_kernelIiLi16ELi32ELi8ELc78ELc84ELc76ELb0ELb0EffPKfPfEviT_T9_T10_S3_lS5_S3_lS4_T11_S3_li.has_recursion, 0
	.set _ZL29rocblas_internal_gemmt_kernelIiLi16ELi32ELi8ELc78ELc84ELc76ELb0ELb0EffPKfPfEviT_T9_T10_S3_lS5_S3_lS4_T11_S3_li.has_indirect_call, 0
	.section	.AMDGPU.csdata,"",@progbits
; Kernel info:
; codeLenInByte = 1428
; TotalNumSgprs: 26
; NumVgprs: 42
; ScratchSize: 0
; MemoryBound: 0
; FloatMode: 240
; IeeeMode: 1
; LDSByteSize: 2048 bytes/workgroup (compile time only)
; SGPRBlocks: 0
; VGPRBlocks: 5
; NumSGPRsForWavesPerEU: 26
; NumVGPRsForWavesPerEU: 42
; Occupancy: 16
; WaveLimiterHint : 0
; COMPUTE_PGM_RSRC2:SCRATCH_EN: 0
; COMPUTE_PGM_RSRC2:USER_SGPR: 6
; COMPUTE_PGM_RSRC2:TRAP_HANDLER: 0
; COMPUTE_PGM_RSRC2:TGID_X_EN: 1
; COMPUTE_PGM_RSRC2:TGID_Y_EN: 1
; COMPUTE_PGM_RSRC2:TGID_Z_EN: 1
; COMPUTE_PGM_RSRC2:TIDIG_COMP_CNT: 1
	.section	.text._ZL29rocblas_internal_gemmt_kernelIiLi16ELi32ELi8ELc78ELc67ELc76ELb0ELb0EffPKfPfEviT_T9_T10_S3_lS5_S3_lS4_T11_S3_li,"axG",@progbits,_ZL29rocblas_internal_gemmt_kernelIiLi16ELi32ELi8ELc78ELc67ELc76ELb0ELb0EffPKfPfEviT_T9_T10_S3_lS5_S3_lS4_T11_S3_li,comdat
	.globl	_ZL29rocblas_internal_gemmt_kernelIiLi16ELi32ELi8ELc78ELc67ELc76ELb0ELb0EffPKfPfEviT_T9_T10_S3_lS5_S3_lS4_T11_S3_li ; -- Begin function _ZL29rocblas_internal_gemmt_kernelIiLi16ELi32ELi8ELc78ELc67ELc76ELb0ELb0EffPKfPfEviT_T9_T10_S3_lS5_S3_lS4_T11_S3_li
	.p2align	8
	.type	_ZL29rocblas_internal_gemmt_kernelIiLi16ELi32ELi8ELc78ELc67ELc76ELb0ELb0EffPKfPfEviT_T9_T10_S3_lS5_S3_lS4_T11_S3_li,@function
_ZL29rocblas_internal_gemmt_kernelIiLi16ELi32ELi8ELc78ELc67ELc76ELb0ELb0EffPKfPfEviT_T9_T10_S3_lS5_S3_lS4_T11_S3_li: ; @_ZL29rocblas_internal_gemmt_kernelIiLi16ELi32ELi8ELc78ELc67ELc76ELb0ELb0EffPKfPfEviT_T9_T10_S3_lS5_S3_lS4_T11_S3_li
; %bb.0:
	s_clause 0x1
	s_load_dword s9, s[4:5], 0x40
	s_load_dwordx4 s[12:15], s[4:5], 0x0
	s_waitcnt lgkmcnt(0)
	v_cmp_neq_f32_e64 s0, s9, 1.0
	s_and_b32 vcc_lo, exec_lo, s0
	s_cbranch_vccnz .LBB29_2
; %bb.1:
	v_cmp_neq_f32_e64 s0, s14, 0
	s_cmp_lg_u32 s13, 0
	s_cselect_b32 s1, -1, 0
	s_and_b32 s0, s1, s0
.LBB29_2:
	s_andn2_b32 vcc_lo, exec_lo, s0
	s_cbranch_vccnz .LBB29_26
; %bb.3:
	s_lshl_b32 s10, s6, 5
	s_lshl_b32 s11, s7, 5
	v_cmp_eq_f32_e64 s0, s14, 0
	s_cmp_lt_i32 s13, 1
	v_mov_b32_e32 v13, 0
	s_cselect_b32 s1, -1, 0
	v_mov_b32_e32 v8, 0
	v_mov_b32_e32 v7, 0
	;; [unrolled: 1-line block ×3, first 2 shown]
	s_or_b32 s0, s0, s1
	s_mov_b32 s15, 0
	s_and_b32 vcc_lo, exec_lo, s0
	s_cbranch_vccnz .LBB29_10
; %bb.4:
	s_clause 0x1
	s_load_dword s2, s[4:5], 0x18
	s_load_dwordx2 s[6:7], s[4:5], 0x10
	v_lshl_add_u32 v2, v1, 4, v0
	s_clause 0x1
	s_load_dwordx4 s[16:19], s[4:5], 0x20
	s_load_dword s20, s[4:5], 0x30
	v_and_b32_e32 v9, 7, v0
	s_load_dwordx2 s[22:23], s[4:5], 0x38
	v_and_b32_e32 v6, 31, v2
	v_lshrrev_b32_e32 v3, 3, v2
	v_lshrrev_b32_e32 v10, 5, v2
	v_lshlrev_b32_e32 v4, 2, v9
	v_lshlrev_b32_e32 v14, 2, v0
	v_or_b32_e32 v5, s10, v6
	v_add_nc_u32_e32 v2, s11, v3
	v_lshlrev_b32_e32 v7, 2, v6
	v_lshl_or_b32 v3, v3, 5, v4
	v_add_nc_u32_e32 v6, s10, v6
	v_cmp_gt_i32_e32 vcc_lo, s12, v5
	v_cmp_gt_i32_e64 s0, s12, v2
	v_lshl_or_b32 v11, v10, 7, v7
	s_waitcnt lgkmcnt(0)
	v_mad_i64_i32 v[4:5], null, v10, s2, 0
	v_ashrrev_i32_e32 v7, 31, v6
	s_mul_i32 s1, s17, s8
	s_mul_hi_u32 s17, s16, s8
	v_mad_i64_i32 v[16:17], null, s20, v9, 0
	s_add_i32 s17, s17, s1
	v_lshlrev_b64 v[4:5], 2, v[4:5]
	s_mul_i32 s16, s16, s8
	v_add_nc_u32_e32 v12, 0x400, v3
	s_lshl_b64 s[16:17], s[16:17], 2
	v_ashrrev_i32_e32 v3, 31, v2
	v_lshlrev_b64 v[6:7], 2, v[6:7]
	v_add_co_u32 v8, s1, v4, s16
	v_add_co_ci_u32_e64 v13, null, s17, v5, s1
	s_mul_i32 s1, s23, s8
	s_mul_hi_u32 s16, s22, s8
	v_lshlrev_b64 v[4:5], 2, v[16:17]
	s_add_i32 s17, s16, s1
	s_mul_i32 s16, s22, s8
	v_lshlrev_b64 v[2:3], 2, v[2:3]
	s_lshl_b64 s[16:17], s[16:17], 2
	v_lshl_add_u32 v15, v1, 5, 0x400
	v_add_co_u32 v4, s1, s16, v4
	v_add_co_ci_u32_e64 v5, null, s17, v5, s1
	v_add_co_u32 v6, s1, v8, v6
	v_add_co_ci_u32_e64 v7, null, v13, v7, s1
	;; [unrolled: 2-line block ×5, first 2 shown]
	v_mov_b32_e32 v6, 0
	v_mov_b32_e32 v7, 0
	v_mov_b32_e32 v8, 0
	v_mov_b32_e32 v13, 0
	s_ashr_i32 s3, s2, 31
	s_ashr_i32 s21, s20, 31
	s_lshl_b64 s[2:3], s[2:3], 5
	s_lshl_b64 s[6:7], s[20:21], 5
	s_branch .LBB29_6
.LBB29_5:                               ;   in Loop: Header=BB29_6 Depth=1
	s_or_b32 exec_lo, exec_lo, s1
	s_waitcnt vmcnt(0)
	ds_write_b32 v12, v17
	s_waitcnt lgkmcnt(0)
	s_barrier
	buffer_gl0_inv
	ds_read_b128 v[16:19], v15
	ds_read2_b32 v[32:33], v14 offset1:16
	ds_read_b128 v[20:23], v15 offset:512
	ds_read2_b32 v[34:35], v14 offset0:32 offset1:48
	ds_read2_b32 v[36:37], v14 offset0:64 offset1:80
	;; [unrolled: 1-line block ×3, first 2 shown]
	ds_read_b128 v[24:27], v15 offset:16
	ds_read2_b32 v[40:41], v14 offset0:128 offset1:144
	ds_read_b128 v[28:31], v15 offset:528
	v_add_co_u32 v2, s1, v2, s2
	v_add_co_ci_u32_e64 v3, null, s3, v3, s1
	v_add_co_u32 v4, s1, v4, s6
	v_add_co_ci_u32_e64 v5, null, s7, v5, s1
	s_add_i32 s15, s15, 8
	s_cmp_lt_i32 s15, s13
	s_waitcnt lgkmcnt(7)
	v_fmac_f32_e32 v13, v32, v16
	v_fmac_f32_e32 v8, v33, v16
	s_waitcnt lgkmcnt(6)
	v_fmac_f32_e32 v7, v32, v20
	v_fmac_f32_e32 v6, v33, v20
	ds_read2_b32 v[32:33], v14 offset0:160 offset1:176
	s_waitcnt lgkmcnt(6)
	v_fmac_f32_e32 v13, v34, v17
	v_fmac_f32_e32 v8, v35, v17
	v_fmac_f32_e32 v7, v34, v21
	v_fmac_f32_e32 v6, v35, v21
	ds_read2_b32 v[16:17], v14 offset0:192 offset1:208
	s_waitcnt lgkmcnt(6)
	v_fmac_f32_e32 v13, v36, v18
	v_fmac_f32_e32 v8, v37, v18
	;; [unrolled: 6-line block ×3, first 2 shown]
	v_fmac_f32_e32 v7, v38, v23
	v_fmac_f32_e32 v6, v39, v23
	s_waitcnt lgkmcnt(0)
	v_fmac_f32_e32 v13, v40, v24
	v_fmac_f32_e32 v8, v41, v24
	;; [unrolled: 1-line block ×4, first 2 shown]
	s_barrier
	v_fmac_f32_e32 v13, v32, v25
	v_fmac_f32_e32 v8, v33, v25
	;; [unrolled: 1-line block ×4, first 2 shown]
	buffer_gl0_inv
	v_fmac_f32_e32 v13, v16, v26
	v_fmac_f32_e32 v8, v17, v26
	;; [unrolled: 1-line block ×8, first 2 shown]
	s_cbranch_scc0 .LBB29_10
.LBB29_6:                               ; =>This Inner Loop Header: Depth=1
	v_add_nc_u32_e32 v16, s15, v10
	v_cmp_gt_i32_e64 s1, s13, v16
	v_mov_b32_e32 v16, 0
	s_and_b32 s16, vcc_lo, s1
	s_and_saveexec_b32 s1, s16
	s_cbranch_execz .LBB29_8
; %bb.7:                                ;   in Loop: Header=BB29_6 Depth=1
	global_load_dword v16, v[2:3], off
.LBB29_8:                               ;   in Loop: Header=BB29_6 Depth=1
	s_or_b32 exec_lo, exec_lo, s1
	v_add_nc_u32_e32 v17, s15, v9
	s_waitcnt vmcnt(0)
	ds_write_b32 v11, v16
	v_cmp_gt_i32_e64 s1, s13, v17
	v_mov_b32_e32 v17, 0
	s_and_b32 s16, s1, s0
	s_and_saveexec_b32 s1, s16
	s_cbranch_execz .LBB29_5
; %bb.9:                                ;   in Loop: Header=BB29_6 Depth=1
	global_load_dword v17, v[4:5], off
	s_branch .LBB29_5
.LBB29_10:
	s_clause 0x2
	s_load_dword s3, s[4:5], 0x50
	s_load_dwordx2 s[6:7], s[4:5], 0x58
	s_load_dwordx2 s[4:5], s[4:5], 0x48
	v_add_nc_u32_e32 v10, s11, v1
	v_add_nc_u32_e32 v0, s10, v0
	v_cmp_le_i32_e32 vcc_lo, v10, v0
	v_cmp_gt_i32_e64 s0, s12, v0
	s_waitcnt lgkmcnt(0)
	v_mad_i64_i32 v[1:2], null, v10, s3, 0
	s_mul_i32 s1, s7, s8
	s_mul_hi_u32 s2, s6, s8
	s_mul_i32 s6, s6, s8
	s_add_i32 s7, s2, s1
	v_cmp_neq_f32_e64 s2, s9, 0
	s_lshl_b64 s[6:7], s[6:7], 2
	v_lshlrev_b64 v[2:3], 2, v[1:2]
	s_add_u32 s4, s4, s6
	s_addc_u32 s5, s5, s7
	v_ashrrev_i32_e32 v1, 31, v0
	v_cndmask_b32_e64 v9, 0, 1, s2
	s_and_b32 s6, vcc_lo, s0
	v_add_co_u32 v4, s1, s4, v2
	v_add_co_ci_u32_e64 v5, null, s5, v3, s1
	s_and_saveexec_b32 s1, s6
	s_cbranch_execz .LBB29_14
; %bb.11:
	v_lshlrev_b64 v[2:3], 2, v[0:1]
	v_mul_f32_e32 v11, s14, v13
	v_add_co_u32 v2, vcc_lo, v4, v2
	v_add_co_ci_u32_e64 v3, null, v5, v3, vcc_lo
	s_andn2_b32 vcc_lo, exec_lo, s2
	s_cbranch_vccnz .LBB29_13
; %bb.12:
	global_load_dword v12, v[2:3], off
	s_waitcnt vmcnt(0)
	v_fmac_f32_e32 v11, s9, v12
.LBB29_13:
	global_store_dword v[2:3], v11, off
.LBB29_14:
	s_or_b32 exec_lo, exec_lo, s1
	v_add_nc_u32_e32 v2, 16, v0
	v_cmp_le_i32_e32 vcc_lo, v10, v2
	v_cmp_gt_i32_e64 s1, s12, v2
	v_ashrrev_i32_e32 v3, 31, v2
	s_and_b32 s2, vcc_lo, s1
	s_and_saveexec_b32 s6, s2
	s_cbranch_execz .LBB29_18
; %bb.15:
	v_lshlrev_b64 v[11:12], 2, v[2:3]
	v_cmp_ne_u32_e32 vcc_lo, 1, v9
	v_mul_f32_e32 v8, s14, v8
	v_add_co_u32 v4, s2, v4, v11
	v_add_co_ci_u32_e64 v5, null, v5, v12, s2
	s_cbranch_vccnz .LBB29_17
; %bb.16:
	global_load_dword v11, v[4:5], off
	s_waitcnt vmcnt(0)
	v_fmac_f32_e32 v8, s9, v11
.LBB29_17:
	global_store_dword v[4:5], v8, off
.LBB29_18:
	s_or_b32 exec_lo, exec_lo, s6
	v_add_nc_u32_e32 v8, 16, v10
	v_mad_i64_i32 v[4:5], null, v8, s3, 0
	v_cmp_le_i32_e32 vcc_lo, v8, v0
	s_and_b32 s0, vcc_lo, s0
	v_lshlrev_b64 v[4:5], 2, v[4:5]
	v_add_co_u32 v4, s2, s4, v4
	v_add_co_ci_u32_e64 v5, null, s5, v5, s2
	s_and_saveexec_b32 s2, s0
	s_cbranch_execz .LBB29_22
; %bb.19:
	v_lshlrev_b64 v[0:1], 2, v[0:1]
	v_cmp_ne_u32_e32 vcc_lo, 1, v9
	v_mul_f32_e32 v7, s14, v7
	v_add_co_u32 v0, s0, v4, v0
	v_add_co_ci_u32_e64 v1, null, v5, v1, s0
	s_cbranch_vccnz .LBB29_21
; %bb.20:
	global_load_dword v10, v[0:1], off
	s_waitcnt vmcnt(0)
	v_fmac_f32_e32 v7, s9, v10
.LBB29_21:
	global_store_dword v[0:1], v7, off
.LBB29_22:
	s_or_b32 exec_lo, exec_lo, s2
	v_cmp_le_i32_e32 vcc_lo, v8, v2
	s_and_b32 s0, vcc_lo, s1
	s_and_saveexec_b32 s1, s0
	s_cbranch_execz .LBB29_26
; %bb.23:
	v_lshlrev_b64 v[0:1], 2, v[2:3]
	v_cmp_ne_u32_e32 vcc_lo, 1, v9
	v_mul_f32_e32 v2, s14, v6
	v_add_co_u32 v0, s0, v4, v0
	v_add_co_ci_u32_e64 v1, null, v5, v1, s0
	s_cbranch_vccnz .LBB29_25
; %bb.24:
	global_load_dword v3, v[0:1], off
	s_waitcnt vmcnt(0)
	v_fmac_f32_e32 v2, s9, v3
.LBB29_25:
	global_store_dword v[0:1], v2, off
.LBB29_26:
	s_endpgm
	.section	.rodata,"a",@progbits
	.p2align	6, 0x0
	.amdhsa_kernel _ZL29rocblas_internal_gemmt_kernelIiLi16ELi32ELi8ELc78ELc67ELc76ELb0ELb0EffPKfPfEviT_T9_T10_S3_lS5_S3_lS4_T11_S3_li
		.amdhsa_group_segment_fixed_size 2048
		.amdhsa_private_segment_fixed_size 0
		.amdhsa_kernarg_size 100
		.amdhsa_user_sgpr_count 6
		.amdhsa_user_sgpr_private_segment_buffer 1
		.amdhsa_user_sgpr_dispatch_ptr 0
		.amdhsa_user_sgpr_queue_ptr 0
		.amdhsa_user_sgpr_kernarg_segment_ptr 1
		.amdhsa_user_sgpr_dispatch_id 0
		.amdhsa_user_sgpr_flat_scratch_init 0
		.amdhsa_user_sgpr_private_segment_size 0
		.amdhsa_wavefront_size32 1
		.amdhsa_uses_dynamic_stack 0
		.amdhsa_system_sgpr_private_segment_wavefront_offset 0
		.amdhsa_system_sgpr_workgroup_id_x 1
		.amdhsa_system_sgpr_workgroup_id_y 1
		.amdhsa_system_sgpr_workgroup_id_z 1
		.amdhsa_system_sgpr_workgroup_info 0
		.amdhsa_system_vgpr_workitem_id 1
		.amdhsa_next_free_vgpr 42
		.amdhsa_next_free_sgpr 24
		.amdhsa_reserve_vcc 1
		.amdhsa_reserve_flat_scratch 0
		.amdhsa_float_round_mode_32 0
		.amdhsa_float_round_mode_16_64 0
		.amdhsa_float_denorm_mode_32 3
		.amdhsa_float_denorm_mode_16_64 3
		.amdhsa_dx10_clamp 1
		.amdhsa_ieee_mode 1
		.amdhsa_fp16_overflow 0
		.amdhsa_workgroup_processor_mode 1
		.amdhsa_memory_ordered 1
		.amdhsa_forward_progress 1
		.amdhsa_shared_vgpr_count 0
		.amdhsa_exception_fp_ieee_invalid_op 0
		.amdhsa_exception_fp_denorm_src 0
		.amdhsa_exception_fp_ieee_div_zero 0
		.amdhsa_exception_fp_ieee_overflow 0
		.amdhsa_exception_fp_ieee_underflow 0
		.amdhsa_exception_fp_ieee_inexact 0
		.amdhsa_exception_int_div_zero 0
	.end_amdhsa_kernel
	.section	.text._ZL29rocblas_internal_gemmt_kernelIiLi16ELi32ELi8ELc78ELc67ELc76ELb0ELb0EffPKfPfEviT_T9_T10_S3_lS5_S3_lS4_T11_S3_li,"axG",@progbits,_ZL29rocblas_internal_gemmt_kernelIiLi16ELi32ELi8ELc78ELc67ELc76ELb0ELb0EffPKfPfEviT_T9_T10_S3_lS5_S3_lS4_T11_S3_li,comdat
.Lfunc_end29:
	.size	_ZL29rocblas_internal_gemmt_kernelIiLi16ELi32ELi8ELc78ELc67ELc76ELb0ELb0EffPKfPfEviT_T9_T10_S3_lS5_S3_lS4_T11_S3_li, .Lfunc_end29-_ZL29rocblas_internal_gemmt_kernelIiLi16ELi32ELi8ELc78ELc67ELc76ELb0ELb0EffPKfPfEviT_T9_T10_S3_lS5_S3_lS4_T11_S3_li
                                        ; -- End function
	.set _ZL29rocblas_internal_gemmt_kernelIiLi16ELi32ELi8ELc78ELc67ELc76ELb0ELb0EffPKfPfEviT_T9_T10_S3_lS5_S3_lS4_T11_S3_li.num_vgpr, 42
	.set _ZL29rocblas_internal_gemmt_kernelIiLi16ELi32ELi8ELc78ELc67ELc76ELb0ELb0EffPKfPfEviT_T9_T10_S3_lS5_S3_lS4_T11_S3_li.num_agpr, 0
	.set _ZL29rocblas_internal_gemmt_kernelIiLi16ELi32ELi8ELc78ELc67ELc76ELb0ELb0EffPKfPfEviT_T9_T10_S3_lS5_S3_lS4_T11_S3_li.numbered_sgpr, 24
	.set _ZL29rocblas_internal_gemmt_kernelIiLi16ELi32ELi8ELc78ELc67ELc76ELb0ELb0EffPKfPfEviT_T9_T10_S3_lS5_S3_lS4_T11_S3_li.num_named_barrier, 0
	.set _ZL29rocblas_internal_gemmt_kernelIiLi16ELi32ELi8ELc78ELc67ELc76ELb0ELb0EffPKfPfEviT_T9_T10_S3_lS5_S3_lS4_T11_S3_li.private_seg_size, 0
	.set _ZL29rocblas_internal_gemmt_kernelIiLi16ELi32ELi8ELc78ELc67ELc76ELb0ELb0EffPKfPfEviT_T9_T10_S3_lS5_S3_lS4_T11_S3_li.uses_vcc, 1
	.set _ZL29rocblas_internal_gemmt_kernelIiLi16ELi32ELi8ELc78ELc67ELc76ELb0ELb0EffPKfPfEviT_T9_T10_S3_lS5_S3_lS4_T11_S3_li.uses_flat_scratch, 0
	.set _ZL29rocblas_internal_gemmt_kernelIiLi16ELi32ELi8ELc78ELc67ELc76ELb0ELb0EffPKfPfEviT_T9_T10_S3_lS5_S3_lS4_T11_S3_li.has_dyn_sized_stack, 0
	.set _ZL29rocblas_internal_gemmt_kernelIiLi16ELi32ELi8ELc78ELc67ELc76ELb0ELb0EffPKfPfEviT_T9_T10_S3_lS5_S3_lS4_T11_S3_li.has_recursion, 0
	.set _ZL29rocblas_internal_gemmt_kernelIiLi16ELi32ELi8ELc78ELc67ELc76ELb0ELb0EffPKfPfEviT_T9_T10_S3_lS5_S3_lS4_T11_S3_li.has_indirect_call, 0
	.section	.AMDGPU.csdata,"",@progbits
; Kernel info:
; codeLenInByte = 1428
; TotalNumSgprs: 26
; NumVgprs: 42
; ScratchSize: 0
; MemoryBound: 0
; FloatMode: 240
; IeeeMode: 1
; LDSByteSize: 2048 bytes/workgroup (compile time only)
; SGPRBlocks: 0
; VGPRBlocks: 5
; NumSGPRsForWavesPerEU: 26
; NumVGPRsForWavesPerEU: 42
; Occupancy: 16
; WaveLimiterHint : 0
; COMPUTE_PGM_RSRC2:SCRATCH_EN: 0
; COMPUTE_PGM_RSRC2:USER_SGPR: 6
; COMPUTE_PGM_RSRC2:TRAP_HANDLER: 0
; COMPUTE_PGM_RSRC2:TGID_X_EN: 1
; COMPUTE_PGM_RSRC2:TGID_Y_EN: 1
; COMPUTE_PGM_RSRC2:TGID_Z_EN: 1
; COMPUTE_PGM_RSRC2:TIDIG_COMP_CNT: 1
	.section	.text._ZL29rocblas_internal_gemmt_kernelIiLi16ELi32ELi8ELc84ELc78ELc76ELb0ELb0EffPKfPfEviT_T9_T10_S3_lS5_S3_lS4_T11_S3_li,"axG",@progbits,_ZL29rocblas_internal_gemmt_kernelIiLi16ELi32ELi8ELc84ELc78ELc76ELb0ELb0EffPKfPfEviT_T9_T10_S3_lS5_S3_lS4_T11_S3_li,comdat
	.globl	_ZL29rocblas_internal_gemmt_kernelIiLi16ELi32ELi8ELc84ELc78ELc76ELb0ELb0EffPKfPfEviT_T9_T10_S3_lS5_S3_lS4_T11_S3_li ; -- Begin function _ZL29rocblas_internal_gemmt_kernelIiLi16ELi32ELi8ELc84ELc78ELc76ELb0ELb0EffPKfPfEviT_T9_T10_S3_lS5_S3_lS4_T11_S3_li
	.p2align	8
	.type	_ZL29rocblas_internal_gemmt_kernelIiLi16ELi32ELi8ELc84ELc78ELc76ELb0ELb0EffPKfPfEviT_T9_T10_S3_lS5_S3_lS4_T11_S3_li,@function
_ZL29rocblas_internal_gemmt_kernelIiLi16ELi32ELi8ELc84ELc78ELc76ELb0ELb0EffPKfPfEviT_T9_T10_S3_lS5_S3_lS4_T11_S3_li: ; @_ZL29rocblas_internal_gemmt_kernelIiLi16ELi32ELi8ELc84ELc78ELc76ELb0ELb0EffPKfPfEviT_T9_T10_S3_lS5_S3_lS4_T11_S3_li
; %bb.0:
	s_clause 0x1
	s_load_dword s3, s[4:5], 0x40
	s_load_dwordx4 s[12:15], s[4:5], 0x0
	s_waitcnt lgkmcnt(0)
	v_cmp_neq_f32_e64 s0, s3, 1.0
	s_and_b32 vcc_lo, exec_lo, s0
	s_cbranch_vccnz .LBB30_2
; %bb.1:
	v_cmp_neq_f32_e64 s0, s14, 0
	s_cmp_lg_u32 s13, 0
	s_cselect_b32 s1, -1, 0
	s_and_b32 s0, s1, s0
.LBB30_2:
	s_andn2_b32 vcc_lo, exec_lo, s0
	s_cbranch_vccnz .LBB30_26
; %bb.3:
	s_lshl_b32 s2, s6, 5
	s_lshl_b32 s6, s7, 5
	v_cmp_eq_f32_e64 s0, s14, 0
	s_cmp_lt_i32 s13, 1
	v_mov_b32_e32 v10, 0
	s_cselect_b32 s1, -1, 0
	v_mov_b32_e32 v8, 0
	v_mov_b32_e32 v7, 0
	v_mov_b32_e32 v6, 0
	s_or_b32 s0, s0, s1
	s_mov_b32 s7, 0
	s_and_b32 vcc_lo, exec_lo, s0
	s_cbranch_vccnz .LBB30_10
; %bb.4:
	s_clause 0x1
	s_load_dword s0, s[4:5], 0x18
	s_load_dwordx2 s[10:11], s[4:5], 0x10
	v_lshl_add_u32 v2, v1, 4, v0
	s_clause 0x2
	s_load_dwordx4 s[16:19], s[4:5], 0x20
	s_load_dword s1, s[4:5], 0x30
	s_load_dwordx2 s[20:21], s[4:5], 0x38
	v_and_b32_e32 v9, 7, v0
	v_lshlrev_b32_e32 v11, 2, v0
	v_lshl_add_u32 v12, v1, 5, 0x400
	v_and_b32_e32 v4, 31, v2
	v_lshrrev_b32_e32 v3, 3, v2
	v_lshrrev_b32_e32 v13, 5, v2
	v_lshlrev_b32_e32 v7, 2, v9
	v_add_nc_u32_e32 v2, s2, v4
	v_add_nc_u32_e32 v5, s6, v3
	v_or_b32_e32 v6, s2, v4
	v_lshl_or_b32 v8, v3, 5, v7
	v_lshlrev_b32_e32 v4, 2, v4
	v_lshlrev_b32_e32 v16, 2, v13
	v_cmp_gt_i32_e32 vcc_lo, s12, v6
	s_waitcnt lgkmcnt(0)
	v_mad_i64_i32 v[2:3], null, s0, v2, 0
	v_lshl_or_b32 v14, v13, 7, v4
	v_cmp_gt_i32_e64 s0, s12, v5
	s_mul_i32 s9, s17, s8
	s_mul_hi_u32 s15, s16, s8
	v_mad_i64_i32 v[4:5], null, s1, v5, 0
	v_lshlrev_b64 v[2:3], 2, v[2:3]
	s_mul_i32 s16, s16, s8
	s_add_i32 s17, s15, s9
	v_add_nc_u32_e32 v15, 0x400, v8
	s_lshl_b64 s[16:17], s[16:17], 2
	s_mul_hi_u32 s9, s20, s8
	v_add_co_u32 v8, s1, v2, s16
	v_add_co_ci_u32_e64 v10, null, s17, v3, s1
	s_mul_i32 s1, s21, s8
	v_lshlrev_b64 v[2:3], 2, v[4:5]
	s_add_i32 s17, s9, s1
	s_mul_i32 s16, s20, s8
	v_mov_b32_e32 v6, 0
	s_lshl_b64 s[16:17], s[16:17], 2
	v_add_co_u32 v2, s1, v2, s16
	v_add_co_ci_u32_e64 v3, null, s17, v3, s1
	v_add_co_u32 v4, s1, v8, v16
	v_add_co_ci_u32_e64 v5, null, 0, v10, s1
	v_add_co_u32 v7, s1, v2, v7
	v_add_co_ci_u32_e64 v8, null, 0, v3, s1
	v_add_co_u32 v2, s1, s10, v4
	v_add_co_ci_u32_e64 v3, null, s11, v5, s1
	v_add_co_u32 v4, s1, s18, v7
	v_add_co_ci_u32_e64 v5, null, s19, v8, s1
	v_mov_b32_e32 v7, 0
	v_mov_b32_e32 v8, 0
	;; [unrolled: 1-line block ×3, first 2 shown]
	s_branch .LBB30_6
.LBB30_5:                               ;   in Loop: Header=BB30_6 Depth=1
	s_or_b32 exec_lo, exec_lo, s1
	s_waitcnt vmcnt(0)
	ds_write_b32 v15, v17
	s_waitcnt lgkmcnt(0)
	s_barrier
	buffer_gl0_inv
	ds_read_b128 v[16:19], v12
	ds_read2_b32 v[32:33], v11 offset1:16
	ds_read_b128 v[20:23], v12 offset:512
	ds_read2_b32 v[34:35], v11 offset0:32 offset1:48
	ds_read2_b32 v[36:37], v11 offset0:64 offset1:80
	;; [unrolled: 1-line block ×3, first 2 shown]
	ds_read_b128 v[24:27], v12 offset:16
	ds_read2_b32 v[40:41], v11 offset0:128 offset1:144
	ds_read_b128 v[28:31], v12 offset:528
	v_add_co_u32 v2, s1, v2, 32
	v_add_co_ci_u32_e64 v3, null, 0, v3, s1
	v_add_co_u32 v4, s1, v4, 32
	v_add_co_ci_u32_e64 v5, null, 0, v5, s1
	s_add_i32 s7, s7, 8
	s_cmp_lt_i32 s7, s13
	s_waitcnt lgkmcnt(7)
	v_fmac_f32_e32 v10, v32, v16
	v_fmac_f32_e32 v8, v33, v16
	s_waitcnt lgkmcnt(6)
	v_fmac_f32_e32 v7, v32, v20
	v_fmac_f32_e32 v6, v33, v20
	ds_read2_b32 v[32:33], v11 offset0:160 offset1:176
	s_waitcnt lgkmcnt(6)
	v_fmac_f32_e32 v10, v34, v17
	v_fmac_f32_e32 v8, v35, v17
	v_fmac_f32_e32 v7, v34, v21
	v_fmac_f32_e32 v6, v35, v21
	ds_read2_b32 v[16:17], v11 offset0:192 offset1:208
	s_waitcnt lgkmcnt(6)
	v_fmac_f32_e32 v10, v36, v18
	v_fmac_f32_e32 v8, v37, v18
	;; [unrolled: 6-line block ×3, first 2 shown]
	v_fmac_f32_e32 v7, v38, v23
	v_fmac_f32_e32 v6, v39, v23
	s_waitcnt lgkmcnt(0)
	v_fmac_f32_e32 v10, v40, v24
	v_fmac_f32_e32 v8, v41, v24
	;; [unrolled: 1-line block ×4, first 2 shown]
	s_barrier
	v_fmac_f32_e32 v10, v32, v25
	v_fmac_f32_e32 v8, v33, v25
	v_fmac_f32_e32 v7, v32, v29
	v_fmac_f32_e32 v6, v33, v29
	buffer_gl0_inv
	v_fmac_f32_e32 v10, v16, v26
	v_fmac_f32_e32 v8, v17, v26
	;; [unrolled: 1-line block ×8, first 2 shown]
	s_cbranch_scc0 .LBB30_10
.LBB30_6:                               ; =>This Inner Loop Header: Depth=1
	v_add_nc_u32_e32 v16, s7, v13
	v_cmp_gt_i32_e64 s1, s13, v16
	v_mov_b32_e32 v16, 0
	s_and_b32 s9, vcc_lo, s1
	s_and_saveexec_b32 s1, s9
	s_cbranch_execz .LBB30_8
; %bb.7:                                ;   in Loop: Header=BB30_6 Depth=1
	global_load_dword v16, v[2:3], off
.LBB30_8:                               ;   in Loop: Header=BB30_6 Depth=1
	s_or_b32 exec_lo, exec_lo, s1
	v_add_nc_u32_e32 v17, s7, v9
	s_waitcnt vmcnt(0)
	ds_write_b32 v14, v16
	v_cmp_gt_i32_e64 s1, s13, v17
	v_mov_b32_e32 v17, 0
	s_and_b32 s9, s1, s0
	s_and_saveexec_b32 s1, s9
	s_cbranch_execz .LBB30_5
; %bb.9:                                ;   in Loop: Header=BB30_6 Depth=1
	global_load_dword v17, v[4:5], off
	s_branch .LBB30_5
.LBB30_10:
	s_clause 0x2
	s_load_dword s7, s[4:5], 0x50
	s_load_dwordx2 s[10:11], s[4:5], 0x58
	s_load_dwordx2 s[4:5], s[4:5], 0x48
	v_add_nc_u32_e32 v11, s6, v1
	v_add_nc_u32_e32 v0, s2, v0
	v_cmp_le_i32_e32 vcc_lo, v11, v0
	v_cmp_gt_i32_e64 s0, s12, v0
	s_waitcnt lgkmcnt(0)
	v_mad_i64_i32 v[1:2], null, v11, s7, 0
	s_mul_i32 s1, s11, s8
	s_mul_hi_u32 s2, s10, s8
	s_mul_i32 s8, s10, s8
	s_add_i32 s9, s2, s1
	v_cmp_neq_f32_e64 s2, s3, 0
	s_lshl_b64 s[8:9], s[8:9], 2
	v_lshlrev_b64 v[2:3], 2, v[1:2]
	s_add_u32 s4, s4, s8
	s_addc_u32 s5, s5, s9
	v_ashrrev_i32_e32 v1, 31, v0
	v_cndmask_b32_e64 v9, 0, 1, s2
	s_and_b32 s6, vcc_lo, s0
	v_add_co_u32 v4, s1, s4, v2
	v_add_co_ci_u32_e64 v5, null, s5, v3, s1
	s_and_saveexec_b32 s1, s6
	s_cbranch_execz .LBB30_14
; %bb.11:
	v_lshlrev_b64 v[2:3], 2, v[0:1]
	v_mul_f32_e32 v10, s14, v10
	v_add_co_u32 v2, vcc_lo, v4, v2
	v_add_co_ci_u32_e64 v3, null, v5, v3, vcc_lo
	s_andn2_b32 vcc_lo, exec_lo, s2
	s_cbranch_vccnz .LBB30_13
; %bb.12:
	global_load_dword v12, v[2:3], off
	s_waitcnt vmcnt(0)
	v_fmac_f32_e32 v10, s3, v12
.LBB30_13:
	global_store_dword v[2:3], v10, off
.LBB30_14:
	s_or_b32 exec_lo, exec_lo, s1
	v_add_nc_u32_e32 v2, 16, v0
	v_cmp_le_i32_e32 vcc_lo, v11, v2
	v_cmp_gt_i32_e64 s1, s12, v2
	v_ashrrev_i32_e32 v3, 31, v2
	s_and_b32 s2, vcc_lo, s1
	s_and_saveexec_b32 s6, s2
	s_cbranch_execz .LBB30_18
; %bb.15:
	v_lshlrev_b64 v[12:13], 2, v[2:3]
	v_cmp_ne_u32_e32 vcc_lo, 1, v9
	v_mul_f32_e32 v8, s14, v8
	v_add_co_u32 v4, s2, v4, v12
	v_add_co_ci_u32_e64 v5, null, v5, v13, s2
	s_cbranch_vccnz .LBB30_17
; %bb.16:
	global_load_dword v10, v[4:5], off
	s_waitcnt vmcnt(0)
	v_fmac_f32_e32 v8, s3, v10
.LBB30_17:
	global_store_dword v[4:5], v8, off
.LBB30_18:
	s_or_b32 exec_lo, exec_lo, s6
	v_add_nc_u32_e32 v8, 16, v11
	v_mad_i64_i32 v[4:5], null, v8, s7, 0
	v_cmp_le_i32_e32 vcc_lo, v8, v0
	s_and_b32 s0, vcc_lo, s0
	v_lshlrev_b64 v[4:5], 2, v[4:5]
	v_add_co_u32 v4, s2, s4, v4
	v_add_co_ci_u32_e64 v5, null, s5, v5, s2
	s_and_saveexec_b32 s2, s0
	s_cbranch_execz .LBB30_22
; %bb.19:
	v_lshlrev_b64 v[0:1], 2, v[0:1]
	v_cmp_ne_u32_e32 vcc_lo, 1, v9
	v_mul_f32_e32 v7, s14, v7
	v_add_co_u32 v0, s0, v4, v0
	v_add_co_ci_u32_e64 v1, null, v5, v1, s0
	s_cbranch_vccnz .LBB30_21
; %bb.20:
	global_load_dword v10, v[0:1], off
	s_waitcnt vmcnt(0)
	v_fmac_f32_e32 v7, s3, v10
.LBB30_21:
	global_store_dword v[0:1], v7, off
.LBB30_22:
	s_or_b32 exec_lo, exec_lo, s2
	v_cmp_le_i32_e32 vcc_lo, v8, v2
	s_and_b32 s0, vcc_lo, s1
	s_and_saveexec_b32 s1, s0
	s_cbranch_execz .LBB30_26
; %bb.23:
	v_lshlrev_b64 v[0:1], 2, v[2:3]
	v_cmp_ne_u32_e32 vcc_lo, 1, v9
	v_mul_f32_e32 v2, s14, v6
	v_add_co_u32 v0, s0, v4, v0
	v_add_co_ci_u32_e64 v1, null, v5, v1, s0
	s_cbranch_vccnz .LBB30_25
; %bb.24:
	global_load_dword v3, v[0:1], off
	s_waitcnt vmcnt(0)
	v_fmac_f32_e32 v2, s3, v3
.LBB30_25:
	global_store_dword v[0:1], v2, off
.LBB30_26:
	s_endpgm
	.section	.rodata,"a",@progbits
	.p2align	6, 0x0
	.amdhsa_kernel _ZL29rocblas_internal_gemmt_kernelIiLi16ELi32ELi8ELc84ELc78ELc76ELb0ELb0EffPKfPfEviT_T9_T10_S3_lS5_S3_lS4_T11_S3_li
		.amdhsa_group_segment_fixed_size 2048
		.amdhsa_private_segment_fixed_size 0
		.amdhsa_kernarg_size 100
		.amdhsa_user_sgpr_count 6
		.amdhsa_user_sgpr_private_segment_buffer 1
		.amdhsa_user_sgpr_dispatch_ptr 0
		.amdhsa_user_sgpr_queue_ptr 0
		.amdhsa_user_sgpr_kernarg_segment_ptr 1
		.amdhsa_user_sgpr_dispatch_id 0
		.amdhsa_user_sgpr_flat_scratch_init 0
		.amdhsa_user_sgpr_private_segment_size 0
		.amdhsa_wavefront_size32 1
		.amdhsa_uses_dynamic_stack 0
		.amdhsa_system_sgpr_private_segment_wavefront_offset 0
		.amdhsa_system_sgpr_workgroup_id_x 1
		.amdhsa_system_sgpr_workgroup_id_y 1
		.amdhsa_system_sgpr_workgroup_id_z 1
		.amdhsa_system_sgpr_workgroup_info 0
		.amdhsa_system_vgpr_workitem_id 1
		.amdhsa_next_free_vgpr 42
		.amdhsa_next_free_sgpr 22
		.amdhsa_reserve_vcc 1
		.amdhsa_reserve_flat_scratch 0
		.amdhsa_float_round_mode_32 0
		.amdhsa_float_round_mode_16_64 0
		.amdhsa_float_denorm_mode_32 3
		.amdhsa_float_denorm_mode_16_64 3
		.amdhsa_dx10_clamp 1
		.amdhsa_ieee_mode 1
		.amdhsa_fp16_overflow 0
		.amdhsa_workgroup_processor_mode 1
		.amdhsa_memory_ordered 1
		.amdhsa_forward_progress 1
		.amdhsa_shared_vgpr_count 0
		.amdhsa_exception_fp_ieee_invalid_op 0
		.amdhsa_exception_fp_denorm_src 0
		.amdhsa_exception_fp_ieee_div_zero 0
		.amdhsa_exception_fp_ieee_overflow 0
		.amdhsa_exception_fp_ieee_underflow 0
		.amdhsa_exception_fp_ieee_inexact 0
		.amdhsa_exception_int_div_zero 0
	.end_amdhsa_kernel
	.section	.text._ZL29rocblas_internal_gemmt_kernelIiLi16ELi32ELi8ELc84ELc78ELc76ELb0ELb0EffPKfPfEviT_T9_T10_S3_lS5_S3_lS4_T11_S3_li,"axG",@progbits,_ZL29rocblas_internal_gemmt_kernelIiLi16ELi32ELi8ELc84ELc78ELc76ELb0ELb0EffPKfPfEviT_T9_T10_S3_lS5_S3_lS4_T11_S3_li,comdat
.Lfunc_end30:
	.size	_ZL29rocblas_internal_gemmt_kernelIiLi16ELi32ELi8ELc84ELc78ELc76ELb0ELb0EffPKfPfEviT_T9_T10_S3_lS5_S3_lS4_T11_S3_li, .Lfunc_end30-_ZL29rocblas_internal_gemmt_kernelIiLi16ELi32ELi8ELc84ELc78ELc76ELb0ELb0EffPKfPfEviT_T9_T10_S3_lS5_S3_lS4_T11_S3_li
                                        ; -- End function
	.set _ZL29rocblas_internal_gemmt_kernelIiLi16ELi32ELi8ELc84ELc78ELc76ELb0ELb0EffPKfPfEviT_T9_T10_S3_lS5_S3_lS4_T11_S3_li.num_vgpr, 42
	.set _ZL29rocblas_internal_gemmt_kernelIiLi16ELi32ELi8ELc84ELc78ELc76ELb0ELb0EffPKfPfEviT_T9_T10_S3_lS5_S3_lS4_T11_S3_li.num_agpr, 0
	.set _ZL29rocblas_internal_gemmt_kernelIiLi16ELi32ELi8ELc84ELc78ELc76ELb0ELb0EffPKfPfEviT_T9_T10_S3_lS5_S3_lS4_T11_S3_li.numbered_sgpr, 22
	.set _ZL29rocblas_internal_gemmt_kernelIiLi16ELi32ELi8ELc84ELc78ELc76ELb0ELb0EffPKfPfEviT_T9_T10_S3_lS5_S3_lS4_T11_S3_li.num_named_barrier, 0
	.set _ZL29rocblas_internal_gemmt_kernelIiLi16ELi32ELi8ELc84ELc78ELc76ELb0ELb0EffPKfPfEviT_T9_T10_S3_lS5_S3_lS4_T11_S3_li.private_seg_size, 0
	.set _ZL29rocblas_internal_gemmt_kernelIiLi16ELi32ELi8ELc84ELc78ELc76ELb0ELb0EffPKfPfEviT_T9_T10_S3_lS5_S3_lS4_T11_S3_li.uses_vcc, 1
	.set _ZL29rocblas_internal_gemmt_kernelIiLi16ELi32ELi8ELc84ELc78ELc76ELb0ELb0EffPKfPfEviT_T9_T10_S3_lS5_S3_lS4_T11_S3_li.uses_flat_scratch, 0
	.set _ZL29rocblas_internal_gemmt_kernelIiLi16ELi32ELi8ELc84ELc78ELc76ELb0ELb0EffPKfPfEviT_T9_T10_S3_lS5_S3_lS4_T11_S3_li.has_dyn_sized_stack, 0
	.set _ZL29rocblas_internal_gemmt_kernelIiLi16ELi32ELi8ELc84ELc78ELc76ELb0ELb0EffPKfPfEviT_T9_T10_S3_lS5_S3_lS4_T11_S3_li.has_recursion, 0
	.set _ZL29rocblas_internal_gemmt_kernelIiLi16ELi32ELi8ELc84ELc78ELc76ELb0ELb0EffPKfPfEviT_T9_T10_S3_lS5_S3_lS4_T11_S3_li.has_indirect_call, 0
	.section	.AMDGPU.csdata,"",@progbits
; Kernel info:
; codeLenInByte = 1392
; TotalNumSgprs: 24
; NumVgprs: 42
; ScratchSize: 0
; MemoryBound: 0
; FloatMode: 240
; IeeeMode: 1
; LDSByteSize: 2048 bytes/workgroup (compile time only)
; SGPRBlocks: 0
; VGPRBlocks: 5
; NumSGPRsForWavesPerEU: 24
; NumVGPRsForWavesPerEU: 42
; Occupancy: 16
; WaveLimiterHint : 0
; COMPUTE_PGM_RSRC2:SCRATCH_EN: 0
; COMPUTE_PGM_RSRC2:USER_SGPR: 6
; COMPUTE_PGM_RSRC2:TRAP_HANDLER: 0
; COMPUTE_PGM_RSRC2:TGID_X_EN: 1
; COMPUTE_PGM_RSRC2:TGID_Y_EN: 1
; COMPUTE_PGM_RSRC2:TGID_Z_EN: 1
; COMPUTE_PGM_RSRC2:TIDIG_COMP_CNT: 1
	.section	.text._ZL29rocblas_internal_gemmt_kernelIiLi16ELi32ELi8ELc84ELc84ELc76ELb0ELb0EffPKfPfEviT_T9_T10_S3_lS5_S3_lS4_T11_S3_li,"axG",@progbits,_ZL29rocblas_internal_gemmt_kernelIiLi16ELi32ELi8ELc84ELc84ELc76ELb0ELb0EffPKfPfEviT_T9_T10_S3_lS5_S3_lS4_T11_S3_li,comdat
	.globl	_ZL29rocblas_internal_gemmt_kernelIiLi16ELi32ELi8ELc84ELc84ELc76ELb0ELb0EffPKfPfEviT_T9_T10_S3_lS5_S3_lS4_T11_S3_li ; -- Begin function _ZL29rocblas_internal_gemmt_kernelIiLi16ELi32ELi8ELc84ELc84ELc76ELb0ELb0EffPKfPfEviT_T9_T10_S3_lS5_S3_lS4_T11_S3_li
	.p2align	8
	.type	_ZL29rocblas_internal_gemmt_kernelIiLi16ELi32ELi8ELc84ELc84ELc76ELb0ELb0EffPKfPfEviT_T9_T10_S3_lS5_S3_lS4_T11_S3_li,@function
_ZL29rocblas_internal_gemmt_kernelIiLi16ELi32ELi8ELc84ELc84ELc76ELb0ELb0EffPKfPfEviT_T9_T10_S3_lS5_S3_lS4_T11_S3_li: ; @_ZL29rocblas_internal_gemmt_kernelIiLi16ELi32ELi8ELc84ELc84ELc76ELb0ELb0EffPKfPfEviT_T9_T10_S3_lS5_S3_lS4_T11_S3_li
; %bb.0:
	s_clause 0x1
	s_load_dword s9, s[4:5], 0x40
	s_load_dwordx4 s[12:15], s[4:5], 0x0
	s_waitcnt lgkmcnt(0)
	v_cmp_neq_f32_e64 s0, s9, 1.0
	s_and_b32 vcc_lo, exec_lo, s0
	s_cbranch_vccnz .LBB31_2
; %bb.1:
	v_cmp_neq_f32_e64 s0, s14, 0
	s_cmp_lg_u32 s13, 0
	s_cselect_b32 s1, -1, 0
	s_and_b32 s0, s1, s0
.LBB31_2:
	s_andn2_b32 vcc_lo, exec_lo, s0
	s_cbranch_vccnz .LBB31_26
; %bb.3:
	s_lshl_b32 s6, s6, 5
	s_lshl_b32 s7, s7, 5
	v_cmp_eq_f32_e64 s0, s14, 0
	s_cmp_lt_i32 s13, 1
	v_mov_b32_e32 v13, 0
	s_cselect_b32 s1, -1, 0
	v_mov_b32_e32 v8, 0
	v_mov_b32_e32 v7, 0
	;; [unrolled: 1-line block ×3, first 2 shown]
	s_or_b32 s0, s0, s1
	s_mov_b32 s10, 0
	s_and_b32 vcc_lo, exec_lo, s0
	s_cbranch_vccnz .LBB31_10
; %bb.4:
	s_clause 0x1
	s_load_dword s0, s[4:5], 0x18
	s_load_dwordx2 s[2:3], s[4:5], 0x10
	v_lshl_add_u32 v2, v1, 4, v0
	s_clause 0x2
	s_load_dwordx4 s[16:19], s[4:5], 0x20
	s_load_dword s20, s[4:5], 0x30
	s_load_dwordx2 s[22:23], s[4:5], 0x38
	v_and_b32_e32 v9, 7, v0
	v_lshlrev_b32_e32 v10, 2, v0
	v_lshl_add_u32 v11, v1, 5, 0x400
	v_and_b32_e32 v3, 31, v2
	v_lshrrev_b32_e32 v4, 3, v2
	v_lshlrev_b32_e32 v5, 2, v9
	v_lshrrev_b32_e32 v12, 5, v2
	v_add_nc_u32_e32 v7, s6, v3
	v_add_nc_u32_e32 v2, s7, v4
	v_lshl_or_b32 v8, v4, 5, v5
	v_or_b32_e32 v6, s6, v3
	v_lshlrev_b32_e32 v3, 2, v3
	v_lshlrev_b32_e32 v16, 2, v12
	v_add_nc_u32_e32 v15, 0x400, v8
	s_waitcnt lgkmcnt(0)
	v_mad_i64_i32 v[4:5], null, s0, v7, 0
	v_cmp_gt_i32_e32 vcc_lo, s12, v6
	s_mul_i32 s1, s17, s8
	s_mul_hi_u32 s11, s16, s8
	v_mad_i64_i32 v[6:7], null, s20, v9, 0
	s_mul_i32 s16, s16, s8
	v_lshlrev_b64 v[4:5], 2, v[4:5]
	s_add_i32 s17, s11, s1
	v_lshl_or_b32 v14, v12, 7, v3
	s_lshl_b64 s[16:17], s[16:17], 2
	v_ashrrev_i32_e32 v3, 31, v2
	s_mul_hi_u32 s11, s22, s8
	v_add_co_u32 v8, s1, v4, s16
	v_add_co_ci_u32_e64 v13, null, s17, v5, s1
	s_mul_i32 s1, s23, s8
	v_lshlrev_b64 v[4:5], 2, v[6:7]
	s_add_i32 s17, s11, s1
	s_mul_i32 s16, s22, s8
	v_cmp_gt_i32_e64 s0, s12, v2
	s_lshl_b64 s[16:17], s[16:17], 2
	v_lshlrev_b64 v[2:3], 2, v[2:3]
	v_add_co_u32 v4, s1, s16, v4
	v_add_co_ci_u32_e64 v5, null, s17, v5, s1
	v_add_co_u32 v7, s1, v8, v16
	v_add_co_ci_u32_e64 v8, null, 0, v13, s1
	;; [unrolled: 2-line block ×4, first 2 shown]
	v_add_co_u32 v4, s1, s18, v4
	v_mov_b32_e32 v6, 0
	v_add_co_ci_u32_e64 v5, null, s19, v5, s1
	v_mov_b32_e32 v7, 0
	v_mov_b32_e32 v8, 0
	;; [unrolled: 1-line block ×3, first 2 shown]
	s_ashr_i32 s21, s20, 31
	s_lshl_b64 s[2:3], s[20:21], 5
	s_branch .LBB31_6
.LBB31_5:                               ;   in Loop: Header=BB31_6 Depth=1
	s_or_b32 exec_lo, exec_lo, s1
	s_waitcnt vmcnt(0)
	ds_write_b32 v15, v17
	s_waitcnt lgkmcnt(0)
	s_barrier
	buffer_gl0_inv
	ds_read_b128 v[16:19], v11
	ds_read2_b32 v[32:33], v10 offset1:16
	ds_read_b128 v[20:23], v11 offset:512
	ds_read2_b32 v[34:35], v10 offset0:32 offset1:48
	ds_read2_b32 v[36:37], v10 offset0:64 offset1:80
	;; [unrolled: 1-line block ×3, first 2 shown]
	ds_read_b128 v[24:27], v11 offset:16
	ds_read2_b32 v[40:41], v10 offset0:128 offset1:144
	ds_read_b128 v[28:31], v11 offset:528
	v_add_co_u32 v2, s1, v2, 32
	v_add_co_ci_u32_e64 v3, null, 0, v3, s1
	v_add_co_u32 v4, s1, v4, s2
	v_add_co_ci_u32_e64 v5, null, s3, v5, s1
	s_add_i32 s10, s10, 8
	s_cmp_lt_i32 s10, s13
	s_waitcnt lgkmcnt(7)
	v_fmac_f32_e32 v13, v32, v16
	v_fmac_f32_e32 v8, v33, v16
	s_waitcnt lgkmcnt(6)
	v_fmac_f32_e32 v7, v32, v20
	v_fmac_f32_e32 v6, v33, v20
	ds_read2_b32 v[32:33], v10 offset0:160 offset1:176
	s_waitcnt lgkmcnt(6)
	v_fmac_f32_e32 v13, v34, v17
	v_fmac_f32_e32 v8, v35, v17
	v_fmac_f32_e32 v7, v34, v21
	v_fmac_f32_e32 v6, v35, v21
	ds_read2_b32 v[16:17], v10 offset0:192 offset1:208
	s_waitcnt lgkmcnt(6)
	v_fmac_f32_e32 v13, v36, v18
	v_fmac_f32_e32 v8, v37, v18
	v_fmac_f32_e32 v7, v36, v22
	v_fmac_f32_e32 v6, v37, v22
	ds_read2_b32 v[20:21], v10 offset0:224 offset1:240
	s_waitcnt lgkmcnt(6)
	v_fmac_f32_e32 v13, v38, v19
	v_fmac_f32_e32 v8, v39, v19
	v_fmac_f32_e32 v7, v38, v23
	v_fmac_f32_e32 v6, v39, v23
	s_waitcnt lgkmcnt(0)
	v_fmac_f32_e32 v13, v40, v24
	v_fmac_f32_e32 v8, v41, v24
	;; [unrolled: 1-line block ×4, first 2 shown]
	s_barrier
	v_fmac_f32_e32 v13, v32, v25
	v_fmac_f32_e32 v8, v33, v25
	v_fmac_f32_e32 v7, v32, v29
	v_fmac_f32_e32 v6, v33, v29
	buffer_gl0_inv
	v_fmac_f32_e32 v13, v16, v26
	v_fmac_f32_e32 v8, v17, v26
	;; [unrolled: 1-line block ×8, first 2 shown]
	s_cbranch_scc0 .LBB31_10
.LBB31_6:                               ; =>This Inner Loop Header: Depth=1
	v_add_nc_u32_e32 v16, s10, v12
	v_cmp_gt_i32_e64 s1, s13, v16
	v_mov_b32_e32 v16, 0
	s_and_b32 s11, vcc_lo, s1
	s_and_saveexec_b32 s1, s11
	s_cbranch_execz .LBB31_8
; %bb.7:                                ;   in Loop: Header=BB31_6 Depth=1
	global_load_dword v16, v[2:3], off
.LBB31_8:                               ;   in Loop: Header=BB31_6 Depth=1
	s_or_b32 exec_lo, exec_lo, s1
	v_add_nc_u32_e32 v17, s10, v9
	s_waitcnt vmcnt(0)
	ds_write_b32 v14, v16
	v_cmp_gt_i32_e64 s1, s13, v17
	v_mov_b32_e32 v17, 0
	s_and_b32 s11, s1, s0
	s_and_saveexec_b32 s1, s11
	s_cbranch_execz .LBB31_5
; %bb.9:                                ;   in Loop: Header=BB31_6 Depth=1
	global_load_dword v17, v[4:5], off
	s_branch .LBB31_5
.LBB31_10:
	s_clause 0x2
	s_load_dword s3, s[4:5], 0x50
	s_load_dwordx2 s[10:11], s[4:5], 0x58
	s_load_dwordx2 s[4:5], s[4:5], 0x48
	v_add_nc_u32_e32 v10, s7, v1
	v_add_nc_u32_e32 v0, s6, v0
	v_cmp_le_i32_e32 vcc_lo, v10, v0
	v_cmp_gt_i32_e64 s0, s12, v0
	s_waitcnt lgkmcnt(0)
	v_mad_i64_i32 v[1:2], null, v10, s3, 0
	s_mul_i32 s1, s11, s8
	s_mul_hi_u32 s2, s10, s8
	s_mul_i32 s6, s10, s8
	s_add_i32 s7, s2, s1
	v_cmp_neq_f32_e64 s2, s9, 0
	s_lshl_b64 s[6:7], s[6:7], 2
	v_lshlrev_b64 v[2:3], 2, v[1:2]
	s_add_u32 s4, s4, s6
	s_addc_u32 s5, s5, s7
	v_ashrrev_i32_e32 v1, 31, v0
	v_cndmask_b32_e64 v9, 0, 1, s2
	s_and_b32 s6, vcc_lo, s0
	v_add_co_u32 v4, s1, s4, v2
	v_add_co_ci_u32_e64 v5, null, s5, v3, s1
	s_and_saveexec_b32 s1, s6
	s_cbranch_execz .LBB31_14
; %bb.11:
	v_lshlrev_b64 v[2:3], 2, v[0:1]
	v_mul_f32_e32 v11, s14, v13
	v_add_co_u32 v2, vcc_lo, v4, v2
	v_add_co_ci_u32_e64 v3, null, v5, v3, vcc_lo
	s_andn2_b32 vcc_lo, exec_lo, s2
	s_cbranch_vccnz .LBB31_13
; %bb.12:
	global_load_dword v12, v[2:3], off
	s_waitcnt vmcnt(0)
	v_fmac_f32_e32 v11, s9, v12
.LBB31_13:
	global_store_dword v[2:3], v11, off
.LBB31_14:
	s_or_b32 exec_lo, exec_lo, s1
	v_add_nc_u32_e32 v2, 16, v0
	v_cmp_le_i32_e32 vcc_lo, v10, v2
	v_cmp_gt_i32_e64 s1, s12, v2
	v_ashrrev_i32_e32 v3, 31, v2
	s_and_b32 s2, vcc_lo, s1
	s_and_saveexec_b32 s6, s2
	s_cbranch_execz .LBB31_18
; %bb.15:
	v_lshlrev_b64 v[11:12], 2, v[2:3]
	v_cmp_ne_u32_e32 vcc_lo, 1, v9
	v_mul_f32_e32 v8, s14, v8
	v_add_co_u32 v4, s2, v4, v11
	v_add_co_ci_u32_e64 v5, null, v5, v12, s2
	s_cbranch_vccnz .LBB31_17
; %bb.16:
	global_load_dword v11, v[4:5], off
	s_waitcnt vmcnt(0)
	v_fmac_f32_e32 v8, s9, v11
.LBB31_17:
	global_store_dword v[4:5], v8, off
.LBB31_18:
	s_or_b32 exec_lo, exec_lo, s6
	v_add_nc_u32_e32 v8, 16, v10
	v_mad_i64_i32 v[4:5], null, v8, s3, 0
	v_cmp_le_i32_e32 vcc_lo, v8, v0
	s_and_b32 s0, vcc_lo, s0
	v_lshlrev_b64 v[4:5], 2, v[4:5]
	v_add_co_u32 v4, s2, s4, v4
	v_add_co_ci_u32_e64 v5, null, s5, v5, s2
	s_and_saveexec_b32 s2, s0
	s_cbranch_execz .LBB31_22
; %bb.19:
	v_lshlrev_b64 v[0:1], 2, v[0:1]
	v_cmp_ne_u32_e32 vcc_lo, 1, v9
	v_mul_f32_e32 v7, s14, v7
	v_add_co_u32 v0, s0, v4, v0
	v_add_co_ci_u32_e64 v1, null, v5, v1, s0
	s_cbranch_vccnz .LBB31_21
; %bb.20:
	global_load_dword v10, v[0:1], off
	s_waitcnt vmcnt(0)
	v_fmac_f32_e32 v7, s9, v10
.LBB31_21:
	global_store_dword v[0:1], v7, off
.LBB31_22:
	s_or_b32 exec_lo, exec_lo, s2
	v_cmp_le_i32_e32 vcc_lo, v8, v2
	s_and_b32 s0, vcc_lo, s1
	s_and_saveexec_b32 s1, s0
	s_cbranch_execz .LBB31_26
; %bb.23:
	v_lshlrev_b64 v[0:1], 2, v[2:3]
	v_cmp_ne_u32_e32 vcc_lo, 1, v9
	v_mul_f32_e32 v2, s14, v6
	v_add_co_u32 v0, s0, v4, v0
	v_add_co_ci_u32_e64 v1, null, v5, v1, s0
	s_cbranch_vccnz .LBB31_25
; %bb.24:
	global_load_dword v3, v[0:1], off
	s_waitcnt vmcnt(0)
	v_fmac_f32_e32 v2, s9, v3
.LBB31_25:
	global_store_dword v[0:1], v2, off
.LBB31_26:
	s_endpgm
	.section	.rodata,"a",@progbits
	.p2align	6, 0x0
	.amdhsa_kernel _ZL29rocblas_internal_gemmt_kernelIiLi16ELi32ELi8ELc84ELc84ELc76ELb0ELb0EffPKfPfEviT_T9_T10_S3_lS5_S3_lS4_T11_S3_li
		.amdhsa_group_segment_fixed_size 2048
		.amdhsa_private_segment_fixed_size 0
		.amdhsa_kernarg_size 100
		.amdhsa_user_sgpr_count 6
		.amdhsa_user_sgpr_private_segment_buffer 1
		.amdhsa_user_sgpr_dispatch_ptr 0
		.amdhsa_user_sgpr_queue_ptr 0
		.amdhsa_user_sgpr_kernarg_segment_ptr 1
		.amdhsa_user_sgpr_dispatch_id 0
		.amdhsa_user_sgpr_flat_scratch_init 0
		.amdhsa_user_sgpr_private_segment_size 0
		.amdhsa_wavefront_size32 1
		.amdhsa_uses_dynamic_stack 0
		.amdhsa_system_sgpr_private_segment_wavefront_offset 0
		.amdhsa_system_sgpr_workgroup_id_x 1
		.amdhsa_system_sgpr_workgroup_id_y 1
		.amdhsa_system_sgpr_workgroup_id_z 1
		.amdhsa_system_sgpr_workgroup_info 0
		.amdhsa_system_vgpr_workitem_id 1
		.amdhsa_next_free_vgpr 42
		.amdhsa_next_free_sgpr 24
		.amdhsa_reserve_vcc 1
		.amdhsa_reserve_flat_scratch 0
		.amdhsa_float_round_mode_32 0
		.amdhsa_float_round_mode_16_64 0
		.amdhsa_float_denorm_mode_32 3
		.amdhsa_float_denorm_mode_16_64 3
		.amdhsa_dx10_clamp 1
		.amdhsa_ieee_mode 1
		.amdhsa_fp16_overflow 0
		.amdhsa_workgroup_processor_mode 1
		.amdhsa_memory_ordered 1
		.amdhsa_forward_progress 1
		.amdhsa_shared_vgpr_count 0
		.amdhsa_exception_fp_ieee_invalid_op 0
		.amdhsa_exception_fp_denorm_src 0
		.amdhsa_exception_fp_ieee_div_zero 0
		.amdhsa_exception_fp_ieee_overflow 0
		.amdhsa_exception_fp_ieee_underflow 0
		.amdhsa_exception_fp_ieee_inexact 0
		.amdhsa_exception_int_div_zero 0
	.end_amdhsa_kernel
	.section	.text._ZL29rocblas_internal_gemmt_kernelIiLi16ELi32ELi8ELc84ELc84ELc76ELb0ELb0EffPKfPfEviT_T9_T10_S3_lS5_S3_lS4_T11_S3_li,"axG",@progbits,_ZL29rocblas_internal_gemmt_kernelIiLi16ELi32ELi8ELc84ELc84ELc76ELb0ELb0EffPKfPfEviT_T9_T10_S3_lS5_S3_lS4_T11_S3_li,comdat
.Lfunc_end31:
	.size	_ZL29rocblas_internal_gemmt_kernelIiLi16ELi32ELi8ELc84ELc84ELc76ELb0ELb0EffPKfPfEviT_T9_T10_S3_lS5_S3_lS4_T11_S3_li, .Lfunc_end31-_ZL29rocblas_internal_gemmt_kernelIiLi16ELi32ELi8ELc84ELc84ELc76ELb0ELb0EffPKfPfEviT_T9_T10_S3_lS5_S3_lS4_T11_S3_li
                                        ; -- End function
	.set _ZL29rocblas_internal_gemmt_kernelIiLi16ELi32ELi8ELc84ELc84ELc76ELb0ELb0EffPKfPfEviT_T9_T10_S3_lS5_S3_lS4_T11_S3_li.num_vgpr, 42
	.set _ZL29rocblas_internal_gemmt_kernelIiLi16ELi32ELi8ELc84ELc84ELc76ELb0ELb0EffPKfPfEviT_T9_T10_S3_lS5_S3_lS4_T11_S3_li.num_agpr, 0
	.set _ZL29rocblas_internal_gemmt_kernelIiLi16ELi32ELi8ELc84ELc84ELc76ELb0ELb0EffPKfPfEviT_T9_T10_S3_lS5_S3_lS4_T11_S3_li.numbered_sgpr, 24
	.set _ZL29rocblas_internal_gemmt_kernelIiLi16ELi32ELi8ELc84ELc84ELc76ELb0ELb0EffPKfPfEviT_T9_T10_S3_lS5_S3_lS4_T11_S3_li.num_named_barrier, 0
	.set _ZL29rocblas_internal_gemmt_kernelIiLi16ELi32ELi8ELc84ELc84ELc76ELb0ELb0EffPKfPfEviT_T9_T10_S3_lS5_S3_lS4_T11_S3_li.private_seg_size, 0
	.set _ZL29rocblas_internal_gemmt_kernelIiLi16ELi32ELi8ELc84ELc84ELc76ELb0ELb0EffPKfPfEviT_T9_T10_S3_lS5_S3_lS4_T11_S3_li.uses_vcc, 1
	.set _ZL29rocblas_internal_gemmt_kernelIiLi16ELi32ELi8ELc84ELc84ELc76ELb0ELb0EffPKfPfEviT_T9_T10_S3_lS5_S3_lS4_T11_S3_li.uses_flat_scratch, 0
	.set _ZL29rocblas_internal_gemmt_kernelIiLi16ELi32ELi8ELc84ELc84ELc76ELb0ELb0EffPKfPfEviT_T9_T10_S3_lS5_S3_lS4_T11_S3_li.has_dyn_sized_stack, 0
	.set _ZL29rocblas_internal_gemmt_kernelIiLi16ELi32ELi8ELc84ELc84ELc76ELb0ELb0EffPKfPfEviT_T9_T10_S3_lS5_S3_lS4_T11_S3_li.has_recursion, 0
	.set _ZL29rocblas_internal_gemmt_kernelIiLi16ELi32ELi8ELc84ELc84ELc76ELb0ELb0EffPKfPfEviT_T9_T10_S3_lS5_S3_lS4_T11_S3_li.has_indirect_call, 0
	.section	.AMDGPU.csdata,"",@progbits
; Kernel info:
; codeLenInByte = 1412
; TotalNumSgprs: 26
; NumVgprs: 42
; ScratchSize: 0
; MemoryBound: 0
; FloatMode: 240
; IeeeMode: 1
; LDSByteSize: 2048 bytes/workgroup (compile time only)
; SGPRBlocks: 0
; VGPRBlocks: 5
; NumSGPRsForWavesPerEU: 26
; NumVGPRsForWavesPerEU: 42
; Occupancy: 16
; WaveLimiterHint : 0
; COMPUTE_PGM_RSRC2:SCRATCH_EN: 0
; COMPUTE_PGM_RSRC2:USER_SGPR: 6
; COMPUTE_PGM_RSRC2:TRAP_HANDLER: 0
; COMPUTE_PGM_RSRC2:TGID_X_EN: 1
; COMPUTE_PGM_RSRC2:TGID_Y_EN: 1
; COMPUTE_PGM_RSRC2:TGID_Z_EN: 1
; COMPUTE_PGM_RSRC2:TIDIG_COMP_CNT: 1
	.section	.text._ZL29rocblas_internal_gemmt_kernelIiLi16ELi32ELi8ELc84ELc67ELc76ELb0ELb0EffPKfPfEviT_T9_T10_S3_lS5_S3_lS4_T11_S3_li,"axG",@progbits,_ZL29rocblas_internal_gemmt_kernelIiLi16ELi32ELi8ELc84ELc67ELc76ELb0ELb0EffPKfPfEviT_T9_T10_S3_lS5_S3_lS4_T11_S3_li,comdat
	.globl	_ZL29rocblas_internal_gemmt_kernelIiLi16ELi32ELi8ELc84ELc67ELc76ELb0ELb0EffPKfPfEviT_T9_T10_S3_lS5_S3_lS4_T11_S3_li ; -- Begin function _ZL29rocblas_internal_gemmt_kernelIiLi16ELi32ELi8ELc84ELc67ELc76ELb0ELb0EffPKfPfEviT_T9_T10_S3_lS5_S3_lS4_T11_S3_li
	.p2align	8
	.type	_ZL29rocblas_internal_gemmt_kernelIiLi16ELi32ELi8ELc84ELc67ELc76ELb0ELb0EffPKfPfEviT_T9_T10_S3_lS5_S3_lS4_T11_S3_li,@function
_ZL29rocblas_internal_gemmt_kernelIiLi16ELi32ELi8ELc84ELc67ELc76ELb0ELb0EffPKfPfEviT_T9_T10_S3_lS5_S3_lS4_T11_S3_li: ; @_ZL29rocblas_internal_gemmt_kernelIiLi16ELi32ELi8ELc84ELc67ELc76ELb0ELb0EffPKfPfEviT_T9_T10_S3_lS5_S3_lS4_T11_S3_li
; %bb.0:
	s_clause 0x1
	s_load_dword s9, s[4:5], 0x40
	s_load_dwordx4 s[12:15], s[4:5], 0x0
	s_waitcnt lgkmcnt(0)
	v_cmp_neq_f32_e64 s0, s9, 1.0
	s_and_b32 vcc_lo, exec_lo, s0
	s_cbranch_vccnz .LBB32_2
; %bb.1:
	v_cmp_neq_f32_e64 s0, s14, 0
	s_cmp_lg_u32 s13, 0
	s_cselect_b32 s1, -1, 0
	s_and_b32 s0, s1, s0
.LBB32_2:
	s_andn2_b32 vcc_lo, exec_lo, s0
	s_cbranch_vccnz .LBB32_26
; %bb.3:
	s_lshl_b32 s6, s6, 5
	s_lshl_b32 s7, s7, 5
	v_cmp_eq_f32_e64 s0, s14, 0
	s_cmp_lt_i32 s13, 1
	v_mov_b32_e32 v13, 0
	s_cselect_b32 s1, -1, 0
	v_mov_b32_e32 v8, 0
	v_mov_b32_e32 v7, 0
	v_mov_b32_e32 v6, 0
	s_or_b32 s0, s0, s1
	s_mov_b32 s10, 0
	s_and_b32 vcc_lo, exec_lo, s0
	s_cbranch_vccnz .LBB32_10
; %bb.4:
	s_clause 0x1
	s_load_dword s0, s[4:5], 0x18
	s_load_dwordx2 s[2:3], s[4:5], 0x10
	v_lshl_add_u32 v2, v1, 4, v0
	s_clause 0x2
	s_load_dwordx4 s[16:19], s[4:5], 0x20
	s_load_dword s20, s[4:5], 0x30
	s_load_dwordx2 s[22:23], s[4:5], 0x38
	v_and_b32_e32 v9, 7, v0
	v_lshlrev_b32_e32 v10, 2, v0
	v_lshl_add_u32 v11, v1, 5, 0x400
	v_and_b32_e32 v3, 31, v2
	v_lshrrev_b32_e32 v4, 3, v2
	v_lshlrev_b32_e32 v5, 2, v9
	v_lshrrev_b32_e32 v12, 5, v2
	v_add_nc_u32_e32 v7, s6, v3
	v_add_nc_u32_e32 v2, s7, v4
	v_lshl_or_b32 v8, v4, 5, v5
	v_or_b32_e32 v6, s6, v3
	v_lshlrev_b32_e32 v3, 2, v3
	v_lshlrev_b32_e32 v16, 2, v12
	v_add_nc_u32_e32 v15, 0x400, v8
	s_waitcnt lgkmcnt(0)
	v_mad_i64_i32 v[4:5], null, s0, v7, 0
	v_cmp_gt_i32_e32 vcc_lo, s12, v6
	s_mul_i32 s1, s17, s8
	s_mul_hi_u32 s11, s16, s8
	v_mad_i64_i32 v[6:7], null, s20, v9, 0
	s_mul_i32 s16, s16, s8
	v_lshlrev_b64 v[4:5], 2, v[4:5]
	s_add_i32 s17, s11, s1
	v_lshl_or_b32 v14, v12, 7, v3
	s_lshl_b64 s[16:17], s[16:17], 2
	v_ashrrev_i32_e32 v3, 31, v2
	s_mul_hi_u32 s11, s22, s8
	v_add_co_u32 v8, s1, v4, s16
	v_add_co_ci_u32_e64 v13, null, s17, v5, s1
	s_mul_i32 s1, s23, s8
	v_lshlrev_b64 v[4:5], 2, v[6:7]
	s_add_i32 s17, s11, s1
	s_mul_i32 s16, s22, s8
	v_cmp_gt_i32_e64 s0, s12, v2
	s_lshl_b64 s[16:17], s[16:17], 2
	v_lshlrev_b64 v[2:3], 2, v[2:3]
	v_add_co_u32 v4, s1, s16, v4
	v_add_co_ci_u32_e64 v5, null, s17, v5, s1
	v_add_co_u32 v7, s1, v8, v16
	v_add_co_ci_u32_e64 v8, null, 0, v13, s1
	;; [unrolled: 2-line block ×4, first 2 shown]
	v_add_co_u32 v4, s1, s18, v4
	v_mov_b32_e32 v6, 0
	v_add_co_ci_u32_e64 v5, null, s19, v5, s1
	v_mov_b32_e32 v7, 0
	v_mov_b32_e32 v8, 0
	;; [unrolled: 1-line block ×3, first 2 shown]
	s_ashr_i32 s21, s20, 31
	s_lshl_b64 s[2:3], s[20:21], 5
	s_branch .LBB32_6
.LBB32_5:                               ;   in Loop: Header=BB32_6 Depth=1
	s_or_b32 exec_lo, exec_lo, s1
	s_waitcnt vmcnt(0)
	ds_write_b32 v15, v17
	s_waitcnt lgkmcnt(0)
	s_barrier
	buffer_gl0_inv
	ds_read_b128 v[16:19], v11
	ds_read2_b32 v[32:33], v10 offset1:16
	ds_read_b128 v[20:23], v11 offset:512
	ds_read2_b32 v[34:35], v10 offset0:32 offset1:48
	ds_read2_b32 v[36:37], v10 offset0:64 offset1:80
	;; [unrolled: 1-line block ×3, first 2 shown]
	ds_read_b128 v[24:27], v11 offset:16
	ds_read2_b32 v[40:41], v10 offset0:128 offset1:144
	ds_read_b128 v[28:31], v11 offset:528
	v_add_co_u32 v2, s1, v2, 32
	v_add_co_ci_u32_e64 v3, null, 0, v3, s1
	v_add_co_u32 v4, s1, v4, s2
	v_add_co_ci_u32_e64 v5, null, s3, v5, s1
	s_add_i32 s10, s10, 8
	s_cmp_lt_i32 s10, s13
	s_waitcnt lgkmcnt(7)
	v_fmac_f32_e32 v13, v32, v16
	v_fmac_f32_e32 v8, v33, v16
	s_waitcnt lgkmcnt(6)
	v_fmac_f32_e32 v7, v32, v20
	v_fmac_f32_e32 v6, v33, v20
	ds_read2_b32 v[32:33], v10 offset0:160 offset1:176
	s_waitcnt lgkmcnt(6)
	v_fmac_f32_e32 v13, v34, v17
	v_fmac_f32_e32 v8, v35, v17
	v_fmac_f32_e32 v7, v34, v21
	v_fmac_f32_e32 v6, v35, v21
	ds_read2_b32 v[16:17], v10 offset0:192 offset1:208
	s_waitcnt lgkmcnt(6)
	v_fmac_f32_e32 v13, v36, v18
	v_fmac_f32_e32 v8, v37, v18
	;; [unrolled: 6-line block ×3, first 2 shown]
	v_fmac_f32_e32 v7, v38, v23
	v_fmac_f32_e32 v6, v39, v23
	s_waitcnt lgkmcnt(0)
	v_fmac_f32_e32 v13, v40, v24
	v_fmac_f32_e32 v8, v41, v24
	;; [unrolled: 1-line block ×4, first 2 shown]
	s_barrier
	v_fmac_f32_e32 v13, v32, v25
	v_fmac_f32_e32 v8, v33, v25
	;; [unrolled: 1-line block ×4, first 2 shown]
	buffer_gl0_inv
	v_fmac_f32_e32 v13, v16, v26
	v_fmac_f32_e32 v8, v17, v26
	;; [unrolled: 1-line block ×8, first 2 shown]
	s_cbranch_scc0 .LBB32_10
.LBB32_6:                               ; =>This Inner Loop Header: Depth=1
	v_add_nc_u32_e32 v16, s10, v12
	v_cmp_gt_i32_e64 s1, s13, v16
	v_mov_b32_e32 v16, 0
	s_and_b32 s11, vcc_lo, s1
	s_and_saveexec_b32 s1, s11
	s_cbranch_execz .LBB32_8
; %bb.7:                                ;   in Loop: Header=BB32_6 Depth=1
	global_load_dword v16, v[2:3], off
.LBB32_8:                               ;   in Loop: Header=BB32_6 Depth=1
	s_or_b32 exec_lo, exec_lo, s1
	v_add_nc_u32_e32 v17, s10, v9
	s_waitcnt vmcnt(0)
	ds_write_b32 v14, v16
	v_cmp_gt_i32_e64 s1, s13, v17
	v_mov_b32_e32 v17, 0
	s_and_b32 s11, s1, s0
	s_and_saveexec_b32 s1, s11
	s_cbranch_execz .LBB32_5
; %bb.9:                                ;   in Loop: Header=BB32_6 Depth=1
	global_load_dword v17, v[4:5], off
	s_branch .LBB32_5
.LBB32_10:
	s_clause 0x2
	s_load_dword s3, s[4:5], 0x50
	s_load_dwordx2 s[10:11], s[4:5], 0x58
	s_load_dwordx2 s[4:5], s[4:5], 0x48
	v_add_nc_u32_e32 v10, s7, v1
	v_add_nc_u32_e32 v0, s6, v0
	v_cmp_le_i32_e32 vcc_lo, v10, v0
	v_cmp_gt_i32_e64 s0, s12, v0
	s_waitcnt lgkmcnt(0)
	v_mad_i64_i32 v[1:2], null, v10, s3, 0
	s_mul_i32 s1, s11, s8
	s_mul_hi_u32 s2, s10, s8
	s_mul_i32 s6, s10, s8
	s_add_i32 s7, s2, s1
	v_cmp_neq_f32_e64 s2, s9, 0
	s_lshl_b64 s[6:7], s[6:7], 2
	v_lshlrev_b64 v[2:3], 2, v[1:2]
	s_add_u32 s4, s4, s6
	s_addc_u32 s5, s5, s7
	v_ashrrev_i32_e32 v1, 31, v0
	v_cndmask_b32_e64 v9, 0, 1, s2
	s_and_b32 s6, vcc_lo, s0
	v_add_co_u32 v4, s1, s4, v2
	v_add_co_ci_u32_e64 v5, null, s5, v3, s1
	s_and_saveexec_b32 s1, s6
	s_cbranch_execz .LBB32_14
; %bb.11:
	v_lshlrev_b64 v[2:3], 2, v[0:1]
	v_mul_f32_e32 v11, s14, v13
	v_add_co_u32 v2, vcc_lo, v4, v2
	v_add_co_ci_u32_e64 v3, null, v5, v3, vcc_lo
	s_andn2_b32 vcc_lo, exec_lo, s2
	s_cbranch_vccnz .LBB32_13
; %bb.12:
	global_load_dword v12, v[2:3], off
	s_waitcnt vmcnt(0)
	v_fmac_f32_e32 v11, s9, v12
.LBB32_13:
	global_store_dword v[2:3], v11, off
.LBB32_14:
	s_or_b32 exec_lo, exec_lo, s1
	v_add_nc_u32_e32 v2, 16, v0
	v_cmp_le_i32_e32 vcc_lo, v10, v2
	v_cmp_gt_i32_e64 s1, s12, v2
	v_ashrrev_i32_e32 v3, 31, v2
	s_and_b32 s2, vcc_lo, s1
	s_and_saveexec_b32 s6, s2
	s_cbranch_execz .LBB32_18
; %bb.15:
	v_lshlrev_b64 v[11:12], 2, v[2:3]
	v_cmp_ne_u32_e32 vcc_lo, 1, v9
	v_mul_f32_e32 v8, s14, v8
	v_add_co_u32 v4, s2, v4, v11
	v_add_co_ci_u32_e64 v5, null, v5, v12, s2
	s_cbranch_vccnz .LBB32_17
; %bb.16:
	global_load_dword v11, v[4:5], off
	s_waitcnt vmcnt(0)
	v_fmac_f32_e32 v8, s9, v11
.LBB32_17:
	global_store_dword v[4:5], v8, off
.LBB32_18:
	s_or_b32 exec_lo, exec_lo, s6
	v_add_nc_u32_e32 v8, 16, v10
	v_mad_i64_i32 v[4:5], null, v8, s3, 0
	v_cmp_le_i32_e32 vcc_lo, v8, v0
	s_and_b32 s0, vcc_lo, s0
	v_lshlrev_b64 v[4:5], 2, v[4:5]
	v_add_co_u32 v4, s2, s4, v4
	v_add_co_ci_u32_e64 v5, null, s5, v5, s2
	s_and_saveexec_b32 s2, s0
	s_cbranch_execz .LBB32_22
; %bb.19:
	v_lshlrev_b64 v[0:1], 2, v[0:1]
	v_cmp_ne_u32_e32 vcc_lo, 1, v9
	v_mul_f32_e32 v7, s14, v7
	v_add_co_u32 v0, s0, v4, v0
	v_add_co_ci_u32_e64 v1, null, v5, v1, s0
	s_cbranch_vccnz .LBB32_21
; %bb.20:
	global_load_dword v10, v[0:1], off
	s_waitcnt vmcnt(0)
	v_fmac_f32_e32 v7, s9, v10
.LBB32_21:
	global_store_dword v[0:1], v7, off
.LBB32_22:
	s_or_b32 exec_lo, exec_lo, s2
	v_cmp_le_i32_e32 vcc_lo, v8, v2
	s_and_b32 s0, vcc_lo, s1
	s_and_saveexec_b32 s1, s0
	s_cbranch_execz .LBB32_26
; %bb.23:
	v_lshlrev_b64 v[0:1], 2, v[2:3]
	v_cmp_ne_u32_e32 vcc_lo, 1, v9
	v_mul_f32_e32 v2, s14, v6
	v_add_co_u32 v0, s0, v4, v0
	v_add_co_ci_u32_e64 v1, null, v5, v1, s0
	s_cbranch_vccnz .LBB32_25
; %bb.24:
	global_load_dword v3, v[0:1], off
	s_waitcnt vmcnt(0)
	v_fmac_f32_e32 v2, s9, v3
.LBB32_25:
	global_store_dword v[0:1], v2, off
.LBB32_26:
	s_endpgm
	.section	.rodata,"a",@progbits
	.p2align	6, 0x0
	.amdhsa_kernel _ZL29rocblas_internal_gemmt_kernelIiLi16ELi32ELi8ELc84ELc67ELc76ELb0ELb0EffPKfPfEviT_T9_T10_S3_lS5_S3_lS4_T11_S3_li
		.amdhsa_group_segment_fixed_size 2048
		.amdhsa_private_segment_fixed_size 0
		.amdhsa_kernarg_size 100
		.amdhsa_user_sgpr_count 6
		.amdhsa_user_sgpr_private_segment_buffer 1
		.amdhsa_user_sgpr_dispatch_ptr 0
		.amdhsa_user_sgpr_queue_ptr 0
		.amdhsa_user_sgpr_kernarg_segment_ptr 1
		.amdhsa_user_sgpr_dispatch_id 0
		.amdhsa_user_sgpr_flat_scratch_init 0
		.amdhsa_user_sgpr_private_segment_size 0
		.amdhsa_wavefront_size32 1
		.amdhsa_uses_dynamic_stack 0
		.amdhsa_system_sgpr_private_segment_wavefront_offset 0
		.amdhsa_system_sgpr_workgroup_id_x 1
		.amdhsa_system_sgpr_workgroup_id_y 1
		.amdhsa_system_sgpr_workgroup_id_z 1
		.amdhsa_system_sgpr_workgroup_info 0
		.amdhsa_system_vgpr_workitem_id 1
		.amdhsa_next_free_vgpr 42
		.amdhsa_next_free_sgpr 24
		.amdhsa_reserve_vcc 1
		.amdhsa_reserve_flat_scratch 0
		.amdhsa_float_round_mode_32 0
		.amdhsa_float_round_mode_16_64 0
		.amdhsa_float_denorm_mode_32 3
		.amdhsa_float_denorm_mode_16_64 3
		.amdhsa_dx10_clamp 1
		.amdhsa_ieee_mode 1
		.amdhsa_fp16_overflow 0
		.amdhsa_workgroup_processor_mode 1
		.amdhsa_memory_ordered 1
		.amdhsa_forward_progress 1
		.amdhsa_shared_vgpr_count 0
		.amdhsa_exception_fp_ieee_invalid_op 0
		.amdhsa_exception_fp_denorm_src 0
		.amdhsa_exception_fp_ieee_div_zero 0
		.amdhsa_exception_fp_ieee_overflow 0
		.amdhsa_exception_fp_ieee_underflow 0
		.amdhsa_exception_fp_ieee_inexact 0
		.amdhsa_exception_int_div_zero 0
	.end_amdhsa_kernel
	.section	.text._ZL29rocblas_internal_gemmt_kernelIiLi16ELi32ELi8ELc84ELc67ELc76ELb0ELb0EffPKfPfEviT_T9_T10_S3_lS5_S3_lS4_T11_S3_li,"axG",@progbits,_ZL29rocblas_internal_gemmt_kernelIiLi16ELi32ELi8ELc84ELc67ELc76ELb0ELb0EffPKfPfEviT_T9_T10_S3_lS5_S3_lS4_T11_S3_li,comdat
.Lfunc_end32:
	.size	_ZL29rocblas_internal_gemmt_kernelIiLi16ELi32ELi8ELc84ELc67ELc76ELb0ELb0EffPKfPfEviT_T9_T10_S3_lS5_S3_lS4_T11_S3_li, .Lfunc_end32-_ZL29rocblas_internal_gemmt_kernelIiLi16ELi32ELi8ELc84ELc67ELc76ELb0ELb0EffPKfPfEviT_T9_T10_S3_lS5_S3_lS4_T11_S3_li
                                        ; -- End function
	.set _ZL29rocblas_internal_gemmt_kernelIiLi16ELi32ELi8ELc84ELc67ELc76ELb0ELb0EffPKfPfEviT_T9_T10_S3_lS5_S3_lS4_T11_S3_li.num_vgpr, 42
	.set _ZL29rocblas_internal_gemmt_kernelIiLi16ELi32ELi8ELc84ELc67ELc76ELb0ELb0EffPKfPfEviT_T9_T10_S3_lS5_S3_lS4_T11_S3_li.num_agpr, 0
	.set _ZL29rocblas_internal_gemmt_kernelIiLi16ELi32ELi8ELc84ELc67ELc76ELb0ELb0EffPKfPfEviT_T9_T10_S3_lS5_S3_lS4_T11_S3_li.numbered_sgpr, 24
	.set _ZL29rocblas_internal_gemmt_kernelIiLi16ELi32ELi8ELc84ELc67ELc76ELb0ELb0EffPKfPfEviT_T9_T10_S3_lS5_S3_lS4_T11_S3_li.num_named_barrier, 0
	.set _ZL29rocblas_internal_gemmt_kernelIiLi16ELi32ELi8ELc84ELc67ELc76ELb0ELb0EffPKfPfEviT_T9_T10_S3_lS5_S3_lS4_T11_S3_li.private_seg_size, 0
	.set _ZL29rocblas_internal_gemmt_kernelIiLi16ELi32ELi8ELc84ELc67ELc76ELb0ELb0EffPKfPfEviT_T9_T10_S3_lS5_S3_lS4_T11_S3_li.uses_vcc, 1
	.set _ZL29rocblas_internal_gemmt_kernelIiLi16ELi32ELi8ELc84ELc67ELc76ELb0ELb0EffPKfPfEviT_T9_T10_S3_lS5_S3_lS4_T11_S3_li.uses_flat_scratch, 0
	.set _ZL29rocblas_internal_gemmt_kernelIiLi16ELi32ELi8ELc84ELc67ELc76ELb0ELb0EffPKfPfEviT_T9_T10_S3_lS5_S3_lS4_T11_S3_li.has_dyn_sized_stack, 0
	.set _ZL29rocblas_internal_gemmt_kernelIiLi16ELi32ELi8ELc84ELc67ELc76ELb0ELb0EffPKfPfEviT_T9_T10_S3_lS5_S3_lS4_T11_S3_li.has_recursion, 0
	.set _ZL29rocblas_internal_gemmt_kernelIiLi16ELi32ELi8ELc84ELc67ELc76ELb0ELb0EffPKfPfEviT_T9_T10_S3_lS5_S3_lS4_T11_S3_li.has_indirect_call, 0
	.section	.AMDGPU.csdata,"",@progbits
; Kernel info:
; codeLenInByte = 1412
; TotalNumSgprs: 26
; NumVgprs: 42
; ScratchSize: 0
; MemoryBound: 0
; FloatMode: 240
; IeeeMode: 1
; LDSByteSize: 2048 bytes/workgroup (compile time only)
; SGPRBlocks: 0
; VGPRBlocks: 5
; NumSGPRsForWavesPerEU: 26
; NumVGPRsForWavesPerEU: 42
; Occupancy: 16
; WaveLimiterHint : 0
; COMPUTE_PGM_RSRC2:SCRATCH_EN: 0
; COMPUTE_PGM_RSRC2:USER_SGPR: 6
; COMPUTE_PGM_RSRC2:TRAP_HANDLER: 0
; COMPUTE_PGM_RSRC2:TGID_X_EN: 1
; COMPUTE_PGM_RSRC2:TGID_Y_EN: 1
; COMPUTE_PGM_RSRC2:TGID_Z_EN: 1
; COMPUTE_PGM_RSRC2:TIDIG_COMP_CNT: 1
	.section	.text._ZL29rocblas_internal_gemmt_kernelIiLi16ELi32ELi8ELc67ELc78ELc76ELb0ELb0EffPKfPfEviT_T9_T10_S3_lS5_S3_lS4_T11_S3_li,"axG",@progbits,_ZL29rocblas_internal_gemmt_kernelIiLi16ELi32ELi8ELc67ELc78ELc76ELb0ELb0EffPKfPfEviT_T9_T10_S3_lS5_S3_lS4_T11_S3_li,comdat
	.globl	_ZL29rocblas_internal_gemmt_kernelIiLi16ELi32ELi8ELc67ELc78ELc76ELb0ELb0EffPKfPfEviT_T9_T10_S3_lS5_S3_lS4_T11_S3_li ; -- Begin function _ZL29rocblas_internal_gemmt_kernelIiLi16ELi32ELi8ELc67ELc78ELc76ELb0ELb0EffPKfPfEviT_T9_T10_S3_lS5_S3_lS4_T11_S3_li
	.p2align	8
	.type	_ZL29rocblas_internal_gemmt_kernelIiLi16ELi32ELi8ELc67ELc78ELc76ELb0ELb0EffPKfPfEviT_T9_T10_S3_lS5_S3_lS4_T11_S3_li,@function
_ZL29rocblas_internal_gemmt_kernelIiLi16ELi32ELi8ELc67ELc78ELc76ELb0ELb0EffPKfPfEviT_T9_T10_S3_lS5_S3_lS4_T11_S3_li: ; @_ZL29rocblas_internal_gemmt_kernelIiLi16ELi32ELi8ELc67ELc78ELc76ELb0ELb0EffPKfPfEviT_T9_T10_S3_lS5_S3_lS4_T11_S3_li
; %bb.0:
	s_clause 0x1
	s_load_dword s3, s[4:5], 0x40
	s_load_dwordx4 s[12:15], s[4:5], 0x0
	s_waitcnt lgkmcnt(0)
	v_cmp_neq_f32_e64 s0, s3, 1.0
	s_and_b32 vcc_lo, exec_lo, s0
	s_cbranch_vccnz .LBB33_2
; %bb.1:
	v_cmp_neq_f32_e64 s0, s14, 0
	s_cmp_lg_u32 s13, 0
	s_cselect_b32 s1, -1, 0
	s_and_b32 s0, s1, s0
.LBB33_2:
	s_andn2_b32 vcc_lo, exec_lo, s0
	s_cbranch_vccnz .LBB33_26
; %bb.3:
	s_lshl_b32 s2, s6, 5
	s_lshl_b32 s6, s7, 5
	v_cmp_eq_f32_e64 s0, s14, 0
	s_cmp_lt_i32 s13, 1
	v_mov_b32_e32 v10, 0
	s_cselect_b32 s1, -1, 0
	v_mov_b32_e32 v8, 0
	v_mov_b32_e32 v7, 0
	;; [unrolled: 1-line block ×3, first 2 shown]
	s_or_b32 s0, s0, s1
	s_mov_b32 s7, 0
	s_and_b32 vcc_lo, exec_lo, s0
	s_cbranch_vccnz .LBB33_10
; %bb.4:
	s_clause 0x1
	s_load_dword s0, s[4:5], 0x18
	s_load_dwordx2 s[10:11], s[4:5], 0x10
	v_lshl_add_u32 v2, v1, 4, v0
	s_clause 0x2
	s_load_dwordx4 s[16:19], s[4:5], 0x20
	s_load_dword s1, s[4:5], 0x30
	s_load_dwordx2 s[20:21], s[4:5], 0x38
	v_and_b32_e32 v9, 7, v0
	v_lshlrev_b32_e32 v11, 2, v0
	v_lshl_add_u32 v12, v1, 5, 0x400
	v_and_b32_e32 v4, 31, v2
	v_lshrrev_b32_e32 v3, 3, v2
	v_lshrrev_b32_e32 v13, 5, v2
	v_lshlrev_b32_e32 v7, 2, v9
	v_add_nc_u32_e32 v2, s2, v4
	v_add_nc_u32_e32 v5, s6, v3
	v_or_b32_e32 v6, s2, v4
	v_lshl_or_b32 v8, v3, 5, v7
	v_lshlrev_b32_e32 v4, 2, v4
	v_lshlrev_b32_e32 v16, 2, v13
	v_cmp_gt_i32_e32 vcc_lo, s12, v6
	s_waitcnt lgkmcnt(0)
	v_mad_i64_i32 v[2:3], null, s0, v2, 0
	v_lshl_or_b32 v14, v13, 7, v4
	v_cmp_gt_i32_e64 s0, s12, v5
	s_mul_i32 s9, s17, s8
	s_mul_hi_u32 s15, s16, s8
	v_mad_i64_i32 v[4:5], null, s1, v5, 0
	v_lshlrev_b64 v[2:3], 2, v[2:3]
	s_mul_i32 s16, s16, s8
	s_add_i32 s17, s15, s9
	v_add_nc_u32_e32 v15, 0x400, v8
	s_lshl_b64 s[16:17], s[16:17], 2
	s_mul_hi_u32 s9, s20, s8
	v_add_co_u32 v8, s1, v2, s16
	v_add_co_ci_u32_e64 v10, null, s17, v3, s1
	s_mul_i32 s1, s21, s8
	v_lshlrev_b64 v[2:3], 2, v[4:5]
	s_add_i32 s17, s9, s1
	s_mul_i32 s16, s20, s8
	v_mov_b32_e32 v6, 0
	s_lshl_b64 s[16:17], s[16:17], 2
	v_add_co_u32 v2, s1, v2, s16
	v_add_co_ci_u32_e64 v3, null, s17, v3, s1
	v_add_co_u32 v4, s1, v8, v16
	v_add_co_ci_u32_e64 v5, null, 0, v10, s1
	;; [unrolled: 2-line block ×5, first 2 shown]
	v_mov_b32_e32 v7, 0
	v_mov_b32_e32 v8, 0
	;; [unrolled: 1-line block ×3, first 2 shown]
	s_branch .LBB33_6
.LBB33_5:                               ;   in Loop: Header=BB33_6 Depth=1
	s_or_b32 exec_lo, exec_lo, s1
	s_waitcnt vmcnt(0)
	ds_write_b32 v15, v17
	s_waitcnt lgkmcnt(0)
	s_barrier
	buffer_gl0_inv
	ds_read_b128 v[16:19], v12
	ds_read2_b32 v[32:33], v11 offset1:16
	ds_read_b128 v[20:23], v12 offset:512
	ds_read2_b32 v[34:35], v11 offset0:32 offset1:48
	ds_read2_b32 v[36:37], v11 offset0:64 offset1:80
	;; [unrolled: 1-line block ×3, first 2 shown]
	ds_read_b128 v[24:27], v12 offset:16
	ds_read2_b32 v[40:41], v11 offset0:128 offset1:144
	ds_read_b128 v[28:31], v12 offset:528
	v_add_co_u32 v2, s1, v2, 32
	v_add_co_ci_u32_e64 v3, null, 0, v3, s1
	v_add_co_u32 v4, s1, v4, 32
	v_add_co_ci_u32_e64 v5, null, 0, v5, s1
	s_add_i32 s7, s7, 8
	s_cmp_lt_i32 s7, s13
	s_waitcnt lgkmcnt(7)
	v_fmac_f32_e32 v10, v32, v16
	v_fmac_f32_e32 v8, v33, v16
	s_waitcnt lgkmcnt(6)
	v_fmac_f32_e32 v7, v32, v20
	v_fmac_f32_e32 v6, v33, v20
	ds_read2_b32 v[32:33], v11 offset0:160 offset1:176
	s_waitcnt lgkmcnt(6)
	v_fmac_f32_e32 v10, v34, v17
	v_fmac_f32_e32 v8, v35, v17
	v_fmac_f32_e32 v7, v34, v21
	v_fmac_f32_e32 v6, v35, v21
	ds_read2_b32 v[16:17], v11 offset0:192 offset1:208
	s_waitcnt lgkmcnt(6)
	v_fmac_f32_e32 v10, v36, v18
	v_fmac_f32_e32 v8, v37, v18
	;; [unrolled: 6-line block ×3, first 2 shown]
	v_fmac_f32_e32 v7, v38, v23
	v_fmac_f32_e32 v6, v39, v23
	s_waitcnt lgkmcnt(0)
	v_fmac_f32_e32 v10, v40, v24
	v_fmac_f32_e32 v8, v41, v24
	;; [unrolled: 1-line block ×4, first 2 shown]
	s_barrier
	v_fmac_f32_e32 v10, v32, v25
	v_fmac_f32_e32 v8, v33, v25
	;; [unrolled: 1-line block ×4, first 2 shown]
	buffer_gl0_inv
	v_fmac_f32_e32 v10, v16, v26
	v_fmac_f32_e32 v8, v17, v26
	;; [unrolled: 1-line block ×8, first 2 shown]
	s_cbranch_scc0 .LBB33_10
.LBB33_6:                               ; =>This Inner Loop Header: Depth=1
	v_add_nc_u32_e32 v16, s7, v13
	v_cmp_gt_i32_e64 s1, s13, v16
	v_mov_b32_e32 v16, 0
	s_and_b32 s9, vcc_lo, s1
	s_and_saveexec_b32 s1, s9
	s_cbranch_execz .LBB33_8
; %bb.7:                                ;   in Loop: Header=BB33_6 Depth=1
	global_load_dword v16, v[2:3], off
.LBB33_8:                               ;   in Loop: Header=BB33_6 Depth=1
	s_or_b32 exec_lo, exec_lo, s1
	v_add_nc_u32_e32 v17, s7, v9
	s_waitcnt vmcnt(0)
	ds_write_b32 v14, v16
	v_cmp_gt_i32_e64 s1, s13, v17
	v_mov_b32_e32 v17, 0
	s_and_b32 s9, s1, s0
	s_and_saveexec_b32 s1, s9
	s_cbranch_execz .LBB33_5
; %bb.9:                                ;   in Loop: Header=BB33_6 Depth=1
	global_load_dword v17, v[4:5], off
	s_branch .LBB33_5
.LBB33_10:
	s_clause 0x2
	s_load_dword s7, s[4:5], 0x50
	s_load_dwordx2 s[10:11], s[4:5], 0x58
	s_load_dwordx2 s[4:5], s[4:5], 0x48
	v_add_nc_u32_e32 v11, s6, v1
	v_add_nc_u32_e32 v0, s2, v0
	v_cmp_le_i32_e32 vcc_lo, v11, v0
	v_cmp_gt_i32_e64 s0, s12, v0
	s_waitcnt lgkmcnt(0)
	v_mad_i64_i32 v[1:2], null, v11, s7, 0
	s_mul_i32 s1, s11, s8
	s_mul_hi_u32 s2, s10, s8
	s_mul_i32 s8, s10, s8
	s_add_i32 s9, s2, s1
	v_cmp_neq_f32_e64 s2, s3, 0
	s_lshl_b64 s[8:9], s[8:9], 2
	v_lshlrev_b64 v[2:3], 2, v[1:2]
	s_add_u32 s4, s4, s8
	s_addc_u32 s5, s5, s9
	v_ashrrev_i32_e32 v1, 31, v0
	v_cndmask_b32_e64 v9, 0, 1, s2
	s_and_b32 s6, vcc_lo, s0
	v_add_co_u32 v4, s1, s4, v2
	v_add_co_ci_u32_e64 v5, null, s5, v3, s1
	s_and_saveexec_b32 s1, s6
	s_cbranch_execz .LBB33_14
; %bb.11:
	v_lshlrev_b64 v[2:3], 2, v[0:1]
	v_mul_f32_e32 v10, s14, v10
	v_add_co_u32 v2, vcc_lo, v4, v2
	v_add_co_ci_u32_e64 v3, null, v5, v3, vcc_lo
	s_andn2_b32 vcc_lo, exec_lo, s2
	s_cbranch_vccnz .LBB33_13
; %bb.12:
	global_load_dword v12, v[2:3], off
	s_waitcnt vmcnt(0)
	v_fmac_f32_e32 v10, s3, v12
.LBB33_13:
	global_store_dword v[2:3], v10, off
.LBB33_14:
	s_or_b32 exec_lo, exec_lo, s1
	v_add_nc_u32_e32 v2, 16, v0
	v_cmp_le_i32_e32 vcc_lo, v11, v2
	v_cmp_gt_i32_e64 s1, s12, v2
	v_ashrrev_i32_e32 v3, 31, v2
	s_and_b32 s2, vcc_lo, s1
	s_and_saveexec_b32 s6, s2
	s_cbranch_execz .LBB33_18
; %bb.15:
	v_lshlrev_b64 v[12:13], 2, v[2:3]
	v_cmp_ne_u32_e32 vcc_lo, 1, v9
	v_mul_f32_e32 v8, s14, v8
	v_add_co_u32 v4, s2, v4, v12
	v_add_co_ci_u32_e64 v5, null, v5, v13, s2
	s_cbranch_vccnz .LBB33_17
; %bb.16:
	global_load_dword v10, v[4:5], off
	s_waitcnt vmcnt(0)
	v_fmac_f32_e32 v8, s3, v10
.LBB33_17:
	global_store_dword v[4:5], v8, off
.LBB33_18:
	s_or_b32 exec_lo, exec_lo, s6
	v_add_nc_u32_e32 v8, 16, v11
	v_mad_i64_i32 v[4:5], null, v8, s7, 0
	v_cmp_le_i32_e32 vcc_lo, v8, v0
	s_and_b32 s0, vcc_lo, s0
	v_lshlrev_b64 v[4:5], 2, v[4:5]
	v_add_co_u32 v4, s2, s4, v4
	v_add_co_ci_u32_e64 v5, null, s5, v5, s2
	s_and_saveexec_b32 s2, s0
	s_cbranch_execz .LBB33_22
; %bb.19:
	v_lshlrev_b64 v[0:1], 2, v[0:1]
	v_cmp_ne_u32_e32 vcc_lo, 1, v9
	v_mul_f32_e32 v7, s14, v7
	v_add_co_u32 v0, s0, v4, v0
	v_add_co_ci_u32_e64 v1, null, v5, v1, s0
	s_cbranch_vccnz .LBB33_21
; %bb.20:
	global_load_dword v10, v[0:1], off
	s_waitcnt vmcnt(0)
	v_fmac_f32_e32 v7, s3, v10
.LBB33_21:
	global_store_dword v[0:1], v7, off
.LBB33_22:
	s_or_b32 exec_lo, exec_lo, s2
	v_cmp_le_i32_e32 vcc_lo, v8, v2
	s_and_b32 s0, vcc_lo, s1
	s_and_saveexec_b32 s1, s0
	s_cbranch_execz .LBB33_26
; %bb.23:
	v_lshlrev_b64 v[0:1], 2, v[2:3]
	v_cmp_ne_u32_e32 vcc_lo, 1, v9
	v_mul_f32_e32 v2, s14, v6
	v_add_co_u32 v0, s0, v4, v0
	v_add_co_ci_u32_e64 v1, null, v5, v1, s0
	s_cbranch_vccnz .LBB33_25
; %bb.24:
	global_load_dword v3, v[0:1], off
	s_waitcnt vmcnt(0)
	v_fmac_f32_e32 v2, s3, v3
.LBB33_25:
	global_store_dword v[0:1], v2, off
.LBB33_26:
	s_endpgm
	.section	.rodata,"a",@progbits
	.p2align	6, 0x0
	.amdhsa_kernel _ZL29rocblas_internal_gemmt_kernelIiLi16ELi32ELi8ELc67ELc78ELc76ELb0ELb0EffPKfPfEviT_T9_T10_S3_lS5_S3_lS4_T11_S3_li
		.amdhsa_group_segment_fixed_size 2048
		.amdhsa_private_segment_fixed_size 0
		.amdhsa_kernarg_size 100
		.amdhsa_user_sgpr_count 6
		.amdhsa_user_sgpr_private_segment_buffer 1
		.amdhsa_user_sgpr_dispatch_ptr 0
		.amdhsa_user_sgpr_queue_ptr 0
		.amdhsa_user_sgpr_kernarg_segment_ptr 1
		.amdhsa_user_sgpr_dispatch_id 0
		.amdhsa_user_sgpr_flat_scratch_init 0
		.amdhsa_user_sgpr_private_segment_size 0
		.amdhsa_wavefront_size32 1
		.amdhsa_uses_dynamic_stack 0
		.amdhsa_system_sgpr_private_segment_wavefront_offset 0
		.amdhsa_system_sgpr_workgroup_id_x 1
		.amdhsa_system_sgpr_workgroup_id_y 1
		.amdhsa_system_sgpr_workgroup_id_z 1
		.amdhsa_system_sgpr_workgroup_info 0
		.amdhsa_system_vgpr_workitem_id 1
		.amdhsa_next_free_vgpr 42
		.amdhsa_next_free_sgpr 22
		.amdhsa_reserve_vcc 1
		.amdhsa_reserve_flat_scratch 0
		.amdhsa_float_round_mode_32 0
		.amdhsa_float_round_mode_16_64 0
		.amdhsa_float_denorm_mode_32 3
		.amdhsa_float_denorm_mode_16_64 3
		.amdhsa_dx10_clamp 1
		.amdhsa_ieee_mode 1
		.amdhsa_fp16_overflow 0
		.amdhsa_workgroup_processor_mode 1
		.amdhsa_memory_ordered 1
		.amdhsa_forward_progress 1
		.amdhsa_shared_vgpr_count 0
		.amdhsa_exception_fp_ieee_invalid_op 0
		.amdhsa_exception_fp_denorm_src 0
		.amdhsa_exception_fp_ieee_div_zero 0
		.amdhsa_exception_fp_ieee_overflow 0
		.amdhsa_exception_fp_ieee_underflow 0
		.amdhsa_exception_fp_ieee_inexact 0
		.amdhsa_exception_int_div_zero 0
	.end_amdhsa_kernel
	.section	.text._ZL29rocblas_internal_gemmt_kernelIiLi16ELi32ELi8ELc67ELc78ELc76ELb0ELb0EffPKfPfEviT_T9_T10_S3_lS5_S3_lS4_T11_S3_li,"axG",@progbits,_ZL29rocblas_internal_gemmt_kernelIiLi16ELi32ELi8ELc67ELc78ELc76ELb0ELb0EffPKfPfEviT_T9_T10_S3_lS5_S3_lS4_T11_S3_li,comdat
.Lfunc_end33:
	.size	_ZL29rocblas_internal_gemmt_kernelIiLi16ELi32ELi8ELc67ELc78ELc76ELb0ELb0EffPKfPfEviT_T9_T10_S3_lS5_S3_lS4_T11_S3_li, .Lfunc_end33-_ZL29rocblas_internal_gemmt_kernelIiLi16ELi32ELi8ELc67ELc78ELc76ELb0ELb0EffPKfPfEviT_T9_T10_S3_lS5_S3_lS4_T11_S3_li
                                        ; -- End function
	.set _ZL29rocblas_internal_gemmt_kernelIiLi16ELi32ELi8ELc67ELc78ELc76ELb0ELb0EffPKfPfEviT_T9_T10_S3_lS5_S3_lS4_T11_S3_li.num_vgpr, 42
	.set _ZL29rocblas_internal_gemmt_kernelIiLi16ELi32ELi8ELc67ELc78ELc76ELb0ELb0EffPKfPfEviT_T9_T10_S3_lS5_S3_lS4_T11_S3_li.num_agpr, 0
	.set _ZL29rocblas_internal_gemmt_kernelIiLi16ELi32ELi8ELc67ELc78ELc76ELb0ELb0EffPKfPfEviT_T9_T10_S3_lS5_S3_lS4_T11_S3_li.numbered_sgpr, 22
	.set _ZL29rocblas_internal_gemmt_kernelIiLi16ELi32ELi8ELc67ELc78ELc76ELb0ELb0EffPKfPfEviT_T9_T10_S3_lS5_S3_lS4_T11_S3_li.num_named_barrier, 0
	.set _ZL29rocblas_internal_gemmt_kernelIiLi16ELi32ELi8ELc67ELc78ELc76ELb0ELb0EffPKfPfEviT_T9_T10_S3_lS5_S3_lS4_T11_S3_li.private_seg_size, 0
	.set _ZL29rocblas_internal_gemmt_kernelIiLi16ELi32ELi8ELc67ELc78ELc76ELb0ELb0EffPKfPfEviT_T9_T10_S3_lS5_S3_lS4_T11_S3_li.uses_vcc, 1
	.set _ZL29rocblas_internal_gemmt_kernelIiLi16ELi32ELi8ELc67ELc78ELc76ELb0ELb0EffPKfPfEviT_T9_T10_S3_lS5_S3_lS4_T11_S3_li.uses_flat_scratch, 0
	.set _ZL29rocblas_internal_gemmt_kernelIiLi16ELi32ELi8ELc67ELc78ELc76ELb0ELb0EffPKfPfEviT_T9_T10_S3_lS5_S3_lS4_T11_S3_li.has_dyn_sized_stack, 0
	.set _ZL29rocblas_internal_gemmt_kernelIiLi16ELi32ELi8ELc67ELc78ELc76ELb0ELb0EffPKfPfEviT_T9_T10_S3_lS5_S3_lS4_T11_S3_li.has_recursion, 0
	.set _ZL29rocblas_internal_gemmt_kernelIiLi16ELi32ELi8ELc67ELc78ELc76ELb0ELb0EffPKfPfEviT_T9_T10_S3_lS5_S3_lS4_T11_S3_li.has_indirect_call, 0
	.section	.AMDGPU.csdata,"",@progbits
; Kernel info:
; codeLenInByte = 1392
; TotalNumSgprs: 24
; NumVgprs: 42
; ScratchSize: 0
; MemoryBound: 0
; FloatMode: 240
; IeeeMode: 1
; LDSByteSize: 2048 bytes/workgroup (compile time only)
; SGPRBlocks: 0
; VGPRBlocks: 5
; NumSGPRsForWavesPerEU: 24
; NumVGPRsForWavesPerEU: 42
; Occupancy: 16
; WaveLimiterHint : 0
; COMPUTE_PGM_RSRC2:SCRATCH_EN: 0
; COMPUTE_PGM_RSRC2:USER_SGPR: 6
; COMPUTE_PGM_RSRC2:TRAP_HANDLER: 0
; COMPUTE_PGM_RSRC2:TGID_X_EN: 1
; COMPUTE_PGM_RSRC2:TGID_Y_EN: 1
; COMPUTE_PGM_RSRC2:TGID_Z_EN: 1
; COMPUTE_PGM_RSRC2:TIDIG_COMP_CNT: 1
	.section	.text._ZL29rocblas_internal_gemmt_kernelIiLi16ELi32ELi8ELc67ELc84ELc76ELb0ELb0EffPKfPfEviT_T9_T10_S3_lS5_S3_lS4_T11_S3_li,"axG",@progbits,_ZL29rocblas_internal_gemmt_kernelIiLi16ELi32ELi8ELc67ELc84ELc76ELb0ELb0EffPKfPfEviT_T9_T10_S3_lS5_S3_lS4_T11_S3_li,comdat
	.globl	_ZL29rocblas_internal_gemmt_kernelIiLi16ELi32ELi8ELc67ELc84ELc76ELb0ELb0EffPKfPfEviT_T9_T10_S3_lS5_S3_lS4_T11_S3_li ; -- Begin function _ZL29rocblas_internal_gemmt_kernelIiLi16ELi32ELi8ELc67ELc84ELc76ELb0ELb0EffPKfPfEviT_T9_T10_S3_lS5_S3_lS4_T11_S3_li
	.p2align	8
	.type	_ZL29rocblas_internal_gemmt_kernelIiLi16ELi32ELi8ELc67ELc84ELc76ELb0ELb0EffPKfPfEviT_T9_T10_S3_lS5_S3_lS4_T11_S3_li,@function
_ZL29rocblas_internal_gemmt_kernelIiLi16ELi32ELi8ELc67ELc84ELc76ELb0ELb0EffPKfPfEviT_T9_T10_S3_lS5_S3_lS4_T11_S3_li: ; @_ZL29rocblas_internal_gemmt_kernelIiLi16ELi32ELi8ELc67ELc84ELc76ELb0ELb0EffPKfPfEviT_T9_T10_S3_lS5_S3_lS4_T11_S3_li
; %bb.0:
	s_clause 0x1
	s_load_dword s9, s[4:5], 0x40
	s_load_dwordx4 s[12:15], s[4:5], 0x0
	s_waitcnt lgkmcnt(0)
	v_cmp_neq_f32_e64 s0, s9, 1.0
	s_and_b32 vcc_lo, exec_lo, s0
	s_cbranch_vccnz .LBB34_2
; %bb.1:
	v_cmp_neq_f32_e64 s0, s14, 0
	s_cmp_lg_u32 s13, 0
	s_cselect_b32 s1, -1, 0
	s_and_b32 s0, s1, s0
.LBB34_2:
	s_andn2_b32 vcc_lo, exec_lo, s0
	s_cbranch_vccnz .LBB34_26
; %bb.3:
	s_lshl_b32 s6, s6, 5
	s_lshl_b32 s7, s7, 5
	v_cmp_eq_f32_e64 s0, s14, 0
	s_cmp_lt_i32 s13, 1
	v_mov_b32_e32 v13, 0
	s_cselect_b32 s1, -1, 0
	v_mov_b32_e32 v8, 0
	v_mov_b32_e32 v7, 0
	;; [unrolled: 1-line block ×3, first 2 shown]
	s_or_b32 s0, s0, s1
	s_mov_b32 s10, 0
	s_and_b32 vcc_lo, exec_lo, s0
	s_cbranch_vccnz .LBB34_10
; %bb.4:
	s_clause 0x1
	s_load_dword s0, s[4:5], 0x18
	s_load_dwordx2 s[2:3], s[4:5], 0x10
	v_lshl_add_u32 v2, v1, 4, v0
	s_clause 0x2
	s_load_dwordx4 s[16:19], s[4:5], 0x20
	s_load_dword s20, s[4:5], 0x30
	s_load_dwordx2 s[22:23], s[4:5], 0x38
	v_and_b32_e32 v9, 7, v0
	v_lshlrev_b32_e32 v10, 2, v0
	v_lshl_add_u32 v11, v1, 5, 0x400
	v_and_b32_e32 v3, 31, v2
	v_lshrrev_b32_e32 v4, 3, v2
	v_lshlrev_b32_e32 v5, 2, v9
	v_lshrrev_b32_e32 v12, 5, v2
	v_add_nc_u32_e32 v7, s6, v3
	v_add_nc_u32_e32 v2, s7, v4
	v_lshl_or_b32 v8, v4, 5, v5
	v_or_b32_e32 v6, s6, v3
	v_lshlrev_b32_e32 v3, 2, v3
	v_lshlrev_b32_e32 v16, 2, v12
	v_add_nc_u32_e32 v15, 0x400, v8
	s_waitcnt lgkmcnt(0)
	v_mad_i64_i32 v[4:5], null, s0, v7, 0
	v_cmp_gt_i32_e32 vcc_lo, s12, v6
	s_mul_i32 s1, s17, s8
	s_mul_hi_u32 s11, s16, s8
	v_mad_i64_i32 v[6:7], null, s20, v9, 0
	s_mul_i32 s16, s16, s8
	v_lshlrev_b64 v[4:5], 2, v[4:5]
	s_add_i32 s17, s11, s1
	v_lshl_or_b32 v14, v12, 7, v3
	s_lshl_b64 s[16:17], s[16:17], 2
	v_ashrrev_i32_e32 v3, 31, v2
	s_mul_hi_u32 s11, s22, s8
	v_add_co_u32 v8, s1, v4, s16
	v_add_co_ci_u32_e64 v13, null, s17, v5, s1
	s_mul_i32 s1, s23, s8
	v_lshlrev_b64 v[4:5], 2, v[6:7]
	s_add_i32 s17, s11, s1
	s_mul_i32 s16, s22, s8
	v_cmp_gt_i32_e64 s0, s12, v2
	s_lshl_b64 s[16:17], s[16:17], 2
	v_lshlrev_b64 v[2:3], 2, v[2:3]
	v_add_co_u32 v4, s1, s16, v4
	v_add_co_ci_u32_e64 v5, null, s17, v5, s1
	v_add_co_u32 v7, s1, v8, v16
	v_add_co_ci_u32_e64 v8, null, 0, v13, s1
	;; [unrolled: 2-line block ×4, first 2 shown]
	v_add_co_u32 v4, s1, s18, v4
	v_mov_b32_e32 v6, 0
	v_add_co_ci_u32_e64 v5, null, s19, v5, s1
	v_mov_b32_e32 v7, 0
	v_mov_b32_e32 v8, 0
	;; [unrolled: 1-line block ×3, first 2 shown]
	s_ashr_i32 s21, s20, 31
	s_lshl_b64 s[2:3], s[20:21], 5
	s_branch .LBB34_6
.LBB34_5:                               ;   in Loop: Header=BB34_6 Depth=1
	s_or_b32 exec_lo, exec_lo, s1
	s_waitcnt vmcnt(0)
	ds_write_b32 v15, v17
	s_waitcnt lgkmcnt(0)
	s_barrier
	buffer_gl0_inv
	ds_read_b128 v[16:19], v11
	ds_read2_b32 v[32:33], v10 offset1:16
	ds_read_b128 v[20:23], v11 offset:512
	ds_read2_b32 v[34:35], v10 offset0:32 offset1:48
	ds_read2_b32 v[36:37], v10 offset0:64 offset1:80
	ds_read2_b32 v[38:39], v10 offset0:96 offset1:112
	ds_read_b128 v[24:27], v11 offset:16
	ds_read2_b32 v[40:41], v10 offset0:128 offset1:144
	ds_read_b128 v[28:31], v11 offset:528
	v_add_co_u32 v2, s1, v2, 32
	v_add_co_ci_u32_e64 v3, null, 0, v3, s1
	v_add_co_u32 v4, s1, v4, s2
	v_add_co_ci_u32_e64 v5, null, s3, v5, s1
	s_add_i32 s10, s10, 8
	s_cmp_lt_i32 s10, s13
	s_waitcnt lgkmcnt(7)
	v_fmac_f32_e32 v13, v32, v16
	v_fmac_f32_e32 v8, v33, v16
	s_waitcnt lgkmcnt(6)
	v_fmac_f32_e32 v7, v32, v20
	v_fmac_f32_e32 v6, v33, v20
	ds_read2_b32 v[32:33], v10 offset0:160 offset1:176
	s_waitcnt lgkmcnt(6)
	v_fmac_f32_e32 v13, v34, v17
	v_fmac_f32_e32 v8, v35, v17
	v_fmac_f32_e32 v7, v34, v21
	v_fmac_f32_e32 v6, v35, v21
	ds_read2_b32 v[16:17], v10 offset0:192 offset1:208
	s_waitcnt lgkmcnt(6)
	v_fmac_f32_e32 v13, v36, v18
	v_fmac_f32_e32 v8, v37, v18
	;; [unrolled: 6-line block ×3, first 2 shown]
	v_fmac_f32_e32 v7, v38, v23
	v_fmac_f32_e32 v6, v39, v23
	s_waitcnt lgkmcnt(0)
	v_fmac_f32_e32 v13, v40, v24
	v_fmac_f32_e32 v8, v41, v24
	;; [unrolled: 1-line block ×4, first 2 shown]
	s_barrier
	v_fmac_f32_e32 v13, v32, v25
	v_fmac_f32_e32 v8, v33, v25
	;; [unrolled: 1-line block ×4, first 2 shown]
	buffer_gl0_inv
	v_fmac_f32_e32 v13, v16, v26
	v_fmac_f32_e32 v8, v17, v26
	;; [unrolled: 1-line block ×8, first 2 shown]
	s_cbranch_scc0 .LBB34_10
.LBB34_6:                               ; =>This Inner Loop Header: Depth=1
	v_add_nc_u32_e32 v16, s10, v12
	v_cmp_gt_i32_e64 s1, s13, v16
	v_mov_b32_e32 v16, 0
	s_and_b32 s11, vcc_lo, s1
	s_and_saveexec_b32 s1, s11
	s_cbranch_execz .LBB34_8
; %bb.7:                                ;   in Loop: Header=BB34_6 Depth=1
	global_load_dword v16, v[2:3], off
.LBB34_8:                               ;   in Loop: Header=BB34_6 Depth=1
	s_or_b32 exec_lo, exec_lo, s1
	v_add_nc_u32_e32 v17, s10, v9
	s_waitcnt vmcnt(0)
	ds_write_b32 v14, v16
	v_cmp_gt_i32_e64 s1, s13, v17
	v_mov_b32_e32 v17, 0
	s_and_b32 s11, s1, s0
	s_and_saveexec_b32 s1, s11
	s_cbranch_execz .LBB34_5
; %bb.9:                                ;   in Loop: Header=BB34_6 Depth=1
	global_load_dword v17, v[4:5], off
	s_branch .LBB34_5
.LBB34_10:
	s_clause 0x2
	s_load_dword s3, s[4:5], 0x50
	s_load_dwordx2 s[10:11], s[4:5], 0x58
	s_load_dwordx2 s[4:5], s[4:5], 0x48
	v_add_nc_u32_e32 v10, s7, v1
	v_add_nc_u32_e32 v0, s6, v0
	v_cmp_le_i32_e32 vcc_lo, v10, v0
	v_cmp_gt_i32_e64 s0, s12, v0
	s_waitcnt lgkmcnt(0)
	v_mad_i64_i32 v[1:2], null, v10, s3, 0
	s_mul_i32 s1, s11, s8
	s_mul_hi_u32 s2, s10, s8
	s_mul_i32 s6, s10, s8
	s_add_i32 s7, s2, s1
	v_cmp_neq_f32_e64 s2, s9, 0
	s_lshl_b64 s[6:7], s[6:7], 2
	v_lshlrev_b64 v[2:3], 2, v[1:2]
	s_add_u32 s4, s4, s6
	s_addc_u32 s5, s5, s7
	v_ashrrev_i32_e32 v1, 31, v0
	v_cndmask_b32_e64 v9, 0, 1, s2
	s_and_b32 s6, vcc_lo, s0
	v_add_co_u32 v4, s1, s4, v2
	v_add_co_ci_u32_e64 v5, null, s5, v3, s1
	s_and_saveexec_b32 s1, s6
	s_cbranch_execz .LBB34_14
; %bb.11:
	v_lshlrev_b64 v[2:3], 2, v[0:1]
	v_mul_f32_e32 v11, s14, v13
	v_add_co_u32 v2, vcc_lo, v4, v2
	v_add_co_ci_u32_e64 v3, null, v5, v3, vcc_lo
	s_andn2_b32 vcc_lo, exec_lo, s2
	s_cbranch_vccnz .LBB34_13
; %bb.12:
	global_load_dword v12, v[2:3], off
	s_waitcnt vmcnt(0)
	v_fmac_f32_e32 v11, s9, v12
.LBB34_13:
	global_store_dword v[2:3], v11, off
.LBB34_14:
	s_or_b32 exec_lo, exec_lo, s1
	v_add_nc_u32_e32 v2, 16, v0
	v_cmp_le_i32_e32 vcc_lo, v10, v2
	v_cmp_gt_i32_e64 s1, s12, v2
	v_ashrrev_i32_e32 v3, 31, v2
	s_and_b32 s2, vcc_lo, s1
	s_and_saveexec_b32 s6, s2
	s_cbranch_execz .LBB34_18
; %bb.15:
	v_lshlrev_b64 v[11:12], 2, v[2:3]
	v_cmp_ne_u32_e32 vcc_lo, 1, v9
	v_mul_f32_e32 v8, s14, v8
	v_add_co_u32 v4, s2, v4, v11
	v_add_co_ci_u32_e64 v5, null, v5, v12, s2
	s_cbranch_vccnz .LBB34_17
; %bb.16:
	global_load_dword v11, v[4:5], off
	s_waitcnt vmcnt(0)
	v_fmac_f32_e32 v8, s9, v11
.LBB34_17:
	global_store_dword v[4:5], v8, off
.LBB34_18:
	s_or_b32 exec_lo, exec_lo, s6
	v_add_nc_u32_e32 v8, 16, v10
	v_mad_i64_i32 v[4:5], null, v8, s3, 0
	v_cmp_le_i32_e32 vcc_lo, v8, v0
	s_and_b32 s0, vcc_lo, s0
	v_lshlrev_b64 v[4:5], 2, v[4:5]
	v_add_co_u32 v4, s2, s4, v4
	v_add_co_ci_u32_e64 v5, null, s5, v5, s2
	s_and_saveexec_b32 s2, s0
	s_cbranch_execz .LBB34_22
; %bb.19:
	v_lshlrev_b64 v[0:1], 2, v[0:1]
	v_cmp_ne_u32_e32 vcc_lo, 1, v9
	v_mul_f32_e32 v7, s14, v7
	v_add_co_u32 v0, s0, v4, v0
	v_add_co_ci_u32_e64 v1, null, v5, v1, s0
	s_cbranch_vccnz .LBB34_21
; %bb.20:
	global_load_dword v10, v[0:1], off
	s_waitcnt vmcnt(0)
	v_fmac_f32_e32 v7, s9, v10
.LBB34_21:
	global_store_dword v[0:1], v7, off
.LBB34_22:
	s_or_b32 exec_lo, exec_lo, s2
	v_cmp_le_i32_e32 vcc_lo, v8, v2
	s_and_b32 s0, vcc_lo, s1
	s_and_saveexec_b32 s1, s0
	s_cbranch_execz .LBB34_26
; %bb.23:
	v_lshlrev_b64 v[0:1], 2, v[2:3]
	v_cmp_ne_u32_e32 vcc_lo, 1, v9
	v_mul_f32_e32 v2, s14, v6
	v_add_co_u32 v0, s0, v4, v0
	v_add_co_ci_u32_e64 v1, null, v5, v1, s0
	s_cbranch_vccnz .LBB34_25
; %bb.24:
	global_load_dword v3, v[0:1], off
	s_waitcnt vmcnt(0)
	v_fmac_f32_e32 v2, s9, v3
.LBB34_25:
	global_store_dword v[0:1], v2, off
.LBB34_26:
	s_endpgm
	.section	.rodata,"a",@progbits
	.p2align	6, 0x0
	.amdhsa_kernel _ZL29rocblas_internal_gemmt_kernelIiLi16ELi32ELi8ELc67ELc84ELc76ELb0ELb0EffPKfPfEviT_T9_T10_S3_lS5_S3_lS4_T11_S3_li
		.amdhsa_group_segment_fixed_size 2048
		.amdhsa_private_segment_fixed_size 0
		.amdhsa_kernarg_size 100
		.amdhsa_user_sgpr_count 6
		.amdhsa_user_sgpr_private_segment_buffer 1
		.amdhsa_user_sgpr_dispatch_ptr 0
		.amdhsa_user_sgpr_queue_ptr 0
		.amdhsa_user_sgpr_kernarg_segment_ptr 1
		.amdhsa_user_sgpr_dispatch_id 0
		.amdhsa_user_sgpr_flat_scratch_init 0
		.amdhsa_user_sgpr_private_segment_size 0
		.amdhsa_wavefront_size32 1
		.amdhsa_uses_dynamic_stack 0
		.amdhsa_system_sgpr_private_segment_wavefront_offset 0
		.amdhsa_system_sgpr_workgroup_id_x 1
		.amdhsa_system_sgpr_workgroup_id_y 1
		.amdhsa_system_sgpr_workgroup_id_z 1
		.amdhsa_system_sgpr_workgroup_info 0
		.amdhsa_system_vgpr_workitem_id 1
		.amdhsa_next_free_vgpr 42
		.amdhsa_next_free_sgpr 24
		.amdhsa_reserve_vcc 1
		.amdhsa_reserve_flat_scratch 0
		.amdhsa_float_round_mode_32 0
		.amdhsa_float_round_mode_16_64 0
		.amdhsa_float_denorm_mode_32 3
		.amdhsa_float_denorm_mode_16_64 3
		.amdhsa_dx10_clamp 1
		.amdhsa_ieee_mode 1
		.amdhsa_fp16_overflow 0
		.amdhsa_workgroup_processor_mode 1
		.amdhsa_memory_ordered 1
		.amdhsa_forward_progress 1
		.amdhsa_shared_vgpr_count 0
		.amdhsa_exception_fp_ieee_invalid_op 0
		.amdhsa_exception_fp_denorm_src 0
		.amdhsa_exception_fp_ieee_div_zero 0
		.amdhsa_exception_fp_ieee_overflow 0
		.amdhsa_exception_fp_ieee_underflow 0
		.amdhsa_exception_fp_ieee_inexact 0
		.amdhsa_exception_int_div_zero 0
	.end_amdhsa_kernel
	.section	.text._ZL29rocblas_internal_gemmt_kernelIiLi16ELi32ELi8ELc67ELc84ELc76ELb0ELb0EffPKfPfEviT_T9_T10_S3_lS5_S3_lS4_T11_S3_li,"axG",@progbits,_ZL29rocblas_internal_gemmt_kernelIiLi16ELi32ELi8ELc67ELc84ELc76ELb0ELb0EffPKfPfEviT_T9_T10_S3_lS5_S3_lS4_T11_S3_li,comdat
.Lfunc_end34:
	.size	_ZL29rocblas_internal_gemmt_kernelIiLi16ELi32ELi8ELc67ELc84ELc76ELb0ELb0EffPKfPfEviT_T9_T10_S3_lS5_S3_lS4_T11_S3_li, .Lfunc_end34-_ZL29rocblas_internal_gemmt_kernelIiLi16ELi32ELi8ELc67ELc84ELc76ELb0ELb0EffPKfPfEviT_T9_T10_S3_lS5_S3_lS4_T11_S3_li
                                        ; -- End function
	.set _ZL29rocblas_internal_gemmt_kernelIiLi16ELi32ELi8ELc67ELc84ELc76ELb0ELb0EffPKfPfEviT_T9_T10_S3_lS5_S3_lS4_T11_S3_li.num_vgpr, 42
	.set _ZL29rocblas_internal_gemmt_kernelIiLi16ELi32ELi8ELc67ELc84ELc76ELb0ELb0EffPKfPfEviT_T9_T10_S3_lS5_S3_lS4_T11_S3_li.num_agpr, 0
	.set _ZL29rocblas_internal_gemmt_kernelIiLi16ELi32ELi8ELc67ELc84ELc76ELb0ELb0EffPKfPfEviT_T9_T10_S3_lS5_S3_lS4_T11_S3_li.numbered_sgpr, 24
	.set _ZL29rocblas_internal_gemmt_kernelIiLi16ELi32ELi8ELc67ELc84ELc76ELb0ELb0EffPKfPfEviT_T9_T10_S3_lS5_S3_lS4_T11_S3_li.num_named_barrier, 0
	.set _ZL29rocblas_internal_gemmt_kernelIiLi16ELi32ELi8ELc67ELc84ELc76ELb0ELb0EffPKfPfEviT_T9_T10_S3_lS5_S3_lS4_T11_S3_li.private_seg_size, 0
	.set _ZL29rocblas_internal_gemmt_kernelIiLi16ELi32ELi8ELc67ELc84ELc76ELb0ELb0EffPKfPfEviT_T9_T10_S3_lS5_S3_lS4_T11_S3_li.uses_vcc, 1
	.set _ZL29rocblas_internal_gemmt_kernelIiLi16ELi32ELi8ELc67ELc84ELc76ELb0ELb0EffPKfPfEviT_T9_T10_S3_lS5_S3_lS4_T11_S3_li.uses_flat_scratch, 0
	.set _ZL29rocblas_internal_gemmt_kernelIiLi16ELi32ELi8ELc67ELc84ELc76ELb0ELb0EffPKfPfEviT_T9_T10_S3_lS5_S3_lS4_T11_S3_li.has_dyn_sized_stack, 0
	.set _ZL29rocblas_internal_gemmt_kernelIiLi16ELi32ELi8ELc67ELc84ELc76ELb0ELb0EffPKfPfEviT_T9_T10_S3_lS5_S3_lS4_T11_S3_li.has_recursion, 0
	.set _ZL29rocblas_internal_gemmt_kernelIiLi16ELi32ELi8ELc67ELc84ELc76ELb0ELb0EffPKfPfEviT_T9_T10_S3_lS5_S3_lS4_T11_S3_li.has_indirect_call, 0
	.section	.AMDGPU.csdata,"",@progbits
; Kernel info:
; codeLenInByte = 1412
; TotalNumSgprs: 26
; NumVgprs: 42
; ScratchSize: 0
; MemoryBound: 0
; FloatMode: 240
; IeeeMode: 1
; LDSByteSize: 2048 bytes/workgroup (compile time only)
; SGPRBlocks: 0
; VGPRBlocks: 5
; NumSGPRsForWavesPerEU: 26
; NumVGPRsForWavesPerEU: 42
; Occupancy: 16
; WaveLimiterHint : 0
; COMPUTE_PGM_RSRC2:SCRATCH_EN: 0
; COMPUTE_PGM_RSRC2:USER_SGPR: 6
; COMPUTE_PGM_RSRC2:TRAP_HANDLER: 0
; COMPUTE_PGM_RSRC2:TGID_X_EN: 1
; COMPUTE_PGM_RSRC2:TGID_Y_EN: 1
; COMPUTE_PGM_RSRC2:TGID_Z_EN: 1
; COMPUTE_PGM_RSRC2:TIDIG_COMP_CNT: 1
	.section	.text._ZL29rocblas_internal_gemmt_kernelIiLi16ELi32ELi8ELc67ELc67ELc76ELb0ELb0EffPKfPfEviT_T9_T10_S3_lS5_S3_lS4_T11_S3_li,"axG",@progbits,_ZL29rocblas_internal_gemmt_kernelIiLi16ELi32ELi8ELc67ELc67ELc76ELb0ELb0EffPKfPfEviT_T9_T10_S3_lS5_S3_lS4_T11_S3_li,comdat
	.globl	_ZL29rocblas_internal_gemmt_kernelIiLi16ELi32ELi8ELc67ELc67ELc76ELb0ELb0EffPKfPfEviT_T9_T10_S3_lS5_S3_lS4_T11_S3_li ; -- Begin function _ZL29rocblas_internal_gemmt_kernelIiLi16ELi32ELi8ELc67ELc67ELc76ELb0ELb0EffPKfPfEviT_T9_T10_S3_lS5_S3_lS4_T11_S3_li
	.p2align	8
	.type	_ZL29rocblas_internal_gemmt_kernelIiLi16ELi32ELi8ELc67ELc67ELc76ELb0ELb0EffPKfPfEviT_T9_T10_S3_lS5_S3_lS4_T11_S3_li,@function
_ZL29rocblas_internal_gemmt_kernelIiLi16ELi32ELi8ELc67ELc67ELc76ELb0ELb0EffPKfPfEviT_T9_T10_S3_lS5_S3_lS4_T11_S3_li: ; @_ZL29rocblas_internal_gemmt_kernelIiLi16ELi32ELi8ELc67ELc67ELc76ELb0ELb0EffPKfPfEviT_T9_T10_S3_lS5_S3_lS4_T11_S3_li
; %bb.0:
	s_clause 0x1
	s_load_dword s9, s[4:5], 0x40
	s_load_dwordx4 s[12:15], s[4:5], 0x0
	s_waitcnt lgkmcnt(0)
	v_cmp_neq_f32_e64 s0, s9, 1.0
	s_and_b32 vcc_lo, exec_lo, s0
	s_cbranch_vccnz .LBB35_2
; %bb.1:
	v_cmp_neq_f32_e64 s0, s14, 0
	s_cmp_lg_u32 s13, 0
	s_cselect_b32 s1, -1, 0
	s_and_b32 s0, s1, s0
.LBB35_2:
	s_andn2_b32 vcc_lo, exec_lo, s0
	s_cbranch_vccnz .LBB35_26
; %bb.3:
	s_lshl_b32 s6, s6, 5
	s_lshl_b32 s7, s7, 5
	v_cmp_eq_f32_e64 s0, s14, 0
	s_cmp_lt_i32 s13, 1
	v_mov_b32_e32 v13, 0
	s_cselect_b32 s1, -1, 0
	v_mov_b32_e32 v8, 0
	v_mov_b32_e32 v7, 0
	;; [unrolled: 1-line block ×3, first 2 shown]
	s_or_b32 s0, s0, s1
	s_mov_b32 s10, 0
	s_and_b32 vcc_lo, exec_lo, s0
	s_cbranch_vccnz .LBB35_10
; %bb.4:
	s_clause 0x1
	s_load_dword s0, s[4:5], 0x18
	s_load_dwordx2 s[2:3], s[4:5], 0x10
	v_lshl_add_u32 v2, v1, 4, v0
	s_clause 0x2
	s_load_dwordx4 s[16:19], s[4:5], 0x20
	s_load_dword s20, s[4:5], 0x30
	s_load_dwordx2 s[22:23], s[4:5], 0x38
	v_and_b32_e32 v9, 7, v0
	v_lshlrev_b32_e32 v10, 2, v0
	v_lshl_add_u32 v11, v1, 5, 0x400
	v_and_b32_e32 v3, 31, v2
	v_lshrrev_b32_e32 v4, 3, v2
	v_lshlrev_b32_e32 v5, 2, v9
	v_lshrrev_b32_e32 v12, 5, v2
	v_add_nc_u32_e32 v7, s6, v3
	v_add_nc_u32_e32 v2, s7, v4
	v_lshl_or_b32 v8, v4, 5, v5
	v_or_b32_e32 v6, s6, v3
	v_lshlrev_b32_e32 v3, 2, v3
	v_lshlrev_b32_e32 v16, 2, v12
	v_add_nc_u32_e32 v15, 0x400, v8
	s_waitcnt lgkmcnt(0)
	v_mad_i64_i32 v[4:5], null, s0, v7, 0
	v_cmp_gt_i32_e32 vcc_lo, s12, v6
	s_mul_i32 s1, s17, s8
	s_mul_hi_u32 s11, s16, s8
	v_mad_i64_i32 v[6:7], null, s20, v9, 0
	s_mul_i32 s16, s16, s8
	v_lshlrev_b64 v[4:5], 2, v[4:5]
	s_add_i32 s17, s11, s1
	v_lshl_or_b32 v14, v12, 7, v3
	s_lshl_b64 s[16:17], s[16:17], 2
	v_ashrrev_i32_e32 v3, 31, v2
	s_mul_hi_u32 s11, s22, s8
	v_add_co_u32 v8, s1, v4, s16
	v_add_co_ci_u32_e64 v13, null, s17, v5, s1
	s_mul_i32 s1, s23, s8
	v_lshlrev_b64 v[4:5], 2, v[6:7]
	s_add_i32 s17, s11, s1
	s_mul_i32 s16, s22, s8
	v_cmp_gt_i32_e64 s0, s12, v2
	s_lshl_b64 s[16:17], s[16:17], 2
	v_lshlrev_b64 v[2:3], 2, v[2:3]
	v_add_co_u32 v4, s1, s16, v4
	v_add_co_ci_u32_e64 v5, null, s17, v5, s1
	v_add_co_u32 v7, s1, v8, v16
	v_add_co_ci_u32_e64 v8, null, 0, v13, s1
	;; [unrolled: 2-line block ×4, first 2 shown]
	v_add_co_u32 v4, s1, s18, v4
	v_mov_b32_e32 v6, 0
	v_add_co_ci_u32_e64 v5, null, s19, v5, s1
	v_mov_b32_e32 v7, 0
	v_mov_b32_e32 v8, 0
	;; [unrolled: 1-line block ×3, first 2 shown]
	s_ashr_i32 s21, s20, 31
	s_lshl_b64 s[2:3], s[20:21], 5
	s_branch .LBB35_6
.LBB35_5:                               ;   in Loop: Header=BB35_6 Depth=1
	s_or_b32 exec_lo, exec_lo, s1
	s_waitcnt vmcnt(0)
	ds_write_b32 v15, v17
	s_waitcnt lgkmcnt(0)
	s_barrier
	buffer_gl0_inv
	ds_read_b128 v[16:19], v11
	ds_read2_b32 v[32:33], v10 offset1:16
	ds_read_b128 v[20:23], v11 offset:512
	ds_read2_b32 v[34:35], v10 offset0:32 offset1:48
	ds_read2_b32 v[36:37], v10 offset0:64 offset1:80
	;; [unrolled: 1-line block ×3, first 2 shown]
	ds_read_b128 v[24:27], v11 offset:16
	ds_read2_b32 v[40:41], v10 offset0:128 offset1:144
	ds_read_b128 v[28:31], v11 offset:528
	v_add_co_u32 v2, s1, v2, 32
	v_add_co_ci_u32_e64 v3, null, 0, v3, s1
	v_add_co_u32 v4, s1, v4, s2
	v_add_co_ci_u32_e64 v5, null, s3, v5, s1
	s_add_i32 s10, s10, 8
	s_cmp_lt_i32 s10, s13
	s_waitcnt lgkmcnt(7)
	v_fmac_f32_e32 v13, v32, v16
	v_fmac_f32_e32 v8, v33, v16
	s_waitcnt lgkmcnt(6)
	v_fmac_f32_e32 v7, v32, v20
	v_fmac_f32_e32 v6, v33, v20
	ds_read2_b32 v[32:33], v10 offset0:160 offset1:176
	s_waitcnt lgkmcnt(6)
	v_fmac_f32_e32 v13, v34, v17
	v_fmac_f32_e32 v8, v35, v17
	v_fmac_f32_e32 v7, v34, v21
	v_fmac_f32_e32 v6, v35, v21
	ds_read2_b32 v[16:17], v10 offset0:192 offset1:208
	s_waitcnt lgkmcnt(6)
	v_fmac_f32_e32 v13, v36, v18
	v_fmac_f32_e32 v8, v37, v18
	v_fmac_f32_e32 v7, v36, v22
	v_fmac_f32_e32 v6, v37, v22
	ds_read2_b32 v[20:21], v10 offset0:224 offset1:240
	s_waitcnt lgkmcnt(6)
	v_fmac_f32_e32 v13, v38, v19
	v_fmac_f32_e32 v8, v39, v19
	v_fmac_f32_e32 v7, v38, v23
	v_fmac_f32_e32 v6, v39, v23
	s_waitcnt lgkmcnt(0)
	v_fmac_f32_e32 v13, v40, v24
	v_fmac_f32_e32 v8, v41, v24
	v_fmac_f32_e32 v7, v40, v28
	v_fmac_f32_e32 v6, v41, v28
	s_barrier
	v_fmac_f32_e32 v13, v32, v25
	v_fmac_f32_e32 v8, v33, v25
	;; [unrolled: 1-line block ×4, first 2 shown]
	buffer_gl0_inv
	v_fmac_f32_e32 v13, v16, v26
	v_fmac_f32_e32 v8, v17, v26
	;; [unrolled: 1-line block ×8, first 2 shown]
	s_cbranch_scc0 .LBB35_10
.LBB35_6:                               ; =>This Inner Loop Header: Depth=1
	v_add_nc_u32_e32 v16, s10, v12
	v_cmp_gt_i32_e64 s1, s13, v16
	v_mov_b32_e32 v16, 0
	s_and_b32 s11, vcc_lo, s1
	s_and_saveexec_b32 s1, s11
	s_cbranch_execz .LBB35_8
; %bb.7:                                ;   in Loop: Header=BB35_6 Depth=1
	global_load_dword v16, v[2:3], off
.LBB35_8:                               ;   in Loop: Header=BB35_6 Depth=1
	s_or_b32 exec_lo, exec_lo, s1
	v_add_nc_u32_e32 v17, s10, v9
	s_waitcnt vmcnt(0)
	ds_write_b32 v14, v16
	v_cmp_gt_i32_e64 s1, s13, v17
	v_mov_b32_e32 v17, 0
	s_and_b32 s11, s1, s0
	s_and_saveexec_b32 s1, s11
	s_cbranch_execz .LBB35_5
; %bb.9:                                ;   in Loop: Header=BB35_6 Depth=1
	global_load_dword v17, v[4:5], off
	s_branch .LBB35_5
.LBB35_10:
	s_clause 0x2
	s_load_dword s3, s[4:5], 0x50
	s_load_dwordx2 s[10:11], s[4:5], 0x58
	s_load_dwordx2 s[4:5], s[4:5], 0x48
	v_add_nc_u32_e32 v10, s7, v1
	v_add_nc_u32_e32 v0, s6, v0
	v_cmp_le_i32_e32 vcc_lo, v10, v0
	v_cmp_gt_i32_e64 s0, s12, v0
	s_waitcnt lgkmcnt(0)
	v_mad_i64_i32 v[1:2], null, v10, s3, 0
	s_mul_i32 s1, s11, s8
	s_mul_hi_u32 s2, s10, s8
	s_mul_i32 s6, s10, s8
	s_add_i32 s7, s2, s1
	v_cmp_neq_f32_e64 s2, s9, 0
	s_lshl_b64 s[6:7], s[6:7], 2
	v_lshlrev_b64 v[2:3], 2, v[1:2]
	s_add_u32 s4, s4, s6
	s_addc_u32 s5, s5, s7
	v_ashrrev_i32_e32 v1, 31, v0
	v_cndmask_b32_e64 v9, 0, 1, s2
	s_and_b32 s6, vcc_lo, s0
	v_add_co_u32 v4, s1, s4, v2
	v_add_co_ci_u32_e64 v5, null, s5, v3, s1
	s_and_saveexec_b32 s1, s6
	s_cbranch_execz .LBB35_14
; %bb.11:
	v_lshlrev_b64 v[2:3], 2, v[0:1]
	v_mul_f32_e32 v11, s14, v13
	v_add_co_u32 v2, vcc_lo, v4, v2
	v_add_co_ci_u32_e64 v3, null, v5, v3, vcc_lo
	s_andn2_b32 vcc_lo, exec_lo, s2
	s_cbranch_vccnz .LBB35_13
; %bb.12:
	global_load_dword v12, v[2:3], off
	s_waitcnt vmcnt(0)
	v_fmac_f32_e32 v11, s9, v12
.LBB35_13:
	global_store_dword v[2:3], v11, off
.LBB35_14:
	s_or_b32 exec_lo, exec_lo, s1
	v_add_nc_u32_e32 v2, 16, v0
	v_cmp_le_i32_e32 vcc_lo, v10, v2
	v_cmp_gt_i32_e64 s1, s12, v2
	v_ashrrev_i32_e32 v3, 31, v2
	s_and_b32 s2, vcc_lo, s1
	s_and_saveexec_b32 s6, s2
	s_cbranch_execz .LBB35_18
; %bb.15:
	v_lshlrev_b64 v[11:12], 2, v[2:3]
	v_cmp_ne_u32_e32 vcc_lo, 1, v9
	v_mul_f32_e32 v8, s14, v8
	v_add_co_u32 v4, s2, v4, v11
	v_add_co_ci_u32_e64 v5, null, v5, v12, s2
	s_cbranch_vccnz .LBB35_17
; %bb.16:
	global_load_dword v11, v[4:5], off
	s_waitcnt vmcnt(0)
	v_fmac_f32_e32 v8, s9, v11
.LBB35_17:
	global_store_dword v[4:5], v8, off
.LBB35_18:
	s_or_b32 exec_lo, exec_lo, s6
	v_add_nc_u32_e32 v8, 16, v10
	v_mad_i64_i32 v[4:5], null, v8, s3, 0
	v_cmp_le_i32_e32 vcc_lo, v8, v0
	s_and_b32 s0, vcc_lo, s0
	v_lshlrev_b64 v[4:5], 2, v[4:5]
	v_add_co_u32 v4, s2, s4, v4
	v_add_co_ci_u32_e64 v5, null, s5, v5, s2
	s_and_saveexec_b32 s2, s0
	s_cbranch_execz .LBB35_22
; %bb.19:
	v_lshlrev_b64 v[0:1], 2, v[0:1]
	v_cmp_ne_u32_e32 vcc_lo, 1, v9
	v_mul_f32_e32 v7, s14, v7
	v_add_co_u32 v0, s0, v4, v0
	v_add_co_ci_u32_e64 v1, null, v5, v1, s0
	s_cbranch_vccnz .LBB35_21
; %bb.20:
	global_load_dword v10, v[0:1], off
	s_waitcnt vmcnt(0)
	v_fmac_f32_e32 v7, s9, v10
.LBB35_21:
	global_store_dword v[0:1], v7, off
.LBB35_22:
	s_or_b32 exec_lo, exec_lo, s2
	v_cmp_le_i32_e32 vcc_lo, v8, v2
	s_and_b32 s0, vcc_lo, s1
	s_and_saveexec_b32 s1, s0
	s_cbranch_execz .LBB35_26
; %bb.23:
	v_lshlrev_b64 v[0:1], 2, v[2:3]
	v_cmp_ne_u32_e32 vcc_lo, 1, v9
	v_mul_f32_e32 v2, s14, v6
	v_add_co_u32 v0, s0, v4, v0
	v_add_co_ci_u32_e64 v1, null, v5, v1, s0
	s_cbranch_vccnz .LBB35_25
; %bb.24:
	global_load_dword v3, v[0:1], off
	s_waitcnt vmcnt(0)
	v_fmac_f32_e32 v2, s9, v3
.LBB35_25:
	global_store_dword v[0:1], v2, off
.LBB35_26:
	s_endpgm
	.section	.rodata,"a",@progbits
	.p2align	6, 0x0
	.amdhsa_kernel _ZL29rocblas_internal_gemmt_kernelIiLi16ELi32ELi8ELc67ELc67ELc76ELb0ELb0EffPKfPfEviT_T9_T10_S3_lS5_S3_lS4_T11_S3_li
		.amdhsa_group_segment_fixed_size 2048
		.amdhsa_private_segment_fixed_size 0
		.amdhsa_kernarg_size 100
		.amdhsa_user_sgpr_count 6
		.amdhsa_user_sgpr_private_segment_buffer 1
		.amdhsa_user_sgpr_dispatch_ptr 0
		.amdhsa_user_sgpr_queue_ptr 0
		.amdhsa_user_sgpr_kernarg_segment_ptr 1
		.amdhsa_user_sgpr_dispatch_id 0
		.amdhsa_user_sgpr_flat_scratch_init 0
		.amdhsa_user_sgpr_private_segment_size 0
		.amdhsa_wavefront_size32 1
		.amdhsa_uses_dynamic_stack 0
		.amdhsa_system_sgpr_private_segment_wavefront_offset 0
		.amdhsa_system_sgpr_workgroup_id_x 1
		.amdhsa_system_sgpr_workgroup_id_y 1
		.amdhsa_system_sgpr_workgroup_id_z 1
		.amdhsa_system_sgpr_workgroup_info 0
		.amdhsa_system_vgpr_workitem_id 1
		.amdhsa_next_free_vgpr 42
		.amdhsa_next_free_sgpr 24
		.amdhsa_reserve_vcc 1
		.amdhsa_reserve_flat_scratch 0
		.amdhsa_float_round_mode_32 0
		.amdhsa_float_round_mode_16_64 0
		.amdhsa_float_denorm_mode_32 3
		.amdhsa_float_denorm_mode_16_64 3
		.amdhsa_dx10_clamp 1
		.amdhsa_ieee_mode 1
		.amdhsa_fp16_overflow 0
		.amdhsa_workgroup_processor_mode 1
		.amdhsa_memory_ordered 1
		.amdhsa_forward_progress 1
		.amdhsa_shared_vgpr_count 0
		.amdhsa_exception_fp_ieee_invalid_op 0
		.amdhsa_exception_fp_denorm_src 0
		.amdhsa_exception_fp_ieee_div_zero 0
		.amdhsa_exception_fp_ieee_overflow 0
		.amdhsa_exception_fp_ieee_underflow 0
		.amdhsa_exception_fp_ieee_inexact 0
		.amdhsa_exception_int_div_zero 0
	.end_amdhsa_kernel
	.section	.text._ZL29rocblas_internal_gemmt_kernelIiLi16ELi32ELi8ELc67ELc67ELc76ELb0ELb0EffPKfPfEviT_T9_T10_S3_lS5_S3_lS4_T11_S3_li,"axG",@progbits,_ZL29rocblas_internal_gemmt_kernelIiLi16ELi32ELi8ELc67ELc67ELc76ELb0ELb0EffPKfPfEviT_T9_T10_S3_lS5_S3_lS4_T11_S3_li,comdat
.Lfunc_end35:
	.size	_ZL29rocblas_internal_gemmt_kernelIiLi16ELi32ELi8ELc67ELc67ELc76ELb0ELb0EffPKfPfEviT_T9_T10_S3_lS5_S3_lS4_T11_S3_li, .Lfunc_end35-_ZL29rocblas_internal_gemmt_kernelIiLi16ELi32ELi8ELc67ELc67ELc76ELb0ELb0EffPKfPfEviT_T9_T10_S3_lS5_S3_lS4_T11_S3_li
                                        ; -- End function
	.set _ZL29rocblas_internal_gemmt_kernelIiLi16ELi32ELi8ELc67ELc67ELc76ELb0ELb0EffPKfPfEviT_T9_T10_S3_lS5_S3_lS4_T11_S3_li.num_vgpr, 42
	.set _ZL29rocblas_internal_gemmt_kernelIiLi16ELi32ELi8ELc67ELc67ELc76ELb0ELb0EffPKfPfEviT_T9_T10_S3_lS5_S3_lS4_T11_S3_li.num_agpr, 0
	.set _ZL29rocblas_internal_gemmt_kernelIiLi16ELi32ELi8ELc67ELc67ELc76ELb0ELb0EffPKfPfEviT_T9_T10_S3_lS5_S3_lS4_T11_S3_li.numbered_sgpr, 24
	.set _ZL29rocblas_internal_gemmt_kernelIiLi16ELi32ELi8ELc67ELc67ELc76ELb0ELb0EffPKfPfEviT_T9_T10_S3_lS5_S3_lS4_T11_S3_li.num_named_barrier, 0
	.set _ZL29rocblas_internal_gemmt_kernelIiLi16ELi32ELi8ELc67ELc67ELc76ELb0ELb0EffPKfPfEviT_T9_T10_S3_lS5_S3_lS4_T11_S3_li.private_seg_size, 0
	.set _ZL29rocblas_internal_gemmt_kernelIiLi16ELi32ELi8ELc67ELc67ELc76ELb0ELb0EffPKfPfEviT_T9_T10_S3_lS5_S3_lS4_T11_S3_li.uses_vcc, 1
	.set _ZL29rocblas_internal_gemmt_kernelIiLi16ELi32ELi8ELc67ELc67ELc76ELb0ELb0EffPKfPfEviT_T9_T10_S3_lS5_S3_lS4_T11_S3_li.uses_flat_scratch, 0
	.set _ZL29rocblas_internal_gemmt_kernelIiLi16ELi32ELi8ELc67ELc67ELc76ELb0ELb0EffPKfPfEviT_T9_T10_S3_lS5_S3_lS4_T11_S3_li.has_dyn_sized_stack, 0
	.set _ZL29rocblas_internal_gemmt_kernelIiLi16ELi32ELi8ELc67ELc67ELc76ELb0ELb0EffPKfPfEviT_T9_T10_S3_lS5_S3_lS4_T11_S3_li.has_recursion, 0
	.set _ZL29rocblas_internal_gemmt_kernelIiLi16ELi32ELi8ELc67ELc67ELc76ELb0ELb0EffPKfPfEviT_T9_T10_S3_lS5_S3_lS4_T11_S3_li.has_indirect_call, 0
	.section	.AMDGPU.csdata,"",@progbits
; Kernel info:
; codeLenInByte = 1412
; TotalNumSgprs: 26
; NumVgprs: 42
; ScratchSize: 0
; MemoryBound: 0
; FloatMode: 240
; IeeeMode: 1
; LDSByteSize: 2048 bytes/workgroup (compile time only)
; SGPRBlocks: 0
; VGPRBlocks: 5
; NumSGPRsForWavesPerEU: 26
; NumVGPRsForWavesPerEU: 42
; Occupancy: 16
; WaveLimiterHint : 0
; COMPUTE_PGM_RSRC2:SCRATCH_EN: 0
; COMPUTE_PGM_RSRC2:USER_SGPR: 6
; COMPUTE_PGM_RSRC2:TRAP_HANDLER: 0
; COMPUTE_PGM_RSRC2:TGID_X_EN: 1
; COMPUTE_PGM_RSRC2:TGID_Y_EN: 1
; COMPUTE_PGM_RSRC2:TGID_Z_EN: 1
; COMPUTE_PGM_RSRC2:TIDIG_COMP_CNT: 1
	.section	.text._ZL29rocblas_internal_gemmt_kernelIiLi16ELi32ELi8ELc78ELc78ELc85ELb0ELb0EdPKdS1_PdEviT_T9_T10_S3_lS5_S3_lS4_T11_S3_li,"axG",@progbits,_ZL29rocblas_internal_gemmt_kernelIiLi16ELi32ELi8ELc78ELc78ELc85ELb0ELb0EdPKdS1_PdEviT_T9_T10_S3_lS5_S3_lS4_T11_S3_li,comdat
	.globl	_ZL29rocblas_internal_gemmt_kernelIiLi16ELi32ELi8ELc78ELc78ELc85ELb0ELb0EdPKdS1_PdEviT_T9_T10_S3_lS5_S3_lS4_T11_S3_li ; -- Begin function _ZL29rocblas_internal_gemmt_kernelIiLi16ELi32ELi8ELc78ELc78ELc85ELb0ELb0EdPKdS1_PdEviT_T9_T10_S3_lS5_S3_lS4_T11_S3_li
	.p2align	8
	.type	_ZL29rocblas_internal_gemmt_kernelIiLi16ELi32ELi8ELc78ELc78ELc85ELb0ELb0EdPKdS1_PdEviT_T9_T10_S3_lS5_S3_lS4_T11_S3_li,@function
_ZL29rocblas_internal_gemmt_kernelIiLi16ELi32ELi8ELc78ELc78ELc85ELb0ELb0EdPKdS1_PdEviT_T9_T10_S3_lS5_S3_lS4_T11_S3_li: ; @_ZL29rocblas_internal_gemmt_kernelIiLi16ELi32ELi8ELc78ELc78ELc85ELb0ELb0EdPKdS1_PdEviT_T9_T10_S3_lS5_S3_lS4_T11_S3_li
; %bb.0:
	s_load_dwordx4 s[12:15], s[4:5], 0x38
	s_waitcnt lgkmcnt(0)
	s_load_dwordx2 s[10:11], s[14:15], 0x0
	s_clause 0x1
	s_load_dwordx4 s[0:3], s[4:5], 0x8
	s_load_dwordx2 s[20:21], s[4:5], 0x0
	s_waitcnt lgkmcnt(0)
	s_load_dwordx2 s[14:15], s[0:1], 0x0
	v_cmp_neq_f64_e64 s9, s[10:11], 1.0
	s_and_b32 vcc_lo, exec_lo, s9
	s_cbranch_vccnz .LBB36_2
; %bb.1:
	s_waitcnt lgkmcnt(0)
	v_cmp_neq_f64_e64 s0, s[14:15], 0
	s_cmp_lg_u32 s21, 0
	s_cselect_b32 s1, -1, 0
	s_and_b32 s9, s1, s0
.LBB36_2:
	s_andn2_b32 vcc_lo, exec_lo, s9
	s_cbranch_vccnz .LBB36_26
; %bb.3:
	s_waitcnt lgkmcnt(0)
	v_cmp_eq_f64_e64 s0, s[14:15], 0
	s_load_dwordx2 s[22:23], s[4:5], 0x48
	s_lshl_b32 s9, s6, 5
	s_lshl_b32 s24, s7, 5
	s_cmp_lt_i32 s21, 1
	v_mov_b32_e32 v12, 0
	s_cselect_b32 s1, -1, 0
	v_mov_b32_e32 v6, 0
	v_mov_b32_e32 v4, 0
	;; [unrolled: 1-line block ×7, first 2 shown]
	s_mov_b32 s25, 0
	s_or_b32 s0, s0, s1
	s_and_b32 vcc_lo, exec_lo, s0
	s_cbranch_vccnz .LBB36_10
; %bb.4:
	s_load_dword s6, s[4:5], 0x18
	v_lshl_add_u32 v2, v1, 4, v0
	s_clause 0x1
	s_load_dwordx4 s[16:19], s[4:5], 0x20
	s_load_dword s1, s[4:5], 0x30
	v_and_b32_e32 v18, 7, v0
	v_mov_b32_e32 v12, 0
	v_lshlrev_b32_e32 v19, 3, v0
	v_and_b32_e32 v3, 31, v2
	v_lshrrev_b32_e32 v4, 3, v2
	v_lshlrev_b32_e32 v10, 3, v18
	v_lshrrev_b32_e32 v21, 5, v2
	v_lshl_add_u32 v20, v1, 6, 0x800
	v_or_b32_e32 v5, s9, v3
	v_add_nc_u32_e32 v6, s24, v4
	v_lshl_or_b32 v8, v4, 6, v10
	v_lshlrev_b32_e32 v7, 3, v3
	v_add_nc_u32_e32 v2, s9, v3
	v_cmp_gt_i32_e32 vcc_lo, s20, v5
	v_cmp_gt_i32_e64 s0, s20, v6
	v_add_nc_u32_e32 v23, 0x800, v8
	v_lshl_or_b32 v22, v21, 8, v7
	s_waitcnt lgkmcnt(0)
	v_mad_i64_i32 v[4:5], null, v21, s6, 0
	s_mul_i32 s7, s17, s8
	s_mul_hi_u32 s17, s16, s8
	v_mad_i64_i32 v[6:7], null, s1, v6, 0
	v_ashrrev_i32_e32 v3, 31, v2
	s_mul_i32 s16, s16, s8
	v_lshlrev_b64 v[4:5], 3, v[4:5]
	s_add_i32 s17, s17, s7
	s_mul_hi_u32 s7, s12, s8
	s_lshl_b64 s[16:17], s[16:17], 3
	v_lshlrev_b64 v[2:3], 3, v[2:3]
	s_mul_i32 s12, s12, s8
	v_add_co_u32 v8, s1, v4, s16
	v_add_co_ci_u32_e64 v9, null, s17, v5, s1
	s_mul_i32 s1, s13, s8
	v_lshlrev_b64 v[4:5], 3, v[6:7]
	s_add_i32 s13, s7, s1
	v_add_co_u32 v2, s1, v8, v2
	s_lshl_b64 s[12:13], s[12:13], 3
	v_add_co_ci_u32_e64 v3, null, v9, v3, s1
	v_add_co_u32 v4, s1, v4, s12
	v_add_co_ci_u32_e64 v5, null, s13, v5, s1
	v_add_co_u32 v8, s1, s2, v2
	;; [unrolled: 2-line block ×3, first 2 shown]
	v_add_co_ci_u32_e64 v11, null, 0, v5, s1
	v_mov_b32_e32 v2, 0
	v_add_co_u32 v10, s1, s18, v10
	v_mov_b32_e32 v4, 0
	v_mov_b32_e32 v6, 0
	;; [unrolled: 1-line block ×6, first 2 shown]
	v_add_co_ci_u32_e64 v11, null, s19, v11, s1
	s_ashr_i32 s7, s6, 31
	s_lshl_b64 s[2:3], s[6:7], 6
	s_branch .LBB36_6
.LBB36_5:                               ;   in Loop: Header=BB36_6 Depth=1
	s_or_b32 exec_lo, exec_lo, s1
	s_waitcnt vmcnt(0)
	ds_write_b64 v23, v[16:17]
	s_waitcnt lgkmcnt(0)
	s_barrier
	buffer_gl0_inv
	ds_read_b128 v[14:17], v20
	ds_read2_b64 v[24:27], v19 offset1:16
	ds_read_b128 v[28:31], v20 offset:1024
	ds_read_b128 v[32:35], v20 offset:16
	ds_read2_b64 v[36:39], v19 offset0:32 offset1:48
	ds_read_b128 v[40:43], v20 offset:1040
	v_add_co_u32 v8, s1, v8, s2
	v_add_co_ci_u32_e64 v9, null, s3, v9, s1
	v_add_co_u32 v10, s1, v10, 64
	v_add_co_ci_u32_e64 v11, null, 0, v11, s1
	s_add_i32 s25, s25, 8
	s_cmp_lt_i32 s25, s21
	s_waitcnt lgkmcnt(4)
	v_fma_f64 v[12:13], v[24:25], v[14:15], v[12:13]
	v_fma_f64 v[6:7], v[26:27], v[14:15], v[6:7]
	s_waitcnt lgkmcnt(3)
	v_fma_f64 v[14:15], v[24:25], v[28:29], v[4:5]
	v_fma_f64 v[24:25], v[26:27], v[28:29], v[2:3]
	ds_read2_b64 v[2:5], v19 offset0:64 offset1:80
	s_waitcnt lgkmcnt(2)
	v_fma_f64 v[26:27], v[36:37], v[16:17], v[12:13]
	v_fma_f64 v[6:7], v[38:39], v[16:17], v[6:7]
	;; [unrolled: 1-line block ×4, first 2 shown]
	ds_read2_b64 v[12:15], v19 offset0:96 offset1:112
	s_waitcnt lgkmcnt(1)
	v_fma_f64 v[28:29], v[2:3], v[32:33], v[26:27]
	v_fma_f64 v[6:7], v[4:5], v[32:33], v[6:7]
	;; [unrolled: 1-line block ×4, first 2 shown]
	ds_read_b128 v[2:5], v20 offset:32
	ds_read2_b64 v[24:27], v19 offset0:128 offset1:144
	s_waitcnt lgkmcnt(2)
	v_fma_f64 v[40:41], v[12:13], v[34:35], v[28:29]
	v_fma_f64 v[6:7], v[14:15], v[34:35], v[6:7]
	;; [unrolled: 1-line block ×4, first 2 shown]
	ds_read_b128 v[12:15], v20 offset:1056
	ds_read_b128 v[28:31], v20 offset:48
	ds_read2_b64 v[32:35], v19 offset0:160 offset1:176
	ds_read_b128 v[36:39], v20 offset:1072
	s_waitcnt lgkmcnt(4)
	v_fma_f64 v[40:41], v[24:25], v[2:3], v[40:41]
	v_fma_f64 v[2:3], v[26:27], v[2:3], v[6:7]
	s_waitcnt lgkmcnt(3)
	v_fma_f64 v[6:7], v[24:25], v[12:13], v[16:17]
	v_fma_f64 v[12:13], v[26:27], v[12:13], v[42:43]
	ds_read2_b64 v[24:27], v19 offset0:192 offset1:208
	s_waitcnt lgkmcnt(2)
	v_fma_f64 v[40:41], v[32:33], v[4:5], v[40:41]
	v_fma_f64 v[2:3], v[34:35], v[4:5], v[2:3]
	;; [unrolled: 1-line block ×4, first 2 shown]
	ds_read2_b64 v[14:17], v19 offset0:224 offset1:240
	s_waitcnt lgkmcnt(0)
	s_barrier
	buffer_gl0_inv
	v_fma_f64 v[12:13], v[24:25], v[28:29], v[40:41]
	v_fma_f64 v[2:3], v[26:27], v[28:29], v[2:3]
	v_fma_f64 v[4:5], v[24:25], v[36:37], v[4:5]
	v_fma_f64 v[24:25], v[26:27], v[36:37], v[6:7]
	v_fma_f64 v[12:13], v[14:15], v[30:31], v[12:13]
	v_fma_f64 v[6:7], v[16:17], v[30:31], v[2:3]
	v_fma_f64 v[4:5], v[14:15], v[38:39], v[4:5]
	v_fma_f64 v[2:3], v[16:17], v[38:39], v[24:25]
	s_cbranch_scc0 .LBB36_10
.LBB36_6:                               ; =>This Inner Loop Header: Depth=1
	v_add_nc_u32_e32 v14, s25, v21
	v_cmp_gt_i32_e64 s1, s21, v14
	v_mov_b32_e32 v14, 0
	v_mov_b32_e32 v15, 0
	s_and_b32 s6, vcc_lo, s1
	s_and_saveexec_b32 s1, s6
	s_cbranch_execz .LBB36_8
; %bb.7:                                ;   in Loop: Header=BB36_6 Depth=1
	global_load_dwordx2 v[14:15], v[8:9], off
.LBB36_8:                               ;   in Loop: Header=BB36_6 Depth=1
	s_or_b32 exec_lo, exec_lo, s1
	v_add_nc_u32_e32 v16, s25, v18
	s_waitcnt vmcnt(0)
	ds_write_b64 v22, v[14:15]
	v_cmp_gt_i32_e64 s1, s21, v16
	v_mov_b32_e32 v16, 0
	v_mov_b32_e32 v17, 0
	s_and_b32 s6, s1, s0
	s_and_saveexec_b32 s1, s6
	s_cbranch_execz .LBB36_5
; %bb.9:                                ;   in Loop: Header=BB36_6 Depth=1
	global_load_dwordx2 v[16:17], v[10:11], off
	s_branch .LBB36_5
.LBB36_10:
	s_clause 0x1
	s_load_dword s2, s[4:5], 0x50
	s_load_dwordx2 s[4:5], s[4:5], 0x58
	v_add_nc_u32_e32 v15, s24, v1
	v_add_nc_u32_e32 v0, s9, v0
	v_cmp_gt_i32_e64 s0, s20, v15
	v_cmp_le_i32_e32 vcc_lo, v0, v15
	v_ashrrev_i32_e32 v1, 31, v0
	s_waitcnt lgkmcnt(0)
	v_mad_i64_i32 v[8:9], null, v15, s2, 0
	s_mul_i32 s1, s5, s8
	s_mul_hi_u32 s3, s4, s8
	s_mul_i32 s4, s4, s8
	s_add_i32 s5, s3, s1
	s_lshl_b64 s[4:5], s[4:5], 3
	v_lshlrev_b64 v[8:9], 3, v[8:9]
	s_add_u32 s3, s22, s4
	s_addc_u32 s4, s23, s5
	v_cmp_neq_f64_e64 s5, s[10:11], 0
	s_and_b32 s6, s0, vcc_lo
	v_add_co_u32 v16, s1, s3, v8
	v_add_co_ci_u32_e64 v17, null, s4, v9, s1
	v_cndmask_b32_e64 v14, 0, 1, s5
	s_and_saveexec_b32 s1, s6
	s_cbranch_execz .LBB36_14
; %bb.11:
	v_mul_f64 v[8:9], s[14:15], v[12:13]
	v_lshlrev_b64 v[10:11], 3, v[0:1]
	v_add_co_u32 v10, vcc_lo, v16, v10
	v_add_co_ci_u32_e64 v11, null, v17, v11, vcc_lo
	s_andn2_b32 vcc_lo, exec_lo, s5
	s_cbranch_vccnz .LBB36_13
; %bb.12:
	global_load_dwordx2 v[12:13], v[10:11], off
	s_waitcnt vmcnt(0)
	v_fma_f64 v[8:9], s[10:11], v[12:13], v[8:9]
.LBB36_13:
	global_store_dwordx2 v[10:11], v[8:9], off
.LBB36_14:
	s_or_b32 exec_lo, exec_lo, s1
	v_add_nc_u32_e32 v8, 16, v0
	v_cmp_le_i32_e32 vcc_lo, v8, v15
	v_ashrrev_i32_e32 v9, 31, v8
	s_and_b32 s0, s0, vcc_lo
	s_and_saveexec_b32 s1, s0
	s_cbranch_execz .LBB36_18
; %bb.15:
	v_mul_f64 v[6:7], s[14:15], v[6:7]
	v_lshlrev_b64 v[10:11], 3, v[8:9]
	v_cmp_ne_u32_e32 vcc_lo, 1, v14
	v_add_co_u32 v10, s0, v16, v10
	v_add_co_ci_u32_e64 v11, null, v17, v11, s0
	s_cbranch_vccnz .LBB36_17
; %bb.16:
	global_load_dwordx2 v[12:13], v[10:11], off
	s_waitcnt vmcnt(0)
	v_fma_f64 v[6:7], s[10:11], v[12:13], v[6:7]
.LBB36_17:
	global_store_dwordx2 v[10:11], v[6:7], off
.LBB36_18:
	s_or_b32 exec_lo, exec_lo, s1
	v_add_nc_u32_e32 v10, 16, v15
	v_mad_i64_i32 v[6:7], null, v10, s2, 0
	v_cmp_gt_i32_e64 s0, s20, v10
	v_cmp_le_i32_e32 vcc_lo, v0, v10
	v_lshlrev_b64 v[6:7], 3, v[6:7]
	v_add_co_u32 v6, s1, s3, v6
	v_add_co_ci_u32_e64 v7, null, s4, v7, s1
	s_and_b32 s1, s0, vcc_lo
	s_and_saveexec_b32 s2, s1
	s_cbranch_execz .LBB36_22
; %bb.19:
	v_mul_f64 v[4:5], s[14:15], v[4:5]
	v_lshlrev_b64 v[0:1], 3, v[0:1]
	v_cmp_ne_u32_e32 vcc_lo, 1, v14
	v_add_co_u32 v0, s1, v6, v0
	v_add_co_ci_u32_e64 v1, null, v7, v1, s1
	s_cbranch_vccnz .LBB36_21
; %bb.20:
	global_load_dwordx2 v[11:12], v[0:1], off
	s_waitcnt vmcnt(0)
	v_fma_f64 v[4:5], s[10:11], v[11:12], v[4:5]
.LBB36_21:
	global_store_dwordx2 v[0:1], v[4:5], off
.LBB36_22:
	s_or_b32 exec_lo, exec_lo, s2
	v_cmp_le_i32_e32 vcc_lo, v8, v10
	s_and_b32 s0, s0, vcc_lo
	s_and_saveexec_b32 s1, s0
	s_cbranch_execz .LBB36_26
; %bb.23:
	v_mul_f64 v[0:1], s[14:15], v[2:3]
	v_lshlrev_b64 v[2:3], 3, v[8:9]
	v_cmp_ne_u32_e32 vcc_lo, 1, v14
	v_add_co_u32 v2, s0, v6, v2
	v_add_co_ci_u32_e64 v3, null, v7, v3, s0
	s_cbranch_vccnz .LBB36_25
; %bb.24:
	global_load_dwordx2 v[4:5], v[2:3], off
	s_waitcnt vmcnt(0)
	v_fma_f64 v[0:1], s[10:11], v[4:5], v[0:1]
.LBB36_25:
	global_store_dwordx2 v[2:3], v[0:1], off
.LBB36_26:
	s_endpgm
	.section	.rodata,"a",@progbits
	.p2align	6, 0x0
	.amdhsa_kernel _ZL29rocblas_internal_gemmt_kernelIiLi16ELi32ELi8ELc78ELc78ELc85ELb0ELb0EdPKdS1_PdEviT_T9_T10_S3_lS5_S3_lS4_T11_S3_li
		.amdhsa_group_segment_fixed_size 4096
		.amdhsa_private_segment_fixed_size 0
		.amdhsa_kernarg_size 100
		.amdhsa_user_sgpr_count 6
		.amdhsa_user_sgpr_private_segment_buffer 1
		.amdhsa_user_sgpr_dispatch_ptr 0
		.amdhsa_user_sgpr_queue_ptr 0
		.amdhsa_user_sgpr_kernarg_segment_ptr 1
		.amdhsa_user_sgpr_dispatch_id 0
		.amdhsa_user_sgpr_flat_scratch_init 0
		.amdhsa_user_sgpr_private_segment_size 0
		.amdhsa_wavefront_size32 1
		.amdhsa_uses_dynamic_stack 0
		.amdhsa_system_sgpr_private_segment_wavefront_offset 0
		.amdhsa_system_sgpr_workgroup_id_x 1
		.amdhsa_system_sgpr_workgroup_id_y 1
		.amdhsa_system_sgpr_workgroup_id_z 1
		.amdhsa_system_sgpr_workgroup_info 0
		.amdhsa_system_vgpr_workitem_id 1
		.amdhsa_next_free_vgpr 44
		.amdhsa_next_free_sgpr 26
		.amdhsa_reserve_vcc 1
		.amdhsa_reserve_flat_scratch 0
		.amdhsa_float_round_mode_32 0
		.amdhsa_float_round_mode_16_64 0
		.amdhsa_float_denorm_mode_32 3
		.amdhsa_float_denorm_mode_16_64 3
		.amdhsa_dx10_clamp 1
		.amdhsa_ieee_mode 1
		.amdhsa_fp16_overflow 0
		.amdhsa_workgroup_processor_mode 1
		.amdhsa_memory_ordered 1
		.amdhsa_forward_progress 1
		.amdhsa_shared_vgpr_count 0
		.amdhsa_exception_fp_ieee_invalid_op 0
		.amdhsa_exception_fp_denorm_src 0
		.amdhsa_exception_fp_ieee_div_zero 0
		.amdhsa_exception_fp_ieee_overflow 0
		.amdhsa_exception_fp_ieee_underflow 0
		.amdhsa_exception_fp_ieee_inexact 0
		.amdhsa_exception_int_div_zero 0
	.end_amdhsa_kernel
	.section	.text._ZL29rocblas_internal_gemmt_kernelIiLi16ELi32ELi8ELc78ELc78ELc85ELb0ELb0EdPKdS1_PdEviT_T9_T10_S3_lS5_S3_lS4_T11_S3_li,"axG",@progbits,_ZL29rocblas_internal_gemmt_kernelIiLi16ELi32ELi8ELc78ELc78ELc85ELb0ELb0EdPKdS1_PdEviT_T9_T10_S3_lS5_S3_lS4_T11_S3_li,comdat
.Lfunc_end36:
	.size	_ZL29rocblas_internal_gemmt_kernelIiLi16ELi32ELi8ELc78ELc78ELc85ELb0ELb0EdPKdS1_PdEviT_T9_T10_S3_lS5_S3_lS4_T11_S3_li, .Lfunc_end36-_ZL29rocblas_internal_gemmt_kernelIiLi16ELi32ELi8ELc78ELc78ELc85ELb0ELb0EdPKdS1_PdEviT_T9_T10_S3_lS5_S3_lS4_T11_S3_li
                                        ; -- End function
	.set _ZL29rocblas_internal_gemmt_kernelIiLi16ELi32ELi8ELc78ELc78ELc85ELb0ELb0EdPKdS1_PdEviT_T9_T10_S3_lS5_S3_lS4_T11_S3_li.num_vgpr, 44
	.set _ZL29rocblas_internal_gemmt_kernelIiLi16ELi32ELi8ELc78ELc78ELc85ELb0ELb0EdPKdS1_PdEviT_T9_T10_S3_lS5_S3_lS4_T11_S3_li.num_agpr, 0
	.set _ZL29rocblas_internal_gemmt_kernelIiLi16ELi32ELi8ELc78ELc78ELc85ELb0ELb0EdPKdS1_PdEviT_T9_T10_S3_lS5_S3_lS4_T11_S3_li.numbered_sgpr, 26
	.set _ZL29rocblas_internal_gemmt_kernelIiLi16ELi32ELi8ELc78ELc78ELc85ELb0ELb0EdPKdS1_PdEviT_T9_T10_S3_lS5_S3_lS4_T11_S3_li.num_named_barrier, 0
	.set _ZL29rocblas_internal_gemmt_kernelIiLi16ELi32ELi8ELc78ELc78ELc85ELb0ELb0EdPKdS1_PdEviT_T9_T10_S3_lS5_S3_lS4_T11_S3_li.private_seg_size, 0
	.set _ZL29rocblas_internal_gemmt_kernelIiLi16ELi32ELi8ELc78ELc78ELc85ELb0ELb0EdPKdS1_PdEviT_T9_T10_S3_lS5_S3_lS4_T11_S3_li.uses_vcc, 1
	.set _ZL29rocblas_internal_gemmt_kernelIiLi16ELi32ELi8ELc78ELc78ELc85ELb0ELb0EdPKdS1_PdEviT_T9_T10_S3_lS5_S3_lS4_T11_S3_li.uses_flat_scratch, 0
	.set _ZL29rocblas_internal_gemmt_kernelIiLi16ELi32ELi8ELc78ELc78ELc85ELb0ELb0EdPKdS1_PdEviT_T9_T10_S3_lS5_S3_lS4_T11_S3_li.has_dyn_sized_stack, 0
	.set _ZL29rocblas_internal_gemmt_kernelIiLi16ELi32ELi8ELc78ELc78ELc85ELb0ELb0EdPKdS1_PdEviT_T9_T10_S3_lS5_S3_lS4_T11_S3_li.has_recursion, 0
	.set _ZL29rocblas_internal_gemmt_kernelIiLi16ELi32ELi8ELc78ELc78ELc85ELb0ELb0EdPKdS1_PdEviT_T9_T10_S3_lS5_S3_lS4_T11_S3_li.has_indirect_call, 0
	.section	.AMDGPU.csdata,"",@progbits
; Kernel info:
; codeLenInByte = 1668
; TotalNumSgprs: 28
; NumVgprs: 44
; ScratchSize: 0
; MemoryBound: 0
; FloatMode: 240
; IeeeMode: 1
; LDSByteSize: 4096 bytes/workgroup (compile time only)
; SGPRBlocks: 0
; VGPRBlocks: 5
; NumSGPRsForWavesPerEU: 28
; NumVGPRsForWavesPerEU: 44
; Occupancy: 16
; WaveLimiterHint : 0
; COMPUTE_PGM_RSRC2:SCRATCH_EN: 0
; COMPUTE_PGM_RSRC2:USER_SGPR: 6
; COMPUTE_PGM_RSRC2:TRAP_HANDLER: 0
; COMPUTE_PGM_RSRC2:TGID_X_EN: 1
; COMPUTE_PGM_RSRC2:TGID_Y_EN: 1
; COMPUTE_PGM_RSRC2:TGID_Z_EN: 1
; COMPUTE_PGM_RSRC2:TIDIG_COMP_CNT: 1
	.section	.text._ZL29rocblas_internal_gemmt_kernelIiLi16ELi32ELi8ELc78ELc84ELc85ELb0ELb0EdPKdS1_PdEviT_T9_T10_S3_lS5_S3_lS4_T11_S3_li,"axG",@progbits,_ZL29rocblas_internal_gemmt_kernelIiLi16ELi32ELi8ELc78ELc84ELc85ELb0ELb0EdPKdS1_PdEviT_T9_T10_S3_lS5_S3_lS4_T11_S3_li,comdat
	.globl	_ZL29rocblas_internal_gemmt_kernelIiLi16ELi32ELi8ELc78ELc84ELc85ELb0ELb0EdPKdS1_PdEviT_T9_T10_S3_lS5_S3_lS4_T11_S3_li ; -- Begin function _ZL29rocblas_internal_gemmt_kernelIiLi16ELi32ELi8ELc78ELc84ELc85ELb0ELb0EdPKdS1_PdEviT_T9_T10_S3_lS5_S3_lS4_T11_S3_li
	.p2align	8
	.type	_ZL29rocblas_internal_gemmt_kernelIiLi16ELi32ELi8ELc78ELc84ELc85ELb0ELb0EdPKdS1_PdEviT_T9_T10_S3_lS5_S3_lS4_T11_S3_li,@function
_ZL29rocblas_internal_gemmt_kernelIiLi16ELi32ELi8ELc78ELc84ELc85ELb0ELb0EdPKdS1_PdEviT_T9_T10_S3_lS5_S3_lS4_T11_S3_li: ; @_ZL29rocblas_internal_gemmt_kernelIiLi16ELi32ELi8ELc78ELc84ELc85ELb0ELb0EdPKdS1_PdEviT_T9_T10_S3_lS5_S3_lS4_T11_S3_li
; %bb.0:
	s_load_dwordx4 s[12:15], s[4:5], 0x38
	s_waitcnt lgkmcnt(0)
	s_load_dwordx2 s[10:11], s[14:15], 0x0
	s_clause 0x1
	s_load_dwordx4 s[0:3], s[4:5], 0x8
	s_load_dwordx2 s[20:21], s[4:5], 0x0
	s_waitcnt lgkmcnt(0)
	s_load_dwordx2 s[14:15], s[0:1], 0x0
	v_cmp_neq_f64_e64 s9, s[10:11], 1.0
	s_and_b32 vcc_lo, exec_lo, s9
	s_cbranch_vccnz .LBB37_2
; %bb.1:
	s_waitcnt lgkmcnt(0)
	v_cmp_neq_f64_e64 s0, s[14:15], 0
	s_cmp_lg_u32 s21, 0
	s_cselect_b32 s1, -1, 0
	s_and_b32 s9, s1, s0
.LBB37_2:
	s_andn2_b32 vcc_lo, exec_lo, s9
	s_cbranch_vccnz .LBB37_26
; %bb.3:
	s_waitcnt lgkmcnt(0)
	v_cmp_eq_f64_e64 s0, s[14:15], 0
	s_load_dwordx2 s[22:23], s[4:5], 0x48
	s_lshl_b32 s9, s6, 5
	s_lshl_b32 s24, s7, 5
	s_cmp_lt_i32 s21, 1
	v_mov_b32_e32 v12, 0
	s_cselect_b32 s1, -1, 0
	v_mov_b32_e32 v6, 0
	v_mov_b32_e32 v4, 0
	;; [unrolled: 1-line block ×7, first 2 shown]
	s_mov_b32 s25, 0
	s_or_b32 s0, s0, s1
	s_and_b32 vcc_lo, exec_lo, s0
	s_cbranch_vccnz .LBB37_10
; %bb.4:
	s_clause 0x2
	s_load_dword s6, s[4:5], 0x18
	s_load_dwordx4 s[16:19], s[4:5], 0x20
	s_load_dword s26, s[4:5], 0x30
	v_lshl_add_u32 v2, v1, 4, v0
	v_and_b32_e32 v18, 7, v0
	s_mul_i32 s13, s13, s8
	s_mul_hi_u32 s27, s12, s8
	s_mul_i32 s12, s12, s8
	v_and_b32_e32 v6, 31, v2
	v_lshrrev_b32_e32 v3, 3, v2
	v_lshlrev_b32_e32 v4, 3, v18
	v_lshrrev_b32_e32 v19, 5, v2
	s_add_i32 s13, s27, s13
	v_or_b32_e32 v5, s9, v6
	v_add_nc_u32_e32 v2, s24, v3
	v_lshl_or_b32 v3, v3, 6, v4
	v_lshlrev_b32_e32 v7, 3, v6
	v_add_nc_u32_e32 v6, s9, v6
	v_cmp_gt_i32_e32 vcc_lo, s20, v5
	s_lshl_b64 s[12:13], s[12:13], 3
	s_waitcnt lgkmcnt(0)
	v_mad_i64_i32 v[4:5], null, v19, s6, 0
	s_mul_i32 s1, s17, s8
	s_mul_hi_u32 s17, s16, s8
	v_mad_i64_i32 v[8:9], null, s26, v18, 0
	v_lshl_or_b32 v20, v19, 8, v7
	v_ashrrev_i32_e32 v7, 31, v6
	v_lshlrev_b64 v[4:5], 3, v[4:5]
	s_add_i32 s17, s17, s1
	s_mul_i32 s16, s16, s8
	v_add_nc_u32_e32 v21, 0x800, v3
	s_lshl_b64 s[16:17], s[16:17], 3
	v_lshlrev_b64 v[6:7], 3, v[6:7]
	v_add_co_u32 v10, s1, v4, s16
	v_ashrrev_i32_e32 v3, 31, v2
	v_add_co_ci_u32_e64 v11, null, s17, v5, s1
	v_lshlrev_b64 v[4:5], 3, v[8:9]
	v_add_co_u32 v6, s1, v10, v6
	v_cmp_gt_i32_e64 s0, s20, v2
	v_lshlrev_b64 v[2:3], 3, v[2:3]
	v_add_co_ci_u32_e64 v7, null, v11, v7, s1
	v_add_co_u32 v4, s1, s12, v4
	v_add_co_ci_u32_e64 v5, null, s13, v5, s1
	v_add_co_u32 v8, s1, s2, v6
	;; [unrolled: 2-line block ×3, first 2 shown]
	v_add_co_ci_u32_e64 v11, null, v5, v3, s1
	v_mov_b32_e32 v2, 0
	v_add_co_u32 v10, s1, s18, v10
	v_mov_b32_e32 v4, 0
	v_mov_b32_e32 v6, 0
	;; [unrolled: 1-line block ×3, first 2 shown]
	v_lshlrev_b32_e32 v22, 3, v0
	v_lshl_add_u32 v23, v1, 6, 0x800
	v_mov_b32_e32 v3, 0
	v_mov_b32_e32 v5, 0
	;; [unrolled: 1-line block ×4, first 2 shown]
	v_add_co_ci_u32_e64 v11, null, s19, v11, s1
	s_ashr_i32 s7, s6, 31
	s_ashr_i32 s27, s26, 31
	s_lshl_b64 s[2:3], s[6:7], 6
	s_lshl_b64 s[6:7], s[26:27], 6
	s_branch .LBB37_6
.LBB37_5:                               ;   in Loop: Header=BB37_6 Depth=1
	s_or_b32 exec_lo, exec_lo, s1
	s_waitcnt vmcnt(0)
	ds_write_b64 v21, v[16:17]
	s_waitcnt lgkmcnt(0)
	s_barrier
	buffer_gl0_inv
	ds_read_b128 v[14:17], v23
	ds_read2_b64 v[24:27], v22 offset1:16
	ds_read_b128 v[28:31], v23 offset:1024
	ds_read_b128 v[32:35], v23 offset:16
	ds_read2_b64 v[36:39], v22 offset0:32 offset1:48
	ds_read_b128 v[40:43], v23 offset:1040
	v_add_co_u32 v8, s1, v8, s2
	v_add_co_ci_u32_e64 v9, null, s3, v9, s1
	v_add_co_u32 v10, s1, v10, s6
	v_add_co_ci_u32_e64 v11, null, s7, v11, s1
	s_add_i32 s25, s25, 8
	s_cmp_lt_i32 s25, s21
	s_waitcnt lgkmcnt(4)
	v_fma_f64 v[12:13], v[24:25], v[14:15], v[12:13]
	v_fma_f64 v[6:7], v[26:27], v[14:15], v[6:7]
	s_waitcnt lgkmcnt(3)
	v_fma_f64 v[14:15], v[24:25], v[28:29], v[4:5]
	v_fma_f64 v[24:25], v[26:27], v[28:29], v[2:3]
	ds_read2_b64 v[2:5], v22 offset0:64 offset1:80
	s_waitcnt lgkmcnt(2)
	v_fma_f64 v[26:27], v[36:37], v[16:17], v[12:13]
	v_fma_f64 v[6:7], v[38:39], v[16:17], v[6:7]
	;; [unrolled: 1-line block ×4, first 2 shown]
	ds_read2_b64 v[12:15], v22 offset0:96 offset1:112
	s_waitcnt lgkmcnt(1)
	v_fma_f64 v[28:29], v[2:3], v[32:33], v[26:27]
	v_fma_f64 v[6:7], v[4:5], v[32:33], v[6:7]
	;; [unrolled: 1-line block ×4, first 2 shown]
	ds_read_b128 v[2:5], v23 offset:32
	ds_read2_b64 v[24:27], v22 offset0:128 offset1:144
	s_waitcnt lgkmcnt(2)
	v_fma_f64 v[40:41], v[12:13], v[34:35], v[28:29]
	v_fma_f64 v[6:7], v[14:15], v[34:35], v[6:7]
	;; [unrolled: 1-line block ×4, first 2 shown]
	ds_read_b128 v[12:15], v23 offset:1056
	ds_read_b128 v[28:31], v23 offset:48
	ds_read2_b64 v[32:35], v22 offset0:160 offset1:176
	ds_read_b128 v[36:39], v23 offset:1072
	s_waitcnt lgkmcnt(4)
	v_fma_f64 v[40:41], v[24:25], v[2:3], v[40:41]
	v_fma_f64 v[2:3], v[26:27], v[2:3], v[6:7]
	s_waitcnt lgkmcnt(3)
	v_fma_f64 v[6:7], v[24:25], v[12:13], v[16:17]
	v_fma_f64 v[12:13], v[26:27], v[12:13], v[42:43]
	ds_read2_b64 v[24:27], v22 offset0:192 offset1:208
	s_waitcnt lgkmcnt(2)
	v_fma_f64 v[40:41], v[32:33], v[4:5], v[40:41]
	v_fma_f64 v[2:3], v[34:35], v[4:5], v[2:3]
	;; [unrolled: 1-line block ×4, first 2 shown]
	ds_read2_b64 v[14:17], v22 offset0:224 offset1:240
	s_waitcnt lgkmcnt(0)
	s_barrier
	buffer_gl0_inv
	v_fma_f64 v[12:13], v[24:25], v[28:29], v[40:41]
	v_fma_f64 v[2:3], v[26:27], v[28:29], v[2:3]
	;; [unrolled: 1-line block ×8, first 2 shown]
	s_cbranch_scc0 .LBB37_10
.LBB37_6:                               ; =>This Inner Loop Header: Depth=1
	v_add_nc_u32_e32 v14, s25, v19
	v_cmp_gt_i32_e64 s1, s21, v14
	v_mov_b32_e32 v14, 0
	v_mov_b32_e32 v15, 0
	s_and_b32 s12, vcc_lo, s1
	s_and_saveexec_b32 s1, s12
	s_cbranch_execz .LBB37_8
; %bb.7:                                ;   in Loop: Header=BB37_6 Depth=1
	global_load_dwordx2 v[14:15], v[8:9], off
.LBB37_8:                               ;   in Loop: Header=BB37_6 Depth=1
	s_or_b32 exec_lo, exec_lo, s1
	v_add_nc_u32_e32 v16, s25, v18
	s_waitcnt vmcnt(0)
	ds_write_b64 v20, v[14:15]
	v_cmp_gt_i32_e64 s1, s21, v16
	v_mov_b32_e32 v16, 0
	v_mov_b32_e32 v17, 0
	s_and_b32 s12, s1, s0
	s_and_saveexec_b32 s1, s12
	s_cbranch_execz .LBB37_5
; %bb.9:                                ;   in Loop: Header=BB37_6 Depth=1
	global_load_dwordx2 v[16:17], v[10:11], off
	s_branch .LBB37_5
.LBB37_10:
	s_clause 0x1
	s_load_dword s2, s[4:5], 0x50
	s_load_dwordx2 s[4:5], s[4:5], 0x58
	v_add_nc_u32_e32 v15, s24, v1
	v_add_nc_u32_e32 v0, s9, v0
	v_cmp_gt_i32_e64 s0, s20, v15
	v_cmp_le_i32_e32 vcc_lo, v0, v15
	v_ashrrev_i32_e32 v1, 31, v0
	s_waitcnt lgkmcnt(0)
	v_mad_i64_i32 v[8:9], null, v15, s2, 0
	s_mul_i32 s1, s5, s8
	s_mul_hi_u32 s3, s4, s8
	s_mul_i32 s4, s4, s8
	s_add_i32 s5, s3, s1
	s_lshl_b64 s[4:5], s[4:5], 3
	v_lshlrev_b64 v[8:9], 3, v[8:9]
	s_add_u32 s3, s22, s4
	s_addc_u32 s4, s23, s5
	v_cmp_neq_f64_e64 s5, s[10:11], 0
	s_and_b32 s6, s0, vcc_lo
	v_add_co_u32 v16, s1, s3, v8
	v_add_co_ci_u32_e64 v17, null, s4, v9, s1
	v_cndmask_b32_e64 v14, 0, 1, s5
	s_and_saveexec_b32 s1, s6
	s_cbranch_execz .LBB37_14
; %bb.11:
	v_mul_f64 v[8:9], s[14:15], v[12:13]
	v_lshlrev_b64 v[10:11], 3, v[0:1]
	v_add_co_u32 v10, vcc_lo, v16, v10
	v_add_co_ci_u32_e64 v11, null, v17, v11, vcc_lo
	s_andn2_b32 vcc_lo, exec_lo, s5
	s_cbranch_vccnz .LBB37_13
; %bb.12:
	global_load_dwordx2 v[12:13], v[10:11], off
	s_waitcnt vmcnt(0)
	v_fma_f64 v[8:9], s[10:11], v[12:13], v[8:9]
.LBB37_13:
	global_store_dwordx2 v[10:11], v[8:9], off
.LBB37_14:
	s_or_b32 exec_lo, exec_lo, s1
	v_add_nc_u32_e32 v8, 16, v0
	v_cmp_le_i32_e32 vcc_lo, v8, v15
	v_ashrrev_i32_e32 v9, 31, v8
	s_and_b32 s0, s0, vcc_lo
	s_and_saveexec_b32 s1, s0
	s_cbranch_execz .LBB37_18
; %bb.15:
	v_mul_f64 v[6:7], s[14:15], v[6:7]
	v_lshlrev_b64 v[10:11], 3, v[8:9]
	v_cmp_ne_u32_e32 vcc_lo, 1, v14
	v_add_co_u32 v10, s0, v16, v10
	v_add_co_ci_u32_e64 v11, null, v17, v11, s0
	s_cbranch_vccnz .LBB37_17
; %bb.16:
	global_load_dwordx2 v[12:13], v[10:11], off
	s_waitcnt vmcnt(0)
	v_fma_f64 v[6:7], s[10:11], v[12:13], v[6:7]
.LBB37_17:
	global_store_dwordx2 v[10:11], v[6:7], off
.LBB37_18:
	s_or_b32 exec_lo, exec_lo, s1
	v_add_nc_u32_e32 v10, 16, v15
	v_mad_i64_i32 v[6:7], null, v10, s2, 0
	v_cmp_gt_i32_e64 s0, s20, v10
	v_cmp_le_i32_e32 vcc_lo, v0, v10
	v_lshlrev_b64 v[6:7], 3, v[6:7]
	v_add_co_u32 v6, s1, s3, v6
	v_add_co_ci_u32_e64 v7, null, s4, v7, s1
	s_and_b32 s1, s0, vcc_lo
	s_and_saveexec_b32 s2, s1
	s_cbranch_execz .LBB37_22
; %bb.19:
	v_mul_f64 v[4:5], s[14:15], v[4:5]
	v_lshlrev_b64 v[0:1], 3, v[0:1]
	v_cmp_ne_u32_e32 vcc_lo, 1, v14
	v_add_co_u32 v0, s1, v6, v0
	v_add_co_ci_u32_e64 v1, null, v7, v1, s1
	s_cbranch_vccnz .LBB37_21
; %bb.20:
	global_load_dwordx2 v[11:12], v[0:1], off
	s_waitcnt vmcnt(0)
	v_fma_f64 v[4:5], s[10:11], v[11:12], v[4:5]
.LBB37_21:
	global_store_dwordx2 v[0:1], v[4:5], off
.LBB37_22:
	s_or_b32 exec_lo, exec_lo, s2
	v_cmp_le_i32_e32 vcc_lo, v8, v10
	s_and_b32 s0, s0, vcc_lo
	s_and_saveexec_b32 s1, s0
	s_cbranch_execz .LBB37_26
; %bb.23:
	v_mul_f64 v[0:1], s[14:15], v[2:3]
	v_lshlrev_b64 v[2:3], 3, v[8:9]
	v_cmp_ne_u32_e32 vcc_lo, 1, v14
	v_add_co_u32 v2, s0, v6, v2
	v_add_co_ci_u32_e64 v3, null, v7, v3, s0
	s_cbranch_vccnz .LBB37_25
; %bb.24:
	global_load_dwordx2 v[4:5], v[2:3], off
	s_waitcnt vmcnt(0)
	v_fma_f64 v[0:1], s[10:11], v[4:5], v[0:1]
.LBB37_25:
	global_store_dwordx2 v[2:3], v[0:1], off
.LBB37_26:
	s_endpgm
	.section	.rodata,"a",@progbits
	.p2align	6, 0x0
	.amdhsa_kernel _ZL29rocblas_internal_gemmt_kernelIiLi16ELi32ELi8ELc78ELc84ELc85ELb0ELb0EdPKdS1_PdEviT_T9_T10_S3_lS5_S3_lS4_T11_S3_li
		.amdhsa_group_segment_fixed_size 4096
		.amdhsa_private_segment_fixed_size 0
		.amdhsa_kernarg_size 100
		.amdhsa_user_sgpr_count 6
		.amdhsa_user_sgpr_private_segment_buffer 1
		.amdhsa_user_sgpr_dispatch_ptr 0
		.amdhsa_user_sgpr_queue_ptr 0
		.amdhsa_user_sgpr_kernarg_segment_ptr 1
		.amdhsa_user_sgpr_dispatch_id 0
		.amdhsa_user_sgpr_flat_scratch_init 0
		.amdhsa_user_sgpr_private_segment_size 0
		.amdhsa_wavefront_size32 1
		.amdhsa_uses_dynamic_stack 0
		.amdhsa_system_sgpr_private_segment_wavefront_offset 0
		.amdhsa_system_sgpr_workgroup_id_x 1
		.amdhsa_system_sgpr_workgroup_id_y 1
		.amdhsa_system_sgpr_workgroup_id_z 1
		.amdhsa_system_sgpr_workgroup_info 0
		.amdhsa_system_vgpr_workitem_id 1
		.amdhsa_next_free_vgpr 44
		.amdhsa_next_free_sgpr 28
		.amdhsa_reserve_vcc 1
		.amdhsa_reserve_flat_scratch 0
		.amdhsa_float_round_mode_32 0
		.amdhsa_float_round_mode_16_64 0
		.amdhsa_float_denorm_mode_32 3
		.amdhsa_float_denorm_mode_16_64 3
		.amdhsa_dx10_clamp 1
		.amdhsa_ieee_mode 1
		.amdhsa_fp16_overflow 0
		.amdhsa_workgroup_processor_mode 1
		.amdhsa_memory_ordered 1
		.amdhsa_forward_progress 1
		.amdhsa_shared_vgpr_count 0
		.amdhsa_exception_fp_ieee_invalid_op 0
		.amdhsa_exception_fp_denorm_src 0
		.amdhsa_exception_fp_ieee_div_zero 0
		.amdhsa_exception_fp_ieee_overflow 0
		.amdhsa_exception_fp_ieee_underflow 0
		.amdhsa_exception_fp_ieee_inexact 0
		.amdhsa_exception_int_div_zero 0
	.end_amdhsa_kernel
	.section	.text._ZL29rocblas_internal_gemmt_kernelIiLi16ELi32ELi8ELc78ELc84ELc85ELb0ELb0EdPKdS1_PdEviT_T9_T10_S3_lS5_S3_lS4_T11_S3_li,"axG",@progbits,_ZL29rocblas_internal_gemmt_kernelIiLi16ELi32ELi8ELc78ELc84ELc85ELb0ELb0EdPKdS1_PdEviT_T9_T10_S3_lS5_S3_lS4_T11_S3_li,comdat
.Lfunc_end37:
	.size	_ZL29rocblas_internal_gemmt_kernelIiLi16ELi32ELi8ELc78ELc84ELc85ELb0ELb0EdPKdS1_PdEviT_T9_T10_S3_lS5_S3_lS4_T11_S3_li, .Lfunc_end37-_ZL29rocblas_internal_gemmt_kernelIiLi16ELi32ELi8ELc78ELc84ELc85ELb0ELb0EdPKdS1_PdEviT_T9_T10_S3_lS5_S3_lS4_T11_S3_li
                                        ; -- End function
	.set _ZL29rocblas_internal_gemmt_kernelIiLi16ELi32ELi8ELc78ELc84ELc85ELb0ELb0EdPKdS1_PdEviT_T9_T10_S3_lS5_S3_lS4_T11_S3_li.num_vgpr, 44
	.set _ZL29rocblas_internal_gemmt_kernelIiLi16ELi32ELi8ELc78ELc84ELc85ELb0ELb0EdPKdS1_PdEviT_T9_T10_S3_lS5_S3_lS4_T11_S3_li.num_agpr, 0
	.set _ZL29rocblas_internal_gemmt_kernelIiLi16ELi32ELi8ELc78ELc84ELc85ELb0ELb0EdPKdS1_PdEviT_T9_T10_S3_lS5_S3_lS4_T11_S3_li.numbered_sgpr, 28
	.set _ZL29rocblas_internal_gemmt_kernelIiLi16ELi32ELi8ELc78ELc84ELc85ELb0ELb0EdPKdS1_PdEviT_T9_T10_S3_lS5_S3_lS4_T11_S3_li.num_named_barrier, 0
	.set _ZL29rocblas_internal_gemmt_kernelIiLi16ELi32ELi8ELc78ELc84ELc85ELb0ELb0EdPKdS1_PdEviT_T9_T10_S3_lS5_S3_lS4_T11_S3_li.private_seg_size, 0
	.set _ZL29rocblas_internal_gemmt_kernelIiLi16ELi32ELi8ELc78ELc84ELc85ELb0ELb0EdPKdS1_PdEviT_T9_T10_S3_lS5_S3_lS4_T11_S3_li.uses_vcc, 1
	.set _ZL29rocblas_internal_gemmt_kernelIiLi16ELi32ELi8ELc78ELc84ELc85ELb0ELb0EdPKdS1_PdEviT_T9_T10_S3_lS5_S3_lS4_T11_S3_li.uses_flat_scratch, 0
	.set _ZL29rocblas_internal_gemmt_kernelIiLi16ELi32ELi8ELc78ELc84ELc85ELb0ELb0EdPKdS1_PdEviT_T9_T10_S3_lS5_S3_lS4_T11_S3_li.has_dyn_sized_stack, 0
	.set _ZL29rocblas_internal_gemmt_kernelIiLi16ELi32ELi8ELc78ELc84ELc85ELb0ELb0EdPKdS1_PdEviT_T9_T10_S3_lS5_S3_lS4_T11_S3_li.has_recursion, 0
	.set _ZL29rocblas_internal_gemmt_kernelIiLi16ELi32ELi8ELc78ELc84ELc85ELb0ELb0EdPKdS1_PdEviT_T9_T10_S3_lS5_S3_lS4_T11_S3_li.has_indirect_call, 0
	.section	.AMDGPU.csdata,"",@progbits
; Kernel info:
; codeLenInByte = 1688
; TotalNumSgprs: 30
; NumVgprs: 44
; ScratchSize: 0
; MemoryBound: 0
; FloatMode: 240
; IeeeMode: 1
; LDSByteSize: 4096 bytes/workgroup (compile time only)
; SGPRBlocks: 0
; VGPRBlocks: 5
; NumSGPRsForWavesPerEU: 30
; NumVGPRsForWavesPerEU: 44
; Occupancy: 16
; WaveLimiterHint : 0
; COMPUTE_PGM_RSRC2:SCRATCH_EN: 0
; COMPUTE_PGM_RSRC2:USER_SGPR: 6
; COMPUTE_PGM_RSRC2:TRAP_HANDLER: 0
; COMPUTE_PGM_RSRC2:TGID_X_EN: 1
; COMPUTE_PGM_RSRC2:TGID_Y_EN: 1
; COMPUTE_PGM_RSRC2:TGID_Z_EN: 1
; COMPUTE_PGM_RSRC2:TIDIG_COMP_CNT: 1
	.section	.text._ZL29rocblas_internal_gemmt_kernelIiLi16ELi32ELi8ELc78ELc67ELc85ELb0ELb0EdPKdS1_PdEviT_T9_T10_S3_lS5_S3_lS4_T11_S3_li,"axG",@progbits,_ZL29rocblas_internal_gemmt_kernelIiLi16ELi32ELi8ELc78ELc67ELc85ELb0ELb0EdPKdS1_PdEviT_T9_T10_S3_lS5_S3_lS4_T11_S3_li,comdat
	.globl	_ZL29rocblas_internal_gemmt_kernelIiLi16ELi32ELi8ELc78ELc67ELc85ELb0ELb0EdPKdS1_PdEviT_T9_T10_S3_lS5_S3_lS4_T11_S3_li ; -- Begin function _ZL29rocblas_internal_gemmt_kernelIiLi16ELi32ELi8ELc78ELc67ELc85ELb0ELb0EdPKdS1_PdEviT_T9_T10_S3_lS5_S3_lS4_T11_S3_li
	.p2align	8
	.type	_ZL29rocblas_internal_gemmt_kernelIiLi16ELi32ELi8ELc78ELc67ELc85ELb0ELb0EdPKdS1_PdEviT_T9_T10_S3_lS5_S3_lS4_T11_S3_li,@function
_ZL29rocblas_internal_gemmt_kernelIiLi16ELi32ELi8ELc78ELc67ELc85ELb0ELb0EdPKdS1_PdEviT_T9_T10_S3_lS5_S3_lS4_T11_S3_li: ; @_ZL29rocblas_internal_gemmt_kernelIiLi16ELi32ELi8ELc78ELc67ELc85ELb0ELb0EdPKdS1_PdEviT_T9_T10_S3_lS5_S3_lS4_T11_S3_li
; %bb.0:
	s_load_dwordx4 s[12:15], s[4:5], 0x38
	s_waitcnt lgkmcnt(0)
	s_load_dwordx2 s[10:11], s[14:15], 0x0
	s_clause 0x1
	s_load_dwordx4 s[0:3], s[4:5], 0x8
	s_load_dwordx2 s[20:21], s[4:5], 0x0
	s_waitcnt lgkmcnt(0)
	s_load_dwordx2 s[14:15], s[0:1], 0x0
	v_cmp_neq_f64_e64 s9, s[10:11], 1.0
	s_and_b32 vcc_lo, exec_lo, s9
	s_cbranch_vccnz .LBB38_2
; %bb.1:
	s_waitcnt lgkmcnt(0)
	v_cmp_neq_f64_e64 s0, s[14:15], 0
	s_cmp_lg_u32 s21, 0
	s_cselect_b32 s1, -1, 0
	s_and_b32 s9, s1, s0
.LBB38_2:
	s_andn2_b32 vcc_lo, exec_lo, s9
	s_cbranch_vccnz .LBB38_26
; %bb.3:
	s_waitcnt lgkmcnt(0)
	v_cmp_eq_f64_e64 s0, s[14:15], 0
	s_load_dwordx2 s[22:23], s[4:5], 0x48
	s_lshl_b32 s9, s6, 5
	s_lshl_b32 s24, s7, 5
	s_cmp_lt_i32 s21, 1
	v_mov_b32_e32 v12, 0
	s_cselect_b32 s1, -1, 0
	v_mov_b32_e32 v6, 0
	v_mov_b32_e32 v4, 0
	;; [unrolled: 1-line block ×7, first 2 shown]
	s_mov_b32 s25, 0
	s_or_b32 s0, s0, s1
	s_and_b32 vcc_lo, exec_lo, s0
	s_cbranch_vccnz .LBB38_10
; %bb.4:
	s_clause 0x2
	s_load_dword s6, s[4:5], 0x18
	s_load_dwordx4 s[16:19], s[4:5], 0x20
	s_load_dword s26, s[4:5], 0x30
	v_lshl_add_u32 v2, v1, 4, v0
	v_and_b32_e32 v18, 7, v0
	s_mul_i32 s13, s13, s8
	s_mul_hi_u32 s27, s12, s8
	s_mul_i32 s12, s12, s8
	v_and_b32_e32 v6, 31, v2
	v_lshrrev_b32_e32 v3, 3, v2
	v_lshlrev_b32_e32 v4, 3, v18
	v_lshrrev_b32_e32 v19, 5, v2
	s_add_i32 s13, s27, s13
	v_or_b32_e32 v5, s9, v6
	v_add_nc_u32_e32 v2, s24, v3
	v_lshl_or_b32 v3, v3, 6, v4
	v_lshlrev_b32_e32 v7, 3, v6
	v_add_nc_u32_e32 v6, s9, v6
	v_cmp_gt_i32_e32 vcc_lo, s20, v5
	s_lshl_b64 s[12:13], s[12:13], 3
	s_waitcnt lgkmcnt(0)
	v_mad_i64_i32 v[4:5], null, v19, s6, 0
	s_mul_i32 s1, s17, s8
	s_mul_hi_u32 s17, s16, s8
	v_mad_i64_i32 v[8:9], null, s26, v18, 0
	v_lshl_or_b32 v20, v19, 8, v7
	v_ashrrev_i32_e32 v7, 31, v6
	v_lshlrev_b64 v[4:5], 3, v[4:5]
	s_add_i32 s17, s17, s1
	s_mul_i32 s16, s16, s8
	v_add_nc_u32_e32 v21, 0x800, v3
	s_lshl_b64 s[16:17], s[16:17], 3
	v_lshlrev_b64 v[6:7], 3, v[6:7]
	v_add_co_u32 v10, s1, v4, s16
	v_ashrrev_i32_e32 v3, 31, v2
	v_add_co_ci_u32_e64 v11, null, s17, v5, s1
	v_lshlrev_b64 v[4:5], 3, v[8:9]
	v_add_co_u32 v6, s1, v10, v6
	v_cmp_gt_i32_e64 s0, s20, v2
	v_lshlrev_b64 v[2:3], 3, v[2:3]
	v_add_co_ci_u32_e64 v7, null, v11, v7, s1
	v_add_co_u32 v4, s1, s12, v4
	v_add_co_ci_u32_e64 v5, null, s13, v5, s1
	v_add_co_u32 v8, s1, s2, v6
	;; [unrolled: 2-line block ×3, first 2 shown]
	v_add_co_ci_u32_e64 v11, null, v5, v3, s1
	v_mov_b32_e32 v2, 0
	v_add_co_u32 v10, s1, s18, v10
	v_mov_b32_e32 v4, 0
	v_mov_b32_e32 v6, 0
	;; [unrolled: 1-line block ×3, first 2 shown]
	v_lshlrev_b32_e32 v22, 3, v0
	v_lshl_add_u32 v23, v1, 6, 0x800
	v_mov_b32_e32 v3, 0
	v_mov_b32_e32 v5, 0
	;; [unrolled: 1-line block ×4, first 2 shown]
	v_add_co_ci_u32_e64 v11, null, s19, v11, s1
	s_ashr_i32 s7, s6, 31
	s_ashr_i32 s27, s26, 31
	s_lshl_b64 s[2:3], s[6:7], 6
	s_lshl_b64 s[6:7], s[26:27], 6
	s_branch .LBB38_6
.LBB38_5:                               ;   in Loop: Header=BB38_6 Depth=1
	s_or_b32 exec_lo, exec_lo, s1
	s_waitcnt vmcnt(0)
	ds_write_b64 v21, v[16:17]
	s_waitcnt lgkmcnt(0)
	s_barrier
	buffer_gl0_inv
	ds_read_b128 v[14:17], v23
	ds_read2_b64 v[24:27], v22 offset1:16
	ds_read_b128 v[28:31], v23 offset:1024
	ds_read_b128 v[32:35], v23 offset:16
	ds_read2_b64 v[36:39], v22 offset0:32 offset1:48
	ds_read_b128 v[40:43], v23 offset:1040
	v_add_co_u32 v8, s1, v8, s2
	v_add_co_ci_u32_e64 v9, null, s3, v9, s1
	v_add_co_u32 v10, s1, v10, s6
	v_add_co_ci_u32_e64 v11, null, s7, v11, s1
	s_add_i32 s25, s25, 8
	s_cmp_lt_i32 s25, s21
	s_waitcnt lgkmcnt(4)
	v_fma_f64 v[12:13], v[24:25], v[14:15], v[12:13]
	v_fma_f64 v[6:7], v[26:27], v[14:15], v[6:7]
	s_waitcnt lgkmcnt(3)
	v_fma_f64 v[14:15], v[24:25], v[28:29], v[4:5]
	v_fma_f64 v[24:25], v[26:27], v[28:29], v[2:3]
	ds_read2_b64 v[2:5], v22 offset0:64 offset1:80
	s_waitcnt lgkmcnt(2)
	v_fma_f64 v[26:27], v[36:37], v[16:17], v[12:13]
	v_fma_f64 v[6:7], v[38:39], v[16:17], v[6:7]
	;; [unrolled: 1-line block ×4, first 2 shown]
	ds_read2_b64 v[12:15], v22 offset0:96 offset1:112
	s_waitcnt lgkmcnt(1)
	v_fma_f64 v[28:29], v[2:3], v[32:33], v[26:27]
	v_fma_f64 v[6:7], v[4:5], v[32:33], v[6:7]
	v_fma_f64 v[16:17], v[2:3], v[40:41], v[16:17]
	v_fma_f64 v[30:31], v[4:5], v[40:41], v[24:25]
	ds_read_b128 v[2:5], v23 offset:32
	ds_read2_b64 v[24:27], v22 offset0:128 offset1:144
	s_waitcnt lgkmcnt(2)
	v_fma_f64 v[40:41], v[12:13], v[34:35], v[28:29]
	v_fma_f64 v[6:7], v[14:15], v[34:35], v[6:7]
	v_fma_f64 v[16:17], v[12:13], v[42:43], v[16:17]
	v_fma_f64 v[42:43], v[14:15], v[42:43], v[30:31]
	ds_read_b128 v[12:15], v23 offset:1056
	ds_read_b128 v[28:31], v23 offset:48
	ds_read2_b64 v[32:35], v22 offset0:160 offset1:176
	ds_read_b128 v[36:39], v23 offset:1072
	s_waitcnt lgkmcnt(4)
	v_fma_f64 v[40:41], v[24:25], v[2:3], v[40:41]
	v_fma_f64 v[2:3], v[26:27], v[2:3], v[6:7]
	s_waitcnt lgkmcnt(3)
	v_fma_f64 v[6:7], v[24:25], v[12:13], v[16:17]
	v_fma_f64 v[12:13], v[26:27], v[12:13], v[42:43]
	ds_read2_b64 v[24:27], v22 offset0:192 offset1:208
	s_waitcnt lgkmcnt(2)
	v_fma_f64 v[40:41], v[32:33], v[4:5], v[40:41]
	v_fma_f64 v[2:3], v[34:35], v[4:5], v[2:3]
	;; [unrolled: 1-line block ×4, first 2 shown]
	ds_read2_b64 v[14:17], v22 offset0:224 offset1:240
	s_waitcnt lgkmcnt(0)
	s_barrier
	buffer_gl0_inv
	v_fma_f64 v[12:13], v[24:25], v[28:29], v[40:41]
	v_fma_f64 v[2:3], v[26:27], v[28:29], v[2:3]
	;; [unrolled: 1-line block ×8, first 2 shown]
	s_cbranch_scc0 .LBB38_10
.LBB38_6:                               ; =>This Inner Loop Header: Depth=1
	v_add_nc_u32_e32 v14, s25, v19
	v_cmp_gt_i32_e64 s1, s21, v14
	v_mov_b32_e32 v14, 0
	v_mov_b32_e32 v15, 0
	s_and_b32 s12, vcc_lo, s1
	s_and_saveexec_b32 s1, s12
	s_cbranch_execz .LBB38_8
; %bb.7:                                ;   in Loop: Header=BB38_6 Depth=1
	global_load_dwordx2 v[14:15], v[8:9], off
.LBB38_8:                               ;   in Loop: Header=BB38_6 Depth=1
	s_or_b32 exec_lo, exec_lo, s1
	v_add_nc_u32_e32 v16, s25, v18
	s_waitcnt vmcnt(0)
	ds_write_b64 v20, v[14:15]
	v_cmp_gt_i32_e64 s1, s21, v16
	v_mov_b32_e32 v16, 0
	v_mov_b32_e32 v17, 0
	s_and_b32 s12, s1, s0
	s_and_saveexec_b32 s1, s12
	s_cbranch_execz .LBB38_5
; %bb.9:                                ;   in Loop: Header=BB38_6 Depth=1
	global_load_dwordx2 v[16:17], v[10:11], off
	s_branch .LBB38_5
.LBB38_10:
	s_clause 0x1
	s_load_dword s2, s[4:5], 0x50
	s_load_dwordx2 s[4:5], s[4:5], 0x58
	v_add_nc_u32_e32 v15, s24, v1
	v_add_nc_u32_e32 v0, s9, v0
	v_cmp_gt_i32_e64 s0, s20, v15
	v_cmp_le_i32_e32 vcc_lo, v0, v15
	v_ashrrev_i32_e32 v1, 31, v0
	s_waitcnt lgkmcnt(0)
	v_mad_i64_i32 v[8:9], null, v15, s2, 0
	s_mul_i32 s1, s5, s8
	s_mul_hi_u32 s3, s4, s8
	s_mul_i32 s4, s4, s8
	s_add_i32 s5, s3, s1
	s_lshl_b64 s[4:5], s[4:5], 3
	v_lshlrev_b64 v[8:9], 3, v[8:9]
	s_add_u32 s3, s22, s4
	s_addc_u32 s4, s23, s5
	v_cmp_neq_f64_e64 s5, s[10:11], 0
	s_and_b32 s6, s0, vcc_lo
	v_add_co_u32 v16, s1, s3, v8
	v_add_co_ci_u32_e64 v17, null, s4, v9, s1
	v_cndmask_b32_e64 v14, 0, 1, s5
	s_and_saveexec_b32 s1, s6
	s_cbranch_execz .LBB38_14
; %bb.11:
	v_mul_f64 v[8:9], s[14:15], v[12:13]
	v_lshlrev_b64 v[10:11], 3, v[0:1]
	v_add_co_u32 v10, vcc_lo, v16, v10
	v_add_co_ci_u32_e64 v11, null, v17, v11, vcc_lo
	s_andn2_b32 vcc_lo, exec_lo, s5
	s_cbranch_vccnz .LBB38_13
; %bb.12:
	global_load_dwordx2 v[12:13], v[10:11], off
	s_waitcnt vmcnt(0)
	v_fma_f64 v[8:9], s[10:11], v[12:13], v[8:9]
.LBB38_13:
	global_store_dwordx2 v[10:11], v[8:9], off
.LBB38_14:
	s_or_b32 exec_lo, exec_lo, s1
	v_add_nc_u32_e32 v8, 16, v0
	v_cmp_le_i32_e32 vcc_lo, v8, v15
	v_ashrrev_i32_e32 v9, 31, v8
	s_and_b32 s0, s0, vcc_lo
	s_and_saveexec_b32 s1, s0
	s_cbranch_execz .LBB38_18
; %bb.15:
	v_mul_f64 v[6:7], s[14:15], v[6:7]
	v_lshlrev_b64 v[10:11], 3, v[8:9]
	v_cmp_ne_u32_e32 vcc_lo, 1, v14
	v_add_co_u32 v10, s0, v16, v10
	v_add_co_ci_u32_e64 v11, null, v17, v11, s0
	s_cbranch_vccnz .LBB38_17
; %bb.16:
	global_load_dwordx2 v[12:13], v[10:11], off
	s_waitcnt vmcnt(0)
	v_fma_f64 v[6:7], s[10:11], v[12:13], v[6:7]
.LBB38_17:
	global_store_dwordx2 v[10:11], v[6:7], off
.LBB38_18:
	s_or_b32 exec_lo, exec_lo, s1
	v_add_nc_u32_e32 v10, 16, v15
	v_mad_i64_i32 v[6:7], null, v10, s2, 0
	v_cmp_gt_i32_e64 s0, s20, v10
	v_cmp_le_i32_e32 vcc_lo, v0, v10
	v_lshlrev_b64 v[6:7], 3, v[6:7]
	v_add_co_u32 v6, s1, s3, v6
	v_add_co_ci_u32_e64 v7, null, s4, v7, s1
	s_and_b32 s1, s0, vcc_lo
	s_and_saveexec_b32 s2, s1
	s_cbranch_execz .LBB38_22
; %bb.19:
	v_mul_f64 v[4:5], s[14:15], v[4:5]
	v_lshlrev_b64 v[0:1], 3, v[0:1]
	v_cmp_ne_u32_e32 vcc_lo, 1, v14
	v_add_co_u32 v0, s1, v6, v0
	v_add_co_ci_u32_e64 v1, null, v7, v1, s1
	s_cbranch_vccnz .LBB38_21
; %bb.20:
	global_load_dwordx2 v[11:12], v[0:1], off
	s_waitcnt vmcnt(0)
	v_fma_f64 v[4:5], s[10:11], v[11:12], v[4:5]
.LBB38_21:
	global_store_dwordx2 v[0:1], v[4:5], off
.LBB38_22:
	s_or_b32 exec_lo, exec_lo, s2
	v_cmp_le_i32_e32 vcc_lo, v8, v10
	s_and_b32 s0, s0, vcc_lo
	s_and_saveexec_b32 s1, s0
	s_cbranch_execz .LBB38_26
; %bb.23:
	v_mul_f64 v[0:1], s[14:15], v[2:3]
	v_lshlrev_b64 v[2:3], 3, v[8:9]
	v_cmp_ne_u32_e32 vcc_lo, 1, v14
	v_add_co_u32 v2, s0, v6, v2
	v_add_co_ci_u32_e64 v3, null, v7, v3, s0
	s_cbranch_vccnz .LBB38_25
; %bb.24:
	global_load_dwordx2 v[4:5], v[2:3], off
	s_waitcnt vmcnt(0)
	v_fma_f64 v[0:1], s[10:11], v[4:5], v[0:1]
.LBB38_25:
	global_store_dwordx2 v[2:3], v[0:1], off
.LBB38_26:
	s_endpgm
	.section	.rodata,"a",@progbits
	.p2align	6, 0x0
	.amdhsa_kernel _ZL29rocblas_internal_gemmt_kernelIiLi16ELi32ELi8ELc78ELc67ELc85ELb0ELb0EdPKdS1_PdEviT_T9_T10_S3_lS5_S3_lS4_T11_S3_li
		.amdhsa_group_segment_fixed_size 4096
		.amdhsa_private_segment_fixed_size 0
		.amdhsa_kernarg_size 100
		.amdhsa_user_sgpr_count 6
		.amdhsa_user_sgpr_private_segment_buffer 1
		.amdhsa_user_sgpr_dispatch_ptr 0
		.amdhsa_user_sgpr_queue_ptr 0
		.amdhsa_user_sgpr_kernarg_segment_ptr 1
		.amdhsa_user_sgpr_dispatch_id 0
		.amdhsa_user_sgpr_flat_scratch_init 0
		.amdhsa_user_sgpr_private_segment_size 0
		.amdhsa_wavefront_size32 1
		.amdhsa_uses_dynamic_stack 0
		.amdhsa_system_sgpr_private_segment_wavefront_offset 0
		.amdhsa_system_sgpr_workgroup_id_x 1
		.amdhsa_system_sgpr_workgroup_id_y 1
		.amdhsa_system_sgpr_workgroup_id_z 1
		.amdhsa_system_sgpr_workgroup_info 0
		.amdhsa_system_vgpr_workitem_id 1
		.amdhsa_next_free_vgpr 44
		.amdhsa_next_free_sgpr 28
		.amdhsa_reserve_vcc 1
		.amdhsa_reserve_flat_scratch 0
		.amdhsa_float_round_mode_32 0
		.amdhsa_float_round_mode_16_64 0
		.amdhsa_float_denorm_mode_32 3
		.amdhsa_float_denorm_mode_16_64 3
		.amdhsa_dx10_clamp 1
		.amdhsa_ieee_mode 1
		.amdhsa_fp16_overflow 0
		.amdhsa_workgroup_processor_mode 1
		.amdhsa_memory_ordered 1
		.amdhsa_forward_progress 1
		.amdhsa_shared_vgpr_count 0
		.amdhsa_exception_fp_ieee_invalid_op 0
		.amdhsa_exception_fp_denorm_src 0
		.amdhsa_exception_fp_ieee_div_zero 0
		.amdhsa_exception_fp_ieee_overflow 0
		.amdhsa_exception_fp_ieee_underflow 0
		.amdhsa_exception_fp_ieee_inexact 0
		.amdhsa_exception_int_div_zero 0
	.end_amdhsa_kernel
	.section	.text._ZL29rocblas_internal_gemmt_kernelIiLi16ELi32ELi8ELc78ELc67ELc85ELb0ELb0EdPKdS1_PdEviT_T9_T10_S3_lS5_S3_lS4_T11_S3_li,"axG",@progbits,_ZL29rocblas_internal_gemmt_kernelIiLi16ELi32ELi8ELc78ELc67ELc85ELb0ELb0EdPKdS1_PdEviT_T9_T10_S3_lS5_S3_lS4_T11_S3_li,comdat
.Lfunc_end38:
	.size	_ZL29rocblas_internal_gemmt_kernelIiLi16ELi32ELi8ELc78ELc67ELc85ELb0ELb0EdPKdS1_PdEviT_T9_T10_S3_lS5_S3_lS4_T11_S3_li, .Lfunc_end38-_ZL29rocblas_internal_gemmt_kernelIiLi16ELi32ELi8ELc78ELc67ELc85ELb0ELb0EdPKdS1_PdEviT_T9_T10_S3_lS5_S3_lS4_T11_S3_li
                                        ; -- End function
	.set _ZL29rocblas_internal_gemmt_kernelIiLi16ELi32ELi8ELc78ELc67ELc85ELb0ELb0EdPKdS1_PdEviT_T9_T10_S3_lS5_S3_lS4_T11_S3_li.num_vgpr, 44
	.set _ZL29rocblas_internal_gemmt_kernelIiLi16ELi32ELi8ELc78ELc67ELc85ELb0ELb0EdPKdS1_PdEviT_T9_T10_S3_lS5_S3_lS4_T11_S3_li.num_agpr, 0
	.set _ZL29rocblas_internal_gemmt_kernelIiLi16ELi32ELi8ELc78ELc67ELc85ELb0ELb0EdPKdS1_PdEviT_T9_T10_S3_lS5_S3_lS4_T11_S3_li.numbered_sgpr, 28
	.set _ZL29rocblas_internal_gemmt_kernelIiLi16ELi32ELi8ELc78ELc67ELc85ELb0ELb0EdPKdS1_PdEviT_T9_T10_S3_lS5_S3_lS4_T11_S3_li.num_named_barrier, 0
	.set _ZL29rocblas_internal_gemmt_kernelIiLi16ELi32ELi8ELc78ELc67ELc85ELb0ELb0EdPKdS1_PdEviT_T9_T10_S3_lS5_S3_lS4_T11_S3_li.private_seg_size, 0
	.set _ZL29rocblas_internal_gemmt_kernelIiLi16ELi32ELi8ELc78ELc67ELc85ELb0ELb0EdPKdS1_PdEviT_T9_T10_S3_lS5_S3_lS4_T11_S3_li.uses_vcc, 1
	.set _ZL29rocblas_internal_gemmt_kernelIiLi16ELi32ELi8ELc78ELc67ELc85ELb0ELb0EdPKdS1_PdEviT_T9_T10_S3_lS5_S3_lS4_T11_S3_li.uses_flat_scratch, 0
	.set _ZL29rocblas_internal_gemmt_kernelIiLi16ELi32ELi8ELc78ELc67ELc85ELb0ELb0EdPKdS1_PdEviT_T9_T10_S3_lS5_S3_lS4_T11_S3_li.has_dyn_sized_stack, 0
	.set _ZL29rocblas_internal_gemmt_kernelIiLi16ELi32ELi8ELc78ELc67ELc85ELb0ELb0EdPKdS1_PdEviT_T9_T10_S3_lS5_S3_lS4_T11_S3_li.has_recursion, 0
	.set _ZL29rocblas_internal_gemmt_kernelIiLi16ELi32ELi8ELc78ELc67ELc85ELb0ELb0EdPKdS1_PdEviT_T9_T10_S3_lS5_S3_lS4_T11_S3_li.has_indirect_call, 0
	.section	.AMDGPU.csdata,"",@progbits
; Kernel info:
; codeLenInByte = 1688
; TotalNumSgprs: 30
; NumVgprs: 44
; ScratchSize: 0
; MemoryBound: 0
; FloatMode: 240
; IeeeMode: 1
; LDSByteSize: 4096 bytes/workgroup (compile time only)
; SGPRBlocks: 0
; VGPRBlocks: 5
; NumSGPRsForWavesPerEU: 30
; NumVGPRsForWavesPerEU: 44
; Occupancy: 16
; WaveLimiterHint : 0
; COMPUTE_PGM_RSRC2:SCRATCH_EN: 0
; COMPUTE_PGM_RSRC2:USER_SGPR: 6
; COMPUTE_PGM_RSRC2:TRAP_HANDLER: 0
; COMPUTE_PGM_RSRC2:TGID_X_EN: 1
; COMPUTE_PGM_RSRC2:TGID_Y_EN: 1
; COMPUTE_PGM_RSRC2:TGID_Z_EN: 1
; COMPUTE_PGM_RSRC2:TIDIG_COMP_CNT: 1
	.section	.text._ZL29rocblas_internal_gemmt_kernelIiLi16ELi32ELi8ELc84ELc78ELc85ELb0ELb0EdPKdS1_PdEviT_T9_T10_S3_lS5_S3_lS4_T11_S3_li,"axG",@progbits,_ZL29rocblas_internal_gemmt_kernelIiLi16ELi32ELi8ELc84ELc78ELc85ELb0ELb0EdPKdS1_PdEviT_T9_T10_S3_lS5_S3_lS4_T11_S3_li,comdat
	.globl	_ZL29rocblas_internal_gemmt_kernelIiLi16ELi32ELi8ELc84ELc78ELc85ELb0ELb0EdPKdS1_PdEviT_T9_T10_S3_lS5_S3_lS4_T11_S3_li ; -- Begin function _ZL29rocblas_internal_gemmt_kernelIiLi16ELi32ELi8ELc84ELc78ELc85ELb0ELb0EdPKdS1_PdEviT_T9_T10_S3_lS5_S3_lS4_T11_S3_li
	.p2align	8
	.type	_ZL29rocblas_internal_gemmt_kernelIiLi16ELi32ELi8ELc84ELc78ELc85ELb0ELb0EdPKdS1_PdEviT_T9_T10_S3_lS5_S3_lS4_T11_S3_li,@function
_ZL29rocblas_internal_gemmt_kernelIiLi16ELi32ELi8ELc84ELc78ELc85ELb0ELb0EdPKdS1_PdEviT_T9_T10_S3_lS5_S3_lS4_T11_S3_li: ; @_ZL29rocblas_internal_gemmt_kernelIiLi16ELi32ELi8ELc84ELc78ELc85ELb0ELb0EdPKdS1_PdEviT_T9_T10_S3_lS5_S3_lS4_T11_S3_li
; %bb.0:
	s_load_dwordx4 s[12:15], s[4:5], 0x38
	s_waitcnt lgkmcnt(0)
	s_load_dwordx2 s[10:11], s[14:15], 0x0
	s_clause 0x1
	s_load_dwordx4 s[0:3], s[4:5], 0x8
	s_load_dwordx2 s[20:21], s[4:5], 0x0
	s_waitcnt lgkmcnt(0)
	s_load_dwordx2 s[14:15], s[0:1], 0x0
	v_cmp_neq_f64_e64 s9, s[10:11], 1.0
	s_and_b32 vcc_lo, exec_lo, s9
	s_cbranch_vccnz .LBB39_2
; %bb.1:
	s_waitcnt lgkmcnt(0)
	v_cmp_neq_f64_e64 s0, s[14:15], 0
	s_cmp_lg_u32 s21, 0
	s_cselect_b32 s1, -1, 0
	s_and_b32 s9, s1, s0
.LBB39_2:
	s_andn2_b32 vcc_lo, exec_lo, s9
	s_cbranch_vccnz .LBB39_26
; %bb.3:
	s_waitcnt lgkmcnt(0)
	v_cmp_eq_f64_e64 s0, s[14:15], 0
	s_load_dwordx2 s[22:23], s[4:5], 0x48
	s_lshl_b32 s6, s6, 5
	s_lshl_b32 s7, s7, 5
	s_cmp_lt_i32 s21, 1
	v_mov_b32_e32 v12, 0
	s_cselect_b32 s1, -1, 0
	v_mov_b32_e32 v6, 0
	v_mov_b32_e32 v4, 0
	v_mov_b32_e32 v2, 0
	v_mov_b32_e32 v13, 0
	v_mov_b32_e32 v7, 0
	v_mov_b32_e32 v5, 0
	v_mov_b32_e32 v3, 0
	s_mov_b32 s9, 0
	s_or_b32 s0, s0, s1
	s_and_b32 vcc_lo, exec_lo, s0
	s_cbranch_vccnz .LBB39_10
; %bb.4:
	s_load_dword s0, s[4:5], 0x18
	v_lshl_add_u32 v2, v1, 4, v0
	s_clause 0x1
	s_load_dwordx4 s[16:19], s[4:5], 0x20
	s_load_dword s1, s[4:5], 0x30
	v_and_b32_e32 v18, 7, v0
	v_mov_b32_e32 v12, 0
	v_lshlrev_b32_e32 v19, 3, v0
	v_and_b32_e32 v4, 31, v2
	v_lshrrev_b32_e32 v3, 3, v2
	v_lshrrev_b32_e32 v21, 5, v2
	v_lshlrev_b32_e32 v6, 3, v18
	v_lshl_add_u32 v20, v1, 6, 0x800
	v_add_nc_u32_e32 v2, s6, v4
	v_add_nc_u32_e32 v5, s7, v3
	v_or_b32_e32 v7, s6, v4
	v_lshl_or_b32 v8, v3, 6, v6
	v_lshlrev_b32_e32 v4, 3, v4
	v_lshlrev_b32_e32 v9, 3, v21
	v_mov_b32_e32 v13, 0
	v_cmp_gt_i32_e32 vcc_lo, s20, v7
	v_add_nc_u32_e32 v23, 0x800, v8
	s_waitcnt lgkmcnt(0)
	v_mad_i64_i32 v[2:3], null, s0, v2, 0
	v_lshl_or_b32 v22, v21, 8, v4
	v_cmp_gt_i32_e64 s0, s20, v5
	s_mul_i32 s17, s17, s8
	s_mul_hi_u32 s24, s16, s8
	v_mad_i64_i32 v[4:5], null, s1, v5, 0
	v_lshlrev_b64 v[2:3], 3, v[2:3]
	s_mul_i32 s16, s16, s8
	s_add_i32 s17, s24, s17
	s_lshl_b64 s[16:17], s[16:17], 3
	v_add_co_u32 v7, s1, v2, s16
	v_add_co_ci_u32_e64 v8, null, s17, v3, s1
	s_mul_i32 s1, s13, s8
	s_mul_hi_u32 s13, s12, s8
	v_lshlrev_b64 v[2:3], 3, v[4:5]
	s_add_i32 s13, s13, s1
	s_mul_i32 s12, s12, s8
	v_add_co_u32 v4, s1, v7, v9
	s_lshl_b64 s[12:13], s[12:13], 3
	v_add_co_ci_u32_e64 v5, null, 0, v8, s1
	v_add_co_u32 v2, s1, v2, s12
	v_add_co_ci_u32_e64 v3, null, s13, v3, s1
	v_add_co_u32 v8, s1, s2, v4
	v_add_co_ci_u32_e64 v9, null, s3, v5, s1
	v_add_co_u32 v10, s1, v2, v6
	v_add_co_ci_u32_e64 v11, null, 0, v3, s1
	v_mov_b32_e32 v2, 0
	v_add_co_u32 v10, s1, s18, v10
	v_mov_b32_e32 v4, 0
	v_mov_b32_e32 v6, 0
	;; [unrolled: 1-line block ×5, first 2 shown]
	v_add_co_ci_u32_e64 v11, null, s19, v11, s1
	s_branch .LBB39_6
.LBB39_5:                               ;   in Loop: Header=BB39_6 Depth=1
	s_or_b32 exec_lo, exec_lo, s1
	s_waitcnt vmcnt(0)
	ds_write_b64 v23, v[16:17]
	s_waitcnt lgkmcnt(0)
	s_barrier
	buffer_gl0_inv
	ds_read_b128 v[14:17], v20
	ds_read2_b64 v[24:27], v19 offset1:16
	ds_read_b128 v[28:31], v20 offset:1024
	ds_read_b128 v[32:35], v20 offset:16
	ds_read2_b64 v[36:39], v19 offset0:32 offset1:48
	ds_read_b128 v[40:43], v20 offset:1040
	v_add_co_u32 v8, s1, v8, 64
	v_add_co_ci_u32_e64 v9, null, 0, v9, s1
	v_add_co_u32 v10, s1, v10, 64
	v_add_co_ci_u32_e64 v11, null, 0, v11, s1
	s_add_i32 s9, s9, 8
	s_cmp_lt_i32 s9, s21
	s_waitcnt lgkmcnt(4)
	v_fma_f64 v[12:13], v[24:25], v[14:15], v[12:13]
	v_fma_f64 v[6:7], v[26:27], v[14:15], v[6:7]
	s_waitcnt lgkmcnt(3)
	v_fma_f64 v[14:15], v[24:25], v[28:29], v[4:5]
	v_fma_f64 v[24:25], v[26:27], v[28:29], v[2:3]
	ds_read2_b64 v[2:5], v19 offset0:64 offset1:80
	s_waitcnt lgkmcnt(2)
	v_fma_f64 v[26:27], v[36:37], v[16:17], v[12:13]
	v_fma_f64 v[6:7], v[38:39], v[16:17], v[6:7]
	;; [unrolled: 1-line block ×4, first 2 shown]
	ds_read2_b64 v[12:15], v19 offset0:96 offset1:112
	s_waitcnt lgkmcnt(1)
	v_fma_f64 v[28:29], v[2:3], v[32:33], v[26:27]
	v_fma_f64 v[6:7], v[4:5], v[32:33], v[6:7]
	;; [unrolled: 1-line block ×4, first 2 shown]
	ds_read_b128 v[2:5], v20 offset:32
	ds_read2_b64 v[24:27], v19 offset0:128 offset1:144
	s_waitcnt lgkmcnt(2)
	v_fma_f64 v[40:41], v[12:13], v[34:35], v[28:29]
	v_fma_f64 v[6:7], v[14:15], v[34:35], v[6:7]
	v_fma_f64 v[16:17], v[12:13], v[42:43], v[16:17]
	v_fma_f64 v[42:43], v[14:15], v[42:43], v[30:31]
	ds_read_b128 v[12:15], v20 offset:1056
	ds_read_b128 v[28:31], v20 offset:48
	ds_read2_b64 v[32:35], v19 offset0:160 offset1:176
	ds_read_b128 v[36:39], v20 offset:1072
	s_waitcnt lgkmcnt(4)
	v_fma_f64 v[40:41], v[24:25], v[2:3], v[40:41]
	v_fma_f64 v[2:3], v[26:27], v[2:3], v[6:7]
	s_waitcnt lgkmcnt(3)
	v_fma_f64 v[6:7], v[24:25], v[12:13], v[16:17]
	v_fma_f64 v[12:13], v[26:27], v[12:13], v[42:43]
	ds_read2_b64 v[24:27], v19 offset0:192 offset1:208
	s_waitcnt lgkmcnt(2)
	v_fma_f64 v[40:41], v[32:33], v[4:5], v[40:41]
	v_fma_f64 v[2:3], v[34:35], v[4:5], v[2:3]
	v_fma_f64 v[4:5], v[32:33], v[14:15], v[6:7]
	v_fma_f64 v[6:7], v[34:35], v[14:15], v[12:13]
	ds_read2_b64 v[14:17], v19 offset0:224 offset1:240
	s_waitcnt lgkmcnt(0)
	s_barrier
	buffer_gl0_inv
	v_fma_f64 v[12:13], v[24:25], v[28:29], v[40:41]
	v_fma_f64 v[2:3], v[26:27], v[28:29], v[2:3]
	;; [unrolled: 1-line block ×8, first 2 shown]
	s_cbranch_scc0 .LBB39_10
.LBB39_6:                               ; =>This Inner Loop Header: Depth=1
	v_add_nc_u32_e32 v14, s9, v21
	v_cmp_gt_i32_e64 s1, s21, v14
	v_mov_b32_e32 v14, 0
	v_mov_b32_e32 v15, 0
	s_and_b32 s2, vcc_lo, s1
	s_and_saveexec_b32 s1, s2
	s_cbranch_execz .LBB39_8
; %bb.7:                                ;   in Loop: Header=BB39_6 Depth=1
	global_load_dwordx2 v[14:15], v[8:9], off
.LBB39_8:                               ;   in Loop: Header=BB39_6 Depth=1
	s_or_b32 exec_lo, exec_lo, s1
	v_add_nc_u32_e32 v16, s9, v18
	s_waitcnt vmcnt(0)
	ds_write_b64 v22, v[14:15]
	v_cmp_gt_i32_e64 s1, s21, v16
	v_mov_b32_e32 v16, 0
	v_mov_b32_e32 v17, 0
	s_and_b32 s2, s1, s0
	s_and_saveexec_b32 s1, s2
	s_cbranch_execz .LBB39_5
; %bb.9:                                ;   in Loop: Header=BB39_6 Depth=1
	global_load_dwordx2 v[16:17], v[10:11], off
	s_branch .LBB39_5
.LBB39_10:
	s_clause 0x1
	s_load_dword s2, s[4:5], 0x50
	s_load_dwordx2 s[4:5], s[4:5], 0x58
	v_add_nc_u32_e32 v15, s7, v1
	v_add_nc_u32_e32 v0, s6, v0
	v_cmp_gt_i32_e64 s0, s20, v15
	v_cmp_le_i32_e32 vcc_lo, v0, v15
	v_ashrrev_i32_e32 v1, 31, v0
	s_waitcnt lgkmcnt(0)
	v_mad_i64_i32 v[8:9], null, v15, s2, 0
	s_mul_i32 s1, s5, s8
	s_mul_hi_u32 s3, s4, s8
	s_mul_i32 s4, s4, s8
	s_add_i32 s5, s3, s1
	s_lshl_b64 s[4:5], s[4:5], 3
	v_lshlrev_b64 v[8:9], 3, v[8:9]
	s_add_u32 s3, s22, s4
	s_addc_u32 s4, s23, s5
	v_cmp_neq_f64_e64 s5, s[10:11], 0
	s_and_b32 s6, s0, vcc_lo
	v_add_co_u32 v16, s1, s3, v8
	v_add_co_ci_u32_e64 v17, null, s4, v9, s1
	v_cndmask_b32_e64 v14, 0, 1, s5
	s_and_saveexec_b32 s1, s6
	s_cbranch_execz .LBB39_14
; %bb.11:
	v_mul_f64 v[8:9], s[14:15], v[12:13]
	v_lshlrev_b64 v[10:11], 3, v[0:1]
	v_add_co_u32 v10, vcc_lo, v16, v10
	v_add_co_ci_u32_e64 v11, null, v17, v11, vcc_lo
	s_andn2_b32 vcc_lo, exec_lo, s5
	s_cbranch_vccnz .LBB39_13
; %bb.12:
	global_load_dwordx2 v[12:13], v[10:11], off
	s_waitcnt vmcnt(0)
	v_fma_f64 v[8:9], s[10:11], v[12:13], v[8:9]
.LBB39_13:
	global_store_dwordx2 v[10:11], v[8:9], off
.LBB39_14:
	s_or_b32 exec_lo, exec_lo, s1
	v_add_nc_u32_e32 v8, 16, v0
	v_cmp_le_i32_e32 vcc_lo, v8, v15
	v_ashrrev_i32_e32 v9, 31, v8
	s_and_b32 s0, s0, vcc_lo
	s_and_saveexec_b32 s1, s0
	s_cbranch_execz .LBB39_18
; %bb.15:
	v_mul_f64 v[6:7], s[14:15], v[6:7]
	v_lshlrev_b64 v[10:11], 3, v[8:9]
	v_cmp_ne_u32_e32 vcc_lo, 1, v14
	v_add_co_u32 v10, s0, v16, v10
	v_add_co_ci_u32_e64 v11, null, v17, v11, s0
	s_cbranch_vccnz .LBB39_17
; %bb.16:
	global_load_dwordx2 v[12:13], v[10:11], off
	s_waitcnt vmcnt(0)
	v_fma_f64 v[6:7], s[10:11], v[12:13], v[6:7]
.LBB39_17:
	global_store_dwordx2 v[10:11], v[6:7], off
.LBB39_18:
	s_or_b32 exec_lo, exec_lo, s1
	v_add_nc_u32_e32 v10, 16, v15
	v_mad_i64_i32 v[6:7], null, v10, s2, 0
	v_cmp_gt_i32_e64 s0, s20, v10
	v_cmp_le_i32_e32 vcc_lo, v0, v10
	v_lshlrev_b64 v[6:7], 3, v[6:7]
	v_add_co_u32 v6, s1, s3, v6
	v_add_co_ci_u32_e64 v7, null, s4, v7, s1
	s_and_b32 s1, s0, vcc_lo
	s_and_saveexec_b32 s2, s1
	s_cbranch_execz .LBB39_22
; %bb.19:
	v_mul_f64 v[4:5], s[14:15], v[4:5]
	v_lshlrev_b64 v[0:1], 3, v[0:1]
	v_cmp_ne_u32_e32 vcc_lo, 1, v14
	v_add_co_u32 v0, s1, v6, v0
	v_add_co_ci_u32_e64 v1, null, v7, v1, s1
	s_cbranch_vccnz .LBB39_21
; %bb.20:
	global_load_dwordx2 v[11:12], v[0:1], off
	s_waitcnt vmcnt(0)
	v_fma_f64 v[4:5], s[10:11], v[11:12], v[4:5]
.LBB39_21:
	global_store_dwordx2 v[0:1], v[4:5], off
.LBB39_22:
	s_or_b32 exec_lo, exec_lo, s2
	v_cmp_le_i32_e32 vcc_lo, v8, v10
	s_and_b32 s0, s0, vcc_lo
	s_and_saveexec_b32 s1, s0
	s_cbranch_execz .LBB39_26
; %bb.23:
	v_mul_f64 v[0:1], s[14:15], v[2:3]
	v_lshlrev_b64 v[2:3], 3, v[8:9]
	v_cmp_ne_u32_e32 vcc_lo, 1, v14
	v_add_co_u32 v2, s0, v6, v2
	v_add_co_ci_u32_e64 v3, null, v7, v3, s0
	s_cbranch_vccnz .LBB39_25
; %bb.24:
	global_load_dwordx2 v[4:5], v[2:3], off
	s_waitcnt vmcnt(0)
	v_fma_f64 v[0:1], s[10:11], v[4:5], v[0:1]
.LBB39_25:
	global_store_dwordx2 v[2:3], v[0:1], off
.LBB39_26:
	s_endpgm
	.section	.rodata,"a",@progbits
	.p2align	6, 0x0
	.amdhsa_kernel _ZL29rocblas_internal_gemmt_kernelIiLi16ELi32ELi8ELc84ELc78ELc85ELb0ELb0EdPKdS1_PdEviT_T9_T10_S3_lS5_S3_lS4_T11_S3_li
		.amdhsa_group_segment_fixed_size 4096
		.amdhsa_private_segment_fixed_size 0
		.amdhsa_kernarg_size 100
		.amdhsa_user_sgpr_count 6
		.amdhsa_user_sgpr_private_segment_buffer 1
		.amdhsa_user_sgpr_dispatch_ptr 0
		.amdhsa_user_sgpr_queue_ptr 0
		.amdhsa_user_sgpr_kernarg_segment_ptr 1
		.amdhsa_user_sgpr_dispatch_id 0
		.amdhsa_user_sgpr_flat_scratch_init 0
		.amdhsa_user_sgpr_private_segment_size 0
		.amdhsa_wavefront_size32 1
		.amdhsa_uses_dynamic_stack 0
		.amdhsa_system_sgpr_private_segment_wavefront_offset 0
		.amdhsa_system_sgpr_workgroup_id_x 1
		.amdhsa_system_sgpr_workgroup_id_y 1
		.amdhsa_system_sgpr_workgroup_id_z 1
		.amdhsa_system_sgpr_workgroup_info 0
		.amdhsa_system_vgpr_workitem_id 1
		.amdhsa_next_free_vgpr 44
		.amdhsa_next_free_sgpr 25
		.amdhsa_reserve_vcc 1
		.amdhsa_reserve_flat_scratch 0
		.amdhsa_float_round_mode_32 0
		.amdhsa_float_round_mode_16_64 0
		.amdhsa_float_denorm_mode_32 3
		.amdhsa_float_denorm_mode_16_64 3
		.amdhsa_dx10_clamp 1
		.amdhsa_ieee_mode 1
		.amdhsa_fp16_overflow 0
		.amdhsa_workgroup_processor_mode 1
		.amdhsa_memory_ordered 1
		.amdhsa_forward_progress 1
		.amdhsa_shared_vgpr_count 0
		.amdhsa_exception_fp_ieee_invalid_op 0
		.amdhsa_exception_fp_denorm_src 0
		.amdhsa_exception_fp_ieee_div_zero 0
		.amdhsa_exception_fp_ieee_overflow 0
		.amdhsa_exception_fp_ieee_underflow 0
		.amdhsa_exception_fp_ieee_inexact 0
		.amdhsa_exception_int_div_zero 0
	.end_amdhsa_kernel
	.section	.text._ZL29rocblas_internal_gemmt_kernelIiLi16ELi32ELi8ELc84ELc78ELc85ELb0ELb0EdPKdS1_PdEviT_T9_T10_S3_lS5_S3_lS4_T11_S3_li,"axG",@progbits,_ZL29rocblas_internal_gemmt_kernelIiLi16ELi32ELi8ELc84ELc78ELc85ELb0ELb0EdPKdS1_PdEviT_T9_T10_S3_lS5_S3_lS4_T11_S3_li,comdat
.Lfunc_end39:
	.size	_ZL29rocblas_internal_gemmt_kernelIiLi16ELi32ELi8ELc84ELc78ELc85ELb0ELb0EdPKdS1_PdEviT_T9_T10_S3_lS5_S3_lS4_T11_S3_li, .Lfunc_end39-_ZL29rocblas_internal_gemmt_kernelIiLi16ELi32ELi8ELc84ELc78ELc85ELb0ELb0EdPKdS1_PdEviT_T9_T10_S3_lS5_S3_lS4_T11_S3_li
                                        ; -- End function
	.set _ZL29rocblas_internal_gemmt_kernelIiLi16ELi32ELi8ELc84ELc78ELc85ELb0ELb0EdPKdS1_PdEviT_T9_T10_S3_lS5_S3_lS4_T11_S3_li.num_vgpr, 44
	.set _ZL29rocblas_internal_gemmt_kernelIiLi16ELi32ELi8ELc84ELc78ELc85ELb0ELb0EdPKdS1_PdEviT_T9_T10_S3_lS5_S3_lS4_T11_S3_li.num_agpr, 0
	.set _ZL29rocblas_internal_gemmt_kernelIiLi16ELi32ELi8ELc84ELc78ELc85ELb0ELb0EdPKdS1_PdEviT_T9_T10_S3_lS5_S3_lS4_T11_S3_li.numbered_sgpr, 25
	.set _ZL29rocblas_internal_gemmt_kernelIiLi16ELi32ELi8ELc84ELc78ELc85ELb0ELb0EdPKdS1_PdEviT_T9_T10_S3_lS5_S3_lS4_T11_S3_li.num_named_barrier, 0
	.set _ZL29rocblas_internal_gemmt_kernelIiLi16ELi32ELi8ELc84ELc78ELc85ELb0ELb0EdPKdS1_PdEviT_T9_T10_S3_lS5_S3_lS4_T11_S3_li.private_seg_size, 0
	.set _ZL29rocblas_internal_gemmt_kernelIiLi16ELi32ELi8ELc84ELc78ELc85ELb0ELb0EdPKdS1_PdEviT_T9_T10_S3_lS5_S3_lS4_T11_S3_li.uses_vcc, 1
	.set _ZL29rocblas_internal_gemmt_kernelIiLi16ELi32ELi8ELc84ELc78ELc85ELb0ELb0EdPKdS1_PdEviT_T9_T10_S3_lS5_S3_lS4_T11_S3_li.uses_flat_scratch, 0
	.set _ZL29rocblas_internal_gemmt_kernelIiLi16ELi32ELi8ELc84ELc78ELc85ELb0ELb0EdPKdS1_PdEviT_T9_T10_S3_lS5_S3_lS4_T11_S3_li.has_dyn_sized_stack, 0
	.set _ZL29rocblas_internal_gemmt_kernelIiLi16ELi32ELi8ELc84ELc78ELc85ELb0ELb0EdPKdS1_PdEviT_T9_T10_S3_lS5_S3_lS4_T11_S3_li.has_recursion, 0
	.set _ZL29rocblas_internal_gemmt_kernelIiLi16ELi32ELi8ELc84ELc78ELc85ELb0ELb0EdPKdS1_PdEviT_T9_T10_S3_lS5_S3_lS4_T11_S3_li.has_indirect_call, 0
	.section	.AMDGPU.csdata,"",@progbits
; Kernel info:
; codeLenInByte = 1652
; TotalNumSgprs: 27
; NumVgprs: 44
; ScratchSize: 0
; MemoryBound: 0
; FloatMode: 240
; IeeeMode: 1
; LDSByteSize: 4096 bytes/workgroup (compile time only)
; SGPRBlocks: 0
; VGPRBlocks: 5
; NumSGPRsForWavesPerEU: 27
; NumVGPRsForWavesPerEU: 44
; Occupancy: 16
; WaveLimiterHint : 0
; COMPUTE_PGM_RSRC2:SCRATCH_EN: 0
; COMPUTE_PGM_RSRC2:USER_SGPR: 6
; COMPUTE_PGM_RSRC2:TRAP_HANDLER: 0
; COMPUTE_PGM_RSRC2:TGID_X_EN: 1
; COMPUTE_PGM_RSRC2:TGID_Y_EN: 1
; COMPUTE_PGM_RSRC2:TGID_Z_EN: 1
; COMPUTE_PGM_RSRC2:TIDIG_COMP_CNT: 1
	.section	.text._ZL29rocblas_internal_gemmt_kernelIiLi16ELi32ELi8ELc84ELc84ELc85ELb0ELb0EdPKdS1_PdEviT_T9_T10_S3_lS5_S3_lS4_T11_S3_li,"axG",@progbits,_ZL29rocblas_internal_gemmt_kernelIiLi16ELi32ELi8ELc84ELc84ELc85ELb0ELb0EdPKdS1_PdEviT_T9_T10_S3_lS5_S3_lS4_T11_S3_li,comdat
	.globl	_ZL29rocblas_internal_gemmt_kernelIiLi16ELi32ELi8ELc84ELc84ELc85ELb0ELb0EdPKdS1_PdEviT_T9_T10_S3_lS5_S3_lS4_T11_S3_li ; -- Begin function _ZL29rocblas_internal_gemmt_kernelIiLi16ELi32ELi8ELc84ELc84ELc85ELb0ELb0EdPKdS1_PdEviT_T9_T10_S3_lS5_S3_lS4_T11_S3_li
	.p2align	8
	.type	_ZL29rocblas_internal_gemmt_kernelIiLi16ELi32ELi8ELc84ELc84ELc85ELb0ELb0EdPKdS1_PdEviT_T9_T10_S3_lS5_S3_lS4_T11_S3_li,@function
_ZL29rocblas_internal_gemmt_kernelIiLi16ELi32ELi8ELc84ELc84ELc85ELb0ELb0EdPKdS1_PdEviT_T9_T10_S3_lS5_S3_lS4_T11_S3_li: ; @_ZL29rocblas_internal_gemmt_kernelIiLi16ELi32ELi8ELc84ELc84ELc85ELb0ELb0EdPKdS1_PdEviT_T9_T10_S3_lS5_S3_lS4_T11_S3_li
; %bb.0:
	s_load_dwordx4 s[12:15], s[4:5], 0x38
	s_waitcnt lgkmcnt(0)
	s_load_dwordx2 s[10:11], s[14:15], 0x0
	s_clause 0x1
	s_load_dwordx4 s[0:3], s[4:5], 0x8
	s_load_dwordx2 s[20:21], s[4:5], 0x0
	s_waitcnt lgkmcnt(0)
	s_load_dwordx2 s[14:15], s[0:1], 0x0
	v_cmp_neq_f64_e64 s9, s[10:11], 1.0
	s_and_b32 vcc_lo, exec_lo, s9
	s_cbranch_vccnz .LBB40_2
; %bb.1:
	s_waitcnt lgkmcnt(0)
	v_cmp_neq_f64_e64 s0, s[14:15], 0
	s_cmp_lg_u32 s21, 0
	s_cselect_b32 s1, -1, 0
	s_and_b32 s9, s1, s0
.LBB40_2:
	s_andn2_b32 vcc_lo, exec_lo, s9
	s_cbranch_vccnz .LBB40_26
; %bb.3:
	s_waitcnt lgkmcnt(0)
	v_cmp_eq_f64_e64 s0, s[14:15], 0
	s_load_dwordx2 s[22:23], s[4:5], 0x48
	s_lshl_b32 s6, s6, 5
	s_lshl_b32 s7, s7, 5
	s_cmp_lt_i32 s21, 1
	v_mov_b32_e32 v12, 0
	s_cselect_b32 s1, -1, 0
	v_mov_b32_e32 v6, 0
	v_mov_b32_e32 v4, 0
	;; [unrolled: 1-line block ×7, first 2 shown]
	s_mov_b32 s9, 0
	s_or_b32 s0, s0, s1
	s_and_b32 vcc_lo, exec_lo, s0
	s_cbranch_vccnz .LBB40_10
; %bb.4:
	s_load_dword s0, s[4:5], 0x18
	v_lshl_add_u32 v2, v1, 4, v0
	s_clause 0x1
	s_load_dwordx4 s[16:19], s[4:5], 0x20
	s_load_dword s24, s[4:5], 0x30
	v_and_b32_e32 v18, 7, v0
	v_mov_b32_e32 v12, 0
	v_lshlrev_b32_e32 v19, 3, v0
	v_and_b32_e32 v3, 31, v2
	v_lshrrev_b32_e32 v4, 3, v2
	v_lshlrev_b32_e32 v5, 3, v18
	v_lshrrev_b32_e32 v21, 5, v2
	v_lshl_add_u32 v20, v1, 6, 0x800
	v_add_nc_u32_e32 v7, s6, v3
	v_add_nc_u32_e32 v2, s7, v4
	v_lshl_or_b32 v8, v4, 6, v5
	v_or_b32_e32 v6, s6, v3
	v_lshlrev_b32_e32 v3, 3, v3
	v_lshlrev_b32_e32 v10, 3, v21
	v_mov_b32_e32 v13, 0
	v_add_nc_u32_e32 v23, 0x800, v8
	v_cmp_gt_i32_e32 vcc_lo, s20, v6
	s_waitcnt lgkmcnt(0)
	v_mad_i64_i32 v[4:5], null, s0, v7, 0
	s_mul_i32 s1, s17, s8
	s_mul_hi_u32 s17, s16, s8
	v_mad_i64_i32 v[6:7], null, s24, v18, 0
	s_mul_i32 s16, s16, s8
	s_add_i32 s17, s17, s1
	v_lshlrev_b64 v[4:5], 3, v[4:5]
	s_lshl_b64 s[16:17], s[16:17], 3
	v_lshl_or_b32 v22, v21, 8, v3
	v_ashrrev_i32_e32 v3, 31, v2
	v_cmp_gt_i32_e64 s0, s20, v2
	s_ashr_i32 s25, s24, 31
	v_add_co_u32 v8, s1, v4, s16
	v_add_co_ci_u32_e64 v9, null, s17, v5, s1
	s_mul_i32 s1, s13, s8
	s_mul_hi_u32 s13, s12, s8
	v_lshlrev_b64 v[4:5], 3, v[6:7]
	s_add_i32 s13, s13, s1
	s_mul_i32 s12, s12, s8
	v_add_co_u32 v6, s1, v8, v10
	s_lshl_b64 s[12:13], s[12:13], 3
	v_lshlrev_b64 v[2:3], 3, v[2:3]
	v_add_co_ci_u32_e64 v7, null, 0, v9, s1
	v_add_co_u32 v4, s1, s12, v4
	v_add_co_ci_u32_e64 v5, null, s13, v5, s1
	v_add_co_u32 v8, s1, s2, v6
	;; [unrolled: 2-line block ×3, first 2 shown]
	v_add_co_ci_u32_e64 v11, null, v5, v3, s1
	v_mov_b32_e32 v2, 0
	v_add_co_u32 v10, s1, s18, v10
	v_mov_b32_e32 v4, 0
	v_mov_b32_e32 v6, 0
	;; [unrolled: 1-line block ×5, first 2 shown]
	v_add_co_ci_u32_e64 v11, null, s19, v11, s1
	s_lshl_b64 s[2:3], s[24:25], 6
	s_branch .LBB40_6
.LBB40_5:                               ;   in Loop: Header=BB40_6 Depth=1
	s_or_b32 exec_lo, exec_lo, s1
	s_waitcnt vmcnt(0)
	ds_write_b64 v23, v[16:17]
	s_waitcnt lgkmcnt(0)
	s_barrier
	buffer_gl0_inv
	ds_read_b128 v[14:17], v20
	ds_read2_b64 v[24:27], v19 offset1:16
	ds_read_b128 v[28:31], v20 offset:1024
	ds_read_b128 v[32:35], v20 offset:16
	ds_read2_b64 v[36:39], v19 offset0:32 offset1:48
	ds_read_b128 v[40:43], v20 offset:1040
	v_add_co_u32 v8, s1, v8, 64
	v_add_co_ci_u32_e64 v9, null, 0, v9, s1
	v_add_co_u32 v10, s1, v10, s2
	v_add_co_ci_u32_e64 v11, null, s3, v11, s1
	s_add_i32 s9, s9, 8
	s_cmp_lt_i32 s9, s21
	s_waitcnt lgkmcnt(4)
	v_fma_f64 v[12:13], v[24:25], v[14:15], v[12:13]
	v_fma_f64 v[6:7], v[26:27], v[14:15], v[6:7]
	s_waitcnt lgkmcnt(3)
	v_fma_f64 v[14:15], v[24:25], v[28:29], v[4:5]
	v_fma_f64 v[24:25], v[26:27], v[28:29], v[2:3]
	ds_read2_b64 v[2:5], v19 offset0:64 offset1:80
	s_waitcnt lgkmcnt(2)
	v_fma_f64 v[26:27], v[36:37], v[16:17], v[12:13]
	v_fma_f64 v[6:7], v[38:39], v[16:17], v[6:7]
	;; [unrolled: 1-line block ×4, first 2 shown]
	ds_read2_b64 v[12:15], v19 offset0:96 offset1:112
	s_waitcnt lgkmcnt(1)
	v_fma_f64 v[28:29], v[2:3], v[32:33], v[26:27]
	v_fma_f64 v[6:7], v[4:5], v[32:33], v[6:7]
	;; [unrolled: 1-line block ×4, first 2 shown]
	ds_read_b128 v[2:5], v20 offset:32
	ds_read2_b64 v[24:27], v19 offset0:128 offset1:144
	s_waitcnt lgkmcnt(2)
	v_fma_f64 v[40:41], v[12:13], v[34:35], v[28:29]
	v_fma_f64 v[6:7], v[14:15], v[34:35], v[6:7]
	;; [unrolled: 1-line block ×4, first 2 shown]
	ds_read_b128 v[12:15], v20 offset:1056
	ds_read_b128 v[28:31], v20 offset:48
	ds_read2_b64 v[32:35], v19 offset0:160 offset1:176
	ds_read_b128 v[36:39], v20 offset:1072
	s_waitcnt lgkmcnt(4)
	v_fma_f64 v[40:41], v[24:25], v[2:3], v[40:41]
	v_fma_f64 v[2:3], v[26:27], v[2:3], v[6:7]
	s_waitcnt lgkmcnt(3)
	v_fma_f64 v[6:7], v[24:25], v[12:13], v[16:17]
	v_fma_f64 v[12:13], v[26:27], v[12:13], v[42:43]
	ds_read2_b64 v[24:27], v19 offset0:192 offset1:208
	s_waitcnt lgkmcnt(2)
	v_fma_f64 v[40:41], v[32:33], v[4:5], v[40:41]
	v_fma_f64 v[2:3], v[34:35], v[4:5], v[2:3]
	;; [unrolled: 1-line block ×4, first 2 shown]
	ds_read2_b64 v[14:17], v19 offset0:224 offset1:240
	s_waitcnt lgkmcnt(0)
	s_barrier
	buffer_gl0_inv
	v_fma_f64 v[12:13], v[24:25], v[28:29], v[40:41]
	v_fma_f64 v[2:3], v[26:27], v[28:29], v[2:3]
	;; [unrolled: 1-line block ×8, first 2 shown]
	s_cbranch_scc0 .LBB40_10
.LBB40_6:                               ; =>This Inner Loop Header: Depth=1
	v_add_nc_u32_e32 v14, s9, v21
	v_cmp_gt_i32_e64 s1, s21, v14
	v_mov_b32_e32 v14, 0
	v_mov_b32_e32 v15, 0
	s_and_b32 s12, vcc_lo, s1
	s_and_saveexec_b32 s1, s12
	s_cbranch_execz .LBB40_8
; %bb.7:                                ;   in Loop: Header=BB40_6 Depth=1
	global_load_dwordx2 v[14:15], v[8:9], off
.LBB40_8:                               ;   in Loop: Header=BB40_6 Depth=1
	s_or_b32 exec_lo, exec_lo, s1
	v_add_nc_u32_e32 v16, s9, v18
	s_waitcnt vmcnt(0)
	ds_write_b64 v22, v[14:15]
	v_cmp_gt_i32_e64 s1, s21, v16
	v_mov_b32_e32 v16, 0
	v_mov_b32_e32 v17, 0
	s_and_b32 s12, s1, s0
	s_and_saveexec_b32 s1, s12
	s_cbranch_execz .LBB40_5
; %bb.9:                                ;   in Loop: Header=BB40_6 Depth=1
	global_load_dwordx2 v[16:17], v[10:11], off
	s_branch .LBB40_5
.LBB40_10:
	s_clause 0x1
	s_load_dword s2, s[4:5], 0x50
	s_load_dwordx2 s[4:5], s[4:5], 0x58
	v_add_nc_u32_e32 v15, s7, v1
	v_add_nc_u32_e32 v0, s6, v0
	v_cmp_gt_i32_e64 s0, s20, v15
	v_cmp_le_i32_e32 vcc_lo, v0, v15
	v_ashrrev_i32_e32 v1, 31, v0
	s_waitcnt lgkmcnt(0)
	v_mad_i64_i32 v[8:9], null, v15, s2, 0
	s_mul_i32 s1, s5, s8
	s_mul_hi_u32 s3, s4, s8
	s_mul_i32 s4, s4, s8
	s_add_i32 s5, s3, s1
	s_lshl_b64 s[4:5], s[4:5], 3
	v_lshlrev_b64 v[8:9], 3, v[8:9]
	s_add_u32 s3, s22, s4
	s_addc_u32 s4, s23, s5
	v_cmp_neq_f64_e64 s5, s[10:11], 0
	s_and_b32 s6, s0, vcc_lo
	v_add_co_u32 v16, s1, s3, v8
	v_add_co_ci_u32_e64 v17, null, s4, v9, s1
	v_cndmask_b32_e64 v14, 0, 1, s5
	s_and_saveexec_b32 s1, s6
	s_cbranch_execz .LBB40_14
; %bb.11:
	v_mul_f64 v[8:9], s[14:15], v[12:13]
	v_lshlrev_b64 v[10:11], 3, v[0:1]
	v_add_co_u32 v10, vcc_lo, v16, v10
	v_add_co_ci_u32_e64 v11, null, v17, v11, vcc_lo
	s_andn2_b32 vcc_lo, exec_lo, s5
	s_cbranch_vccnz .LBB40_13
; %bb.12:
	global_load_dwordx2 v[12:13], v[10:11], off
	s_waitcnt vmcnt(0)
	v_fma_f64 v[8:9], s[10:11], v[12:13], v[8:9]
.LBB40_13:
	global_store_dwordx2 v[10:11], v[8:9], off
.LBB40_14:
	s_or_b32 exec_lo, exec_lo, s1
	v_add_nc_u32_e32 v8, 16, v0
	v_cmp_le_i32_e32 vcc_lo, v8, v15
	v_ashrrev_i32_e32 v9, 31, v8
	s_and_b32 s0, s0, vcc_lo
	s_and_saveexec_b32 s1, s0
	s_cbranch_execz .LBB40_18
; %bb.15:
	v_mul_f64 v[6:7], s[14:15], v[6:7]
	v_lshlrev_b64 v[10:11], 3, v[8:9]
	v_cmp_ne_u32_e32 vcc_lo, 1, v14
	v_add_co_u32 v10, s0, v16, v10
	v_add_co_ci_u32_e64 v11, null, v17, v11, s0
	s_cbranch_vccnz .LBB40_17
; %bb.16:
	global_load_dwordx2 v[12:13], v[10:11], off
	s_waitcnt vmcnt(0)
	v_fma_f64 v[6:7], s[10:11], v[12:13], v[6:7]
.LBB40_17:
	global_store_dwordx2 v[10:11], v[6:7], off
.LBB40_18:
	s_or_b32 exec_lo, exec_lo, s1
	v_add_nc_u32_e32 v10, 16, v15
	v_mad_i64_i32 v[6:7], null, v10, s2, 0
	v_cmp_gt_i32_e64 s0, s20, v10
	v_cmp_le_i32_e32 vcc_lo, v0, v10
	v_lshlrev_b64 v[6:7], 3, v[6:7]
	v_add_co_u32 v6, s1, s3, v6
	v_add_co_ci_u32_e64 v7, null, s4, v7, s1
	s_and_b32 s1, s0, vcc_lo
	s_and_saveexec_b32 s2, s1
	s_cbranch_execz .LBB40_22
; %bb.19:
	v_mul_f64 v[4:5], s[14:15], v[4:5]
	v_lshlrev_b64 v[0:1], 3, v[0:1]
	v_cmp_ne_u32_e32 vcc_lo, 1, v14
	v_add_co_u32 v0, s1, v6, v0
	v_add_co_ci_u32_e64 v1, null, v7, v1, s1
	s_cbranch_vccnz .LBB40_21
; %bb.20:
	global_load_dwordx2 v[11:12], v[0:1], off
	s_waitcnt vmcnt(0)
	v_fma_f64 v[4:5], s[10:11], v[11:12], v[4:5]
.LBB40_21:
	global_store_dwordx2 v[0:1], v[4:5], off
.LBB40_22:
	s_or_b32 exec_lo, exec_lo, s2
	v_cmp_le_i32_e32 vcc_lo, v8, v10
	s_and_b32 s0, s0, vcc_lo
	s_and_saveexec_b32 s1, s0
	s_cbranch_execz .LBB40_26
; %bb.23:
	v_mul_f64 v[0:1], s[14:15], v[2:3]
	v_lshlrev_b64 v[2:3], 3, v[8:9]
	v_cmp_ne_u32_e32 vcc_lo, 1, v14
	v_add_co_u32 v2, s0, v6, v2
	v_add_co_ci_u32_e64 v3, null, v7, v3, s0
	s_cbranch_vccnz .LBB40_25
; %bb.24:
	global_load_dwordx2 v[4:5], v[2:3], off
	s_waitcnt vmcnt(0)
	v_fma_f64 v[0:1], s[10:11], v[4:5], v[0:1]
.LBB40_25:
	global_store_dwordx2 v[2:3], v[0:1], off
.LBB40_26:
	s_endpgm
	.section	.rodata,"a",@progbits
	.p2align	6, 0x0
	.amdhsa_kernel _ZL29rocblas_internal_gemmt_kernelIiLi16ELi32ELi8ELc84ELc84ELc85ELb0ELb0EdPKdS1_PdEviT_T9_T10_S3_lS5_S3_lS4_T11_S3_li
		.amdhsa_group_segment_fixed_size 4096
		.amdhsa_private_segment_fixed_size 0
		.amdhsa_kernarg_size 100
		.amdhsa_user_sgpr_count 6
		.amdhsa_user_sgpr_private_segment_buffer 1
		.amdhsa_user_sgpr_dispatch_ptr 0
		.amdhsa_user_sgpr_queue_ptr 0
		.amdhsa_user_sgpr_kernarg_segment_ptr 1
		.amdhsa_user_sgpr_dispatch_id 0
		.amdhsa_user_sgpr_flat_scratch_init 0
		.amdhsa_user_sgpr_private_segment_size 0
		.amdhsa_wavefront_size32 1
		.amdhsa_uses_dynamic_stack 0
		.amdhsa_system_sgpr_private_segment_wavefront_offset 0
		.amdhsa_system_sgpr_workgroup_id_x 1
		.amdhsa_system_sgpr_workgroup_id_y 1
		.amdhsa_system_sgpr_workgroup_id_z 1
		.amdhsa_system_sgpr_workgroup_info 0
		.amdhsa_system_vgpr_workitem_id 1
		.amdhsa_next_free_vgpr 44
		.amdhsa_next_free_sgpr 26
		.amdhsa_reserve_vcc 1
		.amdhsa_reserve_flat_scratch 0
		.amdhsa_float_round_mode_32 0
		.amdhsa_float_round_mode_16_64 0
		.amdhsa_float_denorm_mode_32 3
		.amdhsa_float_denorm_mode_16_64 3
		.amdhsa_dx10_clamp 1
		.amdhsa_ieee_mode 1
		.amdhsa_fp16_overflow 0
		.amdhsa_workgroup_processor_mode 1
		.amdhsa_memory_ordered 1
		.amdhsa_forward_progress 1
		.amdhsa_shared_vgpr_count 0
		.amdhsa_exception_fp_ieee_invalid_op 0
		.amdhsa_exception_fp_denorm_src 0
		.amdhsa_exception_fp_ieee_div_zero 0
		.amdhsa_exception_fp_ieee_overflow 0
		.amdhsa_exception_fp_ieee_underflow 0
		.amdhsa_exception_fp_ieee_inexact 0
		.amdhsa_exception_int_div_zero 0
	.end_amdhsa_kernel
	.section	.text._ZL29rocblas_internal_gemmt_kernelIiLi16ELi32ELi8ELc84ELc84ELc85ELb0ELb0EdPKdS1_PdEviT_T9_T10_S3_lS5_S3_lS4_T11_S3_li,"axG",@progbits,_ZL29rocblas_internal_gemmt_kernelIiLi16ELi32ELi8ELc84ELc84ELc85ELb0ELb0EdPKdS1_PdEviT_T9_T10_S3_lS5_S3_lS4_T11_S3_li,comdat
.Lfunc_end40:
	.size	_ZL29rocblas_internal_gemmt_kernelIiLi16ELi32ELi8ELc84ELc84ELc85ELb0ELb0EdPKdS1_PdEviT_T9_T10_S3_lS5_S3_lS4_T11_S3_li, .Lfunc_end40-_ZL29rocblas_internal_gemmt_kernelIiLi16ELi32ELi8ELc84ELc84ELc85ELb0ELb0EdPKdS1_PdEviT_T9_T10_S3_lS5_S3_lS4_T11_S3_li
                                        ; -- End function
	.set _ZL29rocblas_internal_gemmt_kernelIiLi16ELi32ELi8ELc84ELc84ELc85ELb0ELb0EdPKdS1_PdEviT_T9_T10_S3_lS5_S3_lS4_T11_S3_li.num_vgpr, 44
	.set _ZL29rocblas_internal_gemmt_kernelIiLi16ELi32ELi8ELc84ELc84ELc85ELb0ELb0EdPKdS1_PdEviT_T9_T10_S3_lS5_S3_lS4_T11_S3_li.num_agpr, 0
	.set _ZL29rocblas_internal_gemmt_kernelIiLi16ELi32ELi8ELc84ELc84ELc85ELb0ELb0EdPKdS1_PdEviT_T9_T10_S3_lS5_S3_lS4_T11_S3_li.numbered_sgpr, 26
	.set _ZL29rocblas_internal_gemmt_kernelIiLi16ELi32ELi8ELc84ELc84ELc85ELb0ELb0EdPKdS1_PdEviT_T9_T10_S3_lS5_S3_lS4_T11_S3_li.num_named_barrier, 0
	.set _ZL29rocblas_internal_gemmt_kernelIiLi16ELi32ELi8ELc84ELc84ELc85ELb0ELb0EdPKdS1_PdEviT_T9_T10_S3_lS5_S3_lS4_T11_S3_li.private_seg_size, 0
	.set _ZL29rocblas_internal_gemmt_kernelIiLi16ELi32ELi8ELc84ELc84ELc85ELb0ELb0EdPKdS1_PdEviT_T9_T10_S3_lS5_S3_lS4_T11_S3_li.uses_vcc, 1
	.set _ZL29rocblas_internal_gemmt_kernelIiLi16ELi32ELi8ELc84ELc84ELc85ELb0ELb0EdPKdS1_PdEviT_T9_T10_S3_lS5_S3_lS4_T11_S3_li.uses_flat_scratch, 0
	.set _ZL29rocblas_internal_gemmt_kernelIiLi16ELi32ELi8ELc84ELc84ELc85ELb0ELb0EdPKdS1_PdEviT_T9_T10_S3_lS5_S3_lS4_T11_S3_li.has_dyn_sized_stack, 0
	.set _ZL29rocblas_internal_gemmt_kernelIiLi16ELi32ELi8ELc84ELc84ELc85ELb0ELb0EdPKdS1_PdEviT_T9_T10_S3_lS5_S3_lS4_T11_S3_li.has_recursion, 0
	.set _ZL29rocblas_internal_gemmt_kernelIiLi16ELi32ELi8ELc84ELc84ELc85ELb0ELb0EdPKdS1_PdEviT_T9_T10_S3_lS5_S3_lS4_T11_S3_li.has_indirect_call, 0
	.section	.AMDGPU.csdata,"",@progbits
; Kernel info:
; codeLenInByte = 1672
; TotalNumSgprs: 28
; NumVgprs: 44
; ScratchSize: 0
; MemoryBound: 0
; FloatMode: 240
; IeeeMode: 1
; LDSByteSize: 4096 bytes/workgroup (compile time only)
; SGPRBlocks: 0
; VGPRBlocks: 5
; NumSGPRsForWavesPerEU: 28
; NumVGPRsForWavesPerEU: 44
; Occupancy: 16
; WaveLimiterHint : 0
; COMPUTE_PGM_RSRC2:SCRATCH_EN: 0
; COMPUTE_PGM_RSRC2:USER_SGPR: 6
; COMPUTE_PGM_RSRC2:TRAP_HANDLER: 0
; COMPUTE_PGM_RSRC2:TGID_X_EN: 1
; COMPUTE_PGM_RSRC2:TGID_Y_EN: 1
; COMPUTE_PGM_RSRC2:TGID_Z_EN: 1
; COMPUTE_PGM_RSRC2:TIDIG_COMP_CNT: 1
	.section	.text._ZL29rocblas_internal_gemmt_kernelIiLi16ELi32ELi8ELc84ELc67ELc85ELb0ELb0EdPKdS1_PdEviT_T9_T10_S3_lS5_S3_lS4_T11_S3_li,"axG",@progbits,_ZL29rocblas_internal_gemmt_kernelIiLi16ELi32ELi8ELc84ELc67ELc85ELb0ELb0EdPKdS1_PdEviT_T9_T10_S3_lS5_S3_lS4_T11_S3_li,comdat
	.globl	_ZL29rocblas_internal_gemmt_kernelIiLi16ELi32ELi8ELc84ELc67ELc85ELb0ELb0EdPKdS1_PdEviT_T9_T10_S3_lS5_S3_lS4_T11_S3_li ; -- Begin function _ZL29rocblas_internal_gemmt_kernelIiLi16ELi32ELi8ELc84ELc67ELc85ELb0ELb0EdPKdS1_PdEviT_T9_T10_S3_lS5_S3_lS4_T11_S3_li
	.p2align	8
	.type	_ZL29rocblas_internal_gemmt_kernelIiLi16ELi32ELi8ELc84ELc67ELc85ELb0ELb0EdPKdS1_PdEviT_T9_T10_S3_lS5_S3_lS4_T11_S3_li,@function
_ZL29rocblas_internal_gemmt_kernelIiLi16ELi32ELi8ELc84ELc67ELc85ELb0ELb0EdPKdS1_PdEviT_T9_T10_S3_lS5_S3_lS4_T11_S3_li: ; @_ZL29rocblas_internal_gemmt_kernelIiLi16ELi32ELi8ELc84ELc67ELc85ELb0ELb0EdPKdS1_PdEviT_T9_T10_S3_lS5_S3_lS4_T11_S3_li
; %bb.0:
	s_load_dwordx4 s[12:15], s[4:5], 0x38
	s_waitcnt lgkmcnt(0)
	s_load_dwordx2 s[10:11], s[14:15], 0x0
	s_clause 0x1
	s_load_dwordx4 s[0:3], s[4:5], 0x8
	s_load_dwordx2 s[20:21], s[4:5], 0x0
	s_waitcnt lgkmcnt(0)
	s_load_dwordx2 s[14:15], s[0:1], 0x0
	v_cmp_neq_f64_e64 s9, s[10:11], 1.0
	s_and_b32 vcc_lo, exec_lo, s9
	s_cbranch_vccnz .LBB41_2
; %bb.1:
	s_waitcnt lgkmcnt(0)
	v_cmp_neq_f64_e64 s0, s[14:15], 0
	s_cmp_lg_u32 s21, 0
	s_cselect_b32 s1, -1, 0
	s_and_b32 s9, s1, s0
.LBB41_2:
	s_andn2_b32 vcc_lo, exec_lo, s9
	s_cbranch_vccnz .LBB41_26
; %bb.3:
	s_waitcnt lgkmcnt(0)
	v_cmp_eq_f64_e64 s0, s[14:15], 0
	s_load_dwordx2 s[22:23], s[4:5], 0x48
	s_lshl_b32 s6, s6, 5
	s_lshl_b32 s7, s7, 5
	s_cmp_lt_i32 s21, 1
	v_mov_b32_e32 v12, 0
	s_cselect_b32 s1, -1, 0
	v_mov_b32_e32 v6, 0
	v_mov_b32_e32 v4, 0
	;; [unrolled: 1-line block ×7, first 2 shown]
	s_mov_b32 s9, 0
	s_or_b32 s0, s0, s1
	s_and_b32 vcc_lo, exec_lo, s0
	s_cbranch_vccnz .LBB41_10
; %bb.4:
	s_load_dword s0, s[4:5], 0x18
	v_lshl_add_u32 v2, v1, 4, v0
	s_clause 0x1
	s_load_dwordx4 s[16:19], s[4:5], 0x20
	s_load_dword s24, s[4:5], 0x30
	v_and_b32_e32 v18, 7, v0
	v_mov_b32_e32 v12, 0
	v_lshlrev_b32_e32 v19, 3, v0
	v_and_b32_e32 v3, 31, v2
	v_lshrrev_b32_e32 v4, 3, v2
	v_lshlrev_b32_e32 v5, 3, v18
	v_lshrrev_b32_e32 v21, 5, v2
	v_lshl_add_u32 v20, v1, 6, 0x800
	v_add_nc_u32_e32 v7, s6, v3
	v_add_nc_u32_e32 v2, s7, v4
	v_lshl_or_b32 v8, v4, 6, v5
	v_or_b32_e32 v6, s6, v3
	v_lshlrev_b32_e32 v3, 3, v3
	v_lshlrev_b32_e32 v10, 3, v21
	v_mov_b32_e32 v13, 0
	v_add_nc_u32_e32 v23, 0x800, v8
	v_cmp_gt_i32_e32 vcc_lo, s20, v6
	s_waitcnt lgkmcnt(0)
	v_mad_i64_i32 v[4:5], null, s0, v7, 0
	s_mul_i32 s1, s17, s8
	s_mul_hi_u32 s17, s16, s8
	v_mad_i64_i32 v[6:7], null, s24, v18, 0
	s_mul_i32 s16, s16, s8
	s_add_i32 s17, s17, s1
	v_lshlrev_b64 v[4:5], 3, v[4:5]
	s_lshl_b64 s[16:17], s[16:17], 3
	v_lshl_or_b32 v22, v21, 8, v3
	v_ashrrev_i32_e32 v3, 31, v2
	v_cmp_gt_i32_e64 s0, s20, v2
	s_ashr_i32 s25, s24, 31
	v_add_co_u32 v8, s1, v4, s16
	v_add_co_ci_u32_e64 v9, null, s17, v5, s1
	s_mul_i32 s1, s13, s8
	s_mul_hi_u32 s13, s12, s8
	v_lshlrev_b64 v[4:5], 3, v[6:7]
	s_add_i32 s13, s13, s1
	s_mul_i32 s12, s12, s8
	v_add_co_u32 v6, s1, v8, v10
	s_lshl_b64 s[12:13], s[12:13], 3
	v_lshlrev_b64 v[2:3], 3, v[2:3]
	v_add_co_ci_u32_e64 v7, null, 0, v9, s1
	v_add_co_u32 v4, s1, s12, v4
	v_add_co_ci_u32_e64 v5, null, s13, v5, s1
	v_add_co_u32 v8, s1, s2, v6
	;; [unrolled: 2-line block ×3, first 2 shown]
	v_add_co_ci_u32_e64 v11, null, v5, v3, s1
	v_mov_b32_e32 v2, 0
	v_add_co_u32 v10, s1, s18, v10
	v_mov_b32_e32 v4, 0
	v_mov_b32_e32 v6, 0
	;; [unrolled: 1-line block ×5, first 2 shown]
	v_add_co_ci_u32_e64 v11, null, s19, v11, s1
	s_lshl_b64 s[2:3], s[24:25], 6
	s_branch .LBB41_6
.LBB41_5:                               ;   in Loop: Header=BB41_6 Depth=1
	s_or_b32 exec_lo, exec_lo, s1
	s_waitcnt vmcnt(0)
	ds_write_b64 v23, v[16:17]
	s_waitcnt lgkmcnt(0)
	s_barrier
	buffer_gl0_inv
	ds_read_b128 v[14:17], v20
	ds_read2_b64 v[24:27], v19 offset1:16
	ds_read_b128 v[28:31], v20 offset:1024
	ds_read_b128 v[32:35], v20 offset:16
	ds_read2_b64 v[36:39], v19 offset0:32 offset1:48
	ds_read_b128 v[40:43], v20 offset:1040
	v_add_co_u32 v8, s1, v8, 64
	v_add_co_ci_u32_e64 v9, null, 0, v9, s1
	v_add_co_u32 v10, s1, v10, s2
	v_add_co_ci_u32_e64 v11, null, s3, v11, s1
	s_add_i32 s9, s9, 8
	s_cmp_lt_i32 s9, s21
	s_waitcnt lgkmcnt(4)
	v_fma_f64 v[12:13], v[24:25], v[14:15], v[12:13]
	v_fma_f64 v[6:7], v[26:27], v[14:15], v[6:7]
	s_waitcnt lgkmcnt(3)
	v_fma_f64 v[14:15], v[24:25], v[28:29], v[4:5]
	v_fma_f64 v[24:25], v[26:27], v[28:29], v[2:3]
	ds_read2_b64 v[2:5], v19 offset0:64 offset1:80
	s_waitcnt lgkmcnt(2)
	v_fma_f64 v[26:27], v[36:37], v[16:17], v[12:13]
	v_fma_f64 v[6:7], v[38:39], v[16:17], v[6:7]
	;; [unrolled: 1-line block ×4, first 2 shown]
	ds_read2_b64 v[12:15], v19 offset0:96 offset1:112
	s_waitcnt lgkmcnt(1)
	v_fma_f64 v[28:29], v[2:3], v[32:33], v[26:27]
	v_fma_f64 v[6:7], v[4:5], v[32:33], v[6:7]
	;; [unrolled: 1-line block ×4, first 2 shown]
	ds_read_b128 v[2:5], v20 offset:32
	ds_read2_b64 v[24:27], v19 offset0:128 offset1:144
	s_waitcnt lgkmcnt(2)
	v_fma_f64 v[40:41], v[12:13], v[34:35], v[28:29]
	v_fma_f64 v[6:7], v[14:15], v[34:35], v[6:7]
	;; [unrolled: 1-line block ×4, first 2 shown]
	ds_read_b128 v[12:15], v20 offset:1056
	ds_read_b128 v[28:31], v20 offset:48
	ds_read2_b64 v[32:35], v19 offset0:160 offset1:176
	ds_read_b128 v[36:39], v20 offset:1072
	s_waitcnt lgkmcnt(4)
	v_fma_f64 v[40:41], v[24:25], v[2:3], v[40:41]
	v_fma_f64 v[2:3], v[26:27], v[2:3], v[6:7]
	s_waitcnt lgkmcnt(3)
	v_fma_f64 v[6:7], v[24:25], v[12:13], v[16:17]
	v_fma_f64 v[12:13], v[26:27], v[12:13], v[42:43]
	ds_read2_b64 v[24:27], v19 offset0:192 offset1:208
	s_waitcnt lgkmcnt(2)
	v_fma_f64 v[40:41], v[32:33], v[4:5], v[40:41]
	v_fma_f64 v[2:3], v[34:35], v[4:5], v[2:3]
	;; [unrolled: 1-line block ×4, first 2 shown]
	ds_read2_b64 v[14:17], v19 offset0:224 offset1:240
	s_waitcnt lgkmcnt(0)
	s_barrier
	buffer_gl0_inv
	v_fma_f64 v[12:13], v[24:25], v[28:29], v[40:41]
	v_fma_f64 v[2:3], v[26:27], v[28:29], v[2:3]
	;; [unrolled: 1-line block ×8, first 2 shown]
	s_cbranch_scc0 .LBB41_10
.LBB41_6:                               ; =>This Inner Loop Header: Depth=1
	v_add_nc_u32_e32 v14, s9, v21
	v_cmp_gt_i32_e64 s1, s21, v14
	v_mov_b32_e32 v14, 0
	v_mov_b32_e32 v15, 0
	s_and_b32 s12, vcc_lo, s1
	s_and_saveexec_b32 s1, s12
	s_cbranch_execz .LBB41_8
; %bb.7:                                ;   in Loop: Header=BB41_6 Depth=1
	global_load_dwordx2 v[14:15], v[8:9], off
.LBB41_8:                               ;   in Loop: Header=BB41_6 Depth=1
	s_or_b32 exec_lo, exec_lo, s1
	v_add_nc_u32_e32 v16, s9, v18
	s_waitcnt vmcnt(0)
	ds_write_b64 v22, v[14:15]
	v_cmp_gt_i32_e64 s1, s21, v16
	v_mov_b32_e32 v16, 0
	v_mov_b32_e32 v17, 0
	s_and_b32 s12, s1, s0
	s_and_saveexec_b32 s1, s12
	s_cbranch_execz .LBB41_5
; %bb.9:                                ;   in Loop: Header=BB41_6 Depth=1
	global_load_dwordx2 v[16:17], v[10:11], off
	s_branch .LBB41_5
.LBB41_10:
	s_clause 0x1
	s_load_dword s2, s[4:5], 0x50
	s_load_dwordx2 s[4:5], s[4:5], 0x58
	v_add_nc_u32_e32 v15, s7, v1
	v_add_nc_u32_e32 v0, s6, v0
	v_cmp_gt_i32_e64 s0, s20, v15
	v_cmp_le_i32_e32 vcc_lo, v0, v15
	v_ashrrev_i32_e32 v1, 31, v0
	s_waitcnt lgkmcnt(0)
	v_mad_i64_i32 v[8:9], null, v15, s2, 0
	s_mul_i32 s1, s5, s8
	s_mul_hi_u32 s3, s4, s8
	s_mul_i32 s4, s4, s8
	s_add_i32 s5, s3, s1
	s_lshl_b64 s[4:5], s[4:5], 3
	v_lshlrev_b64 v[8:9], 3, v[8:9]
	s_add_u32 s3, s22, s4
	s_addc_u32 s4, s23, s5
	v_cmp_neq_f64_e64 s5, s[10:11], 0
	s_and_b32 s6, s0, vcc_lo
	v_add_co_u32 v16, s1, s3, v8
	v_add_co_ci_u32_e64 v17, null, s4, v9, s1
	v_cndmask_b32_e64 v14, 0, 1, s5
	s_and_saveexec_b32 s1, s6
	s_cbranch_execz .LBB41_14
; %bb.11:
	v_mul_f64 v[8:9], s[14:15], v[12:13]
	v_lshlrev_b64 v[10:11], 3, v[0:1]
	v_add_co_u32 v10, vcc_lo, v16, v10
	v_add_co_ci_u32_e64 v11, null, v17, v11, vcc_lo
	s_andn2_b32 vcc_lo, exec_lo, s5
	s_cbranch_vccnz .LBB41_13
; %bb.12:
	global_load_dwordx2 v[12:13], v[10:11], off
	s_waitcnt vmcnt(0)
	v_fma_f64 v[8:9], s[10:11], v[12:13], v[8:9]
.LBB41_13:
	global_store_dwordx2 v[10:11], v[8:9], off
.LBB41_14:
	s_or_b32 exec_lo, exec_lo, s1
	v_add_nc_u32_e32 v8, 16, v0
	v_cmp_le_i32_e32 vcc_lo, v8, v15
	v_ashrrev_i32_e32 v9, 31, v8
	s_and_b32 s0, s0, vcc_lo
	s_and_saveexec_b32 s1, s0
	s_cbranch_execz .LBB41_18
; %bb.15:
	v_mul_f64 v[6:7], s[14:15], v[6:7]
	v_lshlrev_b64 v[10:11], 3, v[8:9]
	v_cmp_ne_u32_e32 vcc_lo, 1, v14
	v_add_co_u32 v10, s0, v16, v10
	v_add_co_ci_u32_e64 v11, null, v17, v11, s0
	s_cbranch_vccnz .LBB41_17
; %bb.16:
	global_load_dwordx2 v[12:13], v[10:11], off
	s_waitcnt vmcnt(0)
	v_fma_f64 v[6:7], s[10:11], v[12:13], v[6:7]
.LBB41_17:
	global_store_dwordx2 v[10:11], v[6:7], off
.LBB41_18:
	s_or_b32 exec_lo, exec_lo, s1
	v_add_nc_u32_e32 v10, 16, v15
	v_mad_i64_i32 v[6:7], null, v10, s2, 0
	v_cmp_gt_i32_e64 s0, s20, v10
	v_cmp_le_i32_e32 vcc_lo, v0, v10
	v_lshlrev_b64 v[6:7], 3, v[6:7]
	v_add_co_u32 v6, s1, s3, v6
	v_add_co_ci_u32_e64 v7, null, s4, v7, s1
	s_and_b32 s1, s0, vcc_lo
	s_and_saveexec_b32 s2, s1
	s_cbranch_execz .LBB41_22
; %bb.19:
	v_mul_f64 v[4:5], s[14:15], v[4:5]
	v_lshlrev_b64 v[0:1], 3, v[0:1]
	v_cmp_ne_u32_e32 vcc_lo, 1, v14
	v_add_co_u32 v0, s1, v6, v0
	v_add_co_ci_u32_e64 v1, null, v7, v1, s1
	s_cbranch_vccnz .LBB41_21
; %bb.20:
	global_load_dwordx2 v[11:12], v[0:1], off
	s_waitcnt vmcnt(0)
	v_fma_f64 v[4:5], s[10:11], v[11:12], v[4:5]
.LBB41_21:
	global_store_dwordx2 v[0:1], v[4:5], off
.LBB41_22:
	s_or_b32 exec_lo, exec_lo, s2
	v_cmp_le_i32_e32 vcc_lo, v8, v10
	s_and_b32 s0, s0, vcc_lo
	s_and_saveexec_b32 s1, s0
	s_cbranch_execz .LBB41_26
; %bb.23:
	v_mul_f64 v[0:1], s[14:15], v[2:3]
	v_lshlrev_b64 v[2:3], 3, v[8:9]
	v_cmp_ne_u32_e32 vcc_lo, 1, v14
	v_add_co_u32 v2, s0, v6, v2
	v_add_co_ci_u32_e64 v3, null, v7, v3, s0
	s_cbranch_vccnz .LBB41_25
; %bb.24:
	global_load_dwordx2 v[4:5], v[2:3], off
	s_waitcnt vmcnt(0)
	v_fma_f64 v[0:1], s[10:11], v[4:5], v[0:1]
.LBB41_25:
	global_store_dwordx2 v[2:3], v[0:1], off
.LBB41_26:
	s_endpgm
	.section	.rodata,"a",@progbits
	.p2align	6, 0x0
	.amdhsa_kernel _ZL29rocblas_internal_gemmt_kernelIiLi16ELi32ELi8ELc84ELc67ELc85ELb0ELb0EdPKdS1_PdEviT_T9_T10_S3_lS5_S3_lS4_T11_S3_li
		.amdhsa_group_segment_fixed_size 4096
		.amdhsa_private_segment_fixed_size 0
		.amdhsa_kernarg_size 100
		.amdhsa_user_sgpr_count 6
		.amdhsa_user_sgpr_private_segment_buffer 1
		.amdhsa_user_sgpr_dispatch_ptr 0
		.amdhsa_user_sgpr_queue_ptr 0
		.amdhsa_user_sgpr_kernarg_segment_ptr 1
		.amdhsa_user_sgpr_dispatch_id 0
		.amdhsa_user_sgpr_flat_scratch_init 0
		.amdhsa_user_sgpr_private_segment_size 0
		.amdhsa_wavefront_size32 1
		.amdhsa_uses_dynamic_stack 0
		.amdhsa_system_sgpr_private_segment_wavefront_offset 0
		.amdhsa_system_sgpr_workgroup_id_x 1
		.amdhsa_system_sgpr_workgroup_id_y 1
		.amdhsa_system_sgpr_workgroup_id_z 1
		.amdhsa_system_sgpr_workgroup_info 0
		.amdhsa_system_vgpr_workitem_id 1
		.amdhsa_next_free_vgpr 44
		.amdhsa_next_free_sgpr 26
		.amdhsa_reserve_vcc 1
		.amdhsa_reserve_flat_scratch 0
		.amdhsa_float_round_mode_32 0
		.amdhsa_float_round_mode_16_64 0
		.amdhsa_float_denorm_mode_32 3
		.amdhsa_float_denorm_mode_16_64 3
		.amdhsa_dx10_clamp 1
		.amdhsa_ieee_mode 1
		.amdhsa_fp16_overflow 0
		.amdhsa_workgroup_processor_mode 1
		.amdhsa_memory_ordered 1
		.amdhsa_forward_progress 1
		.amdhsa_shared_vgpr_count 0
		.amdhsa_exception_fp_ieee_invalid_op 0
		.amdhsa_exception_fp_denorm_src 0
		.amdhsa_exception_fp_ieee_div_zero 0
		.amdhsa_exception_fp_ieee_overflow 0
		.amdhsa_exception_fp_ieee_underflow 0
		.amdhsa_exception_fp_ieee_inexact 0
		.amdhsa_exception_int_div_zero 0
	.end_amdhsa_kernel
	.section	.text._ZL29rocblas_internal_gemmt_kernelIiLi16ELi32ELi8ELc84ELc67ELc85ELb0ELb0EdPKdS1_PdEviT_T9_T10_S3_lS5_S3_lS4_T11_S3_li,"axG",@progbits,_ZL29rocblas_internal_gemmt_kernelIiLi16ELi32ELi8ELc84ELc67ELc85ELb0ELb0EdPKdS1_PdEviT_T9_T10_S3_lS5_S3_lS4_T11_S3_li,comdat
.Lfunc_end41:
	.size	_ZL29rocblas_internal_gemmt_kernelIiLi16ELi32ELi8ELc84ELc67ELc85ELb0ELb0EdPKdS1_PdEviT_T9_T10_S3_lS5_S3_lS4_T11_S3_li, .Lfunc_end41-_ZL29rocblas_internal_gemmt_kernelIiLi16ELi32ELi8ELc84ELc67ELc85ELb0ELb0EdPKdS1_PdEviT_T9_T10_S3_lS5_S3_lS4_T11_S3_li
                                        ; -- End function
	.set _ZL29rocblas_internal_gemmt_kernelIiLi16ELi32ELi8ELc84ELc67ELc85ELb0ELb0EdPKdS1_PdEviT_T9_T10_S3_lS5_S3_lS4_T11_S3_li.num_vgpr, 44
	.set _ZL29rocblas_internal_gemmt_kernelIiLi16ELi32ELi8ELc84ELc67ELc85ELb0ELb0EdPKdS1_PdEviT_T9_T10_S3_lS5_S3_lS4_T11_S3_li.num_agpr, 0
	.set _ZL29rocblas_internal_gemmt_kernelIiLi16ELi32ELi8ELc84ELc67ELc85ELb0ELb0EdPKdS1_PdEviT_T9_T10_S3_lS5_S3_lS4_T11_S3_li.numbered_sgpr, 26
	.set _ZL29rocblas_internal_gemmt_kernelIiLi16ELi32ELi8ELc84ELc67ELc85ELb0ELb0EdPKdS1_PdEviT_T9_T10_S3_lS5_S3_lS4_T11_S3_li.num_named_barrier, 0
	.set _ZL29rocblas_internal_gemmt_kernelIiLi16ELi32ELi8ELc84ELc67ELc85ELb0ELb0EdPKdS1_PdEviT_T9_T10_S3_lS5_S3_lS4_T11_S3_li.private_seg_size, 0
	.set _ZL29rocblas_internal_gemmt_kernelIiLi16ELi32ELi8ELc84ELc67ELc85ELb0ELb0EdPKdS1_PdEviT_T9_T10_S3_lS5_S3_lS4_T11_S3_li.uses_vcc, 1
	.set _ZL29rocblas_internal_gemmt_kernelIiLi16ELi32ELi8ELc84ELc67ELc85ELb0ELb0EdPKdS1_PdEviT_T9_T10_S3_lS5_S3_lS4_T11_S3_li.uses_flat_scratch, 0
	.set _ZL29rocblas_internal_gemmt_kernelIiLi16ELi32ELi8ELc84ELc67ELc85ELb0ELb0EdPKdS1_PdEviT_T9_T10_S3_lS5_S3_lS4_T11_S3_li.has_dyn_sized_stack, 0
	.set _ZL29rocblas_internal_gemmt_kernelIiLi16ELi32ELi8ELc84ELc67ELc85ELb0ELb0EdPKdS1_PdEviT_T9_T10_S3_lS5_S3_lS4_T11_S3_li.has_recursion, 0
	.set _ZL29rocblas_internal_gemmt_kernelIiLi16ELi32ELi8ELc84ELc67ELc85ELb0ELb0EdPKdS1_PdEviT_T9_T10_S3_lS5_S3_lS4_T11_S3_li.has_indirect_call, 0
	.section	.AMDGPU.csdata,"",@progbits
; Kernel info:
; codeLenInByte = 1672
; TotalNumSgprs: 28
; NumVgprs: 44
; ScratchSize: 0
; MemoryBound: 0
; FloatMode: 240
; IeeeMode: 1
; LDSByteSize: 4096 bytes/workgroup (compile time only)
; SGPRBlocks: 0
; VGPRBlocks: 5
; NumSGPRsForWavesPerEU: 28
; NumVGPRsForWavesPerEU: 44
; Occupancy: 16
; WaveLimiterHint : 0
; COMPUTE_PGM_RSRC2:SCRATCH_EN: 0
; COMPUTE_PGM_RSRC2:USER_SGPR: 6
; COMPUTE_PGM_RSRC2:TRAP_HANDLER: 0
; COMPUTE_PGM_RSRC2:TGID_X_EN: 1
; COMPUTE_PGM_RSRC2:TGID_Y_EN: 1
; COMPUTE_PGM_RSRC2:TGID_Z_EN: 1
; COMPUTE_PGM_RSRC2:TIDIG_COMP_CNT: 1
	.section	.text._ZL29rocblas_internal_gemmt_kernelIiLi16ELi32ELi8ELc67ELc78ELc85ELb0ELb0EdPKdS1_PdEviT_T9_T10_S3_lS5_S3_lS4_T11_S3_li,"axG",@progbits,_ZL29rocblas_internal_gemmt_kernelIiLi16ELi32ELi8ELc67ELc78ELc85ELb0ELb0EdPKdS1_PdEviT_T9_T10_S3_lS5_S3_lS4_T11_S3_li,comdat
	.globl	_ZL29rocblas_internal_gemmt_kernelIiLi16ELi32ELi8ELc67ELc78ELc85ELb0ELb0EdPKdS1_PdEviT_T9_T10_S3_lS5_S3_lS4_T11_S3_li ; -- Begin function _ZL29rocblas_internal_gemmt_kernelIiLi16ELi32ELi8ELc67ELc78ELc85ELb0ELb0EdPKdS1_PdEviT_T9_T10_S3_lS5_S3_lS4_T11_S3_li
	.p2align	8
	.type	_ZL29rocblas_internal_gemmt_kernelIiLi16ELi32ELi8ELc67ELc78ELc85ELb0ELb0EdPKdS1_PdEviT_T9_T10_S3_lS5_S3_lS4_T11_S3_li,@function
_ZL29rocblas_internal_gemmt_kernelIiLi16ELi32ELi8ELc67ELc78ELc85ELb0ELb0EdPKdS1_PdEviT_T9_T10_S3_lS5_S3_lS4_T11_S3_li: ; @_ZL29rocblas_internal_gemmt_kernelIiLi16ELi32ELi8ELc67ELc78ELc85ELb0ELb0EdPKdS1_PdEviT_T9_T10_S3_lS5_S3_lS4_T11_S3_li
; %bb.0:
	s_load_dwordx4 s[12:15], s[4:5], 0x38
	s_waitcnt lgkmcnt(0)
	s_load_dwordx2 s[10:11], s[14:15], 0x0
	s_clause 0x1
	s_load_dwordx4 s[0:3], s[4:5], 0x8
	s_load_dwordx2 s[20:21], s[4:5], 0x0
	s_waitcnt lgkmcnt(0)
	s_load_dwordx2 s[14:15], s[0:1], 0x0
	v_cmp_neq_f64_e64 s9, s[10:11], 1.0
	s_and_b32 vcc_lo, exec_lo, s9
	s_cbranch_vccnz .LBB42_2
; %bb.1:
	s_waitcnt lgkmcnt(0)
	v_cmp_neq_f64_e64 s0, s[14:15], 0
	s_cmp_lg_u32 s21, 0
	s_cselect_b32 s1, -1, 0
	s_and_b32 s9, s1, s0
.LBB42_2:
	s_andn2_b32 vcc_lo, exec_lo, s9
	s_cbranch_vccnz .LBB42_26
; %bb.3:
	s_waitcnt lgkmcnt(0)
	v_cmp_eq_f64_e64 s0, s[14:15], 0
	s_load_dwordx2 s[22:23], s[4:5], 0x48
	s_lshl_b32 s6, s6, 5
	s_lshl_b32 s7, s7, 5
	s_cmp_lt_i32 s21, 1
	v_mov_b32_e32 v12, 0
	s_cselect_b32 s1, -1, 0
	v_mov_b32_e32 v6, 0
	v_mov_b32_e32 v4, 0
	;; [unrolled: 1-line block ×7, first 2 shown]
	s_mov_b32 s9, 0
	s_or_b32 s0, s0, s1
	s_and_b32 vcc_lo, exec_lo, s0
	s_cbranch_vccnz .LBB42_10
; %bb.4:
	s_load_dword s0, s[4:5], 0x18
	v_lshl_add_u32 v2, v1, 4, v0
	s_clause 0x1
	s_load_dwordx4 s[16:19], s[4:5], 0x20
	s_load_dword s1, s[4:5], 0x30
	v_and_b32_e32 v18, 7, v0
	v_mov_b32_e32 v12, 0
	v_lshlrev_b32_e32 v19, 3, v0
	v_and_b32_e32 v4, 31, v2
	v_lshrrev_b32_e32 v3, 3, v2
	v_lshrrev_b32_e32 v21, 5, v2
	v_lshlrev_b32_e32 v6, 3, v18
	v_lshl_add_u32 v20, v1, 6, 0x800
	v_add_nc_u32_e32 v2, s6, v4
	v_add_nc_u32_e32 v5, s7, v3
	v_or_b32_e32 v7, s6, v4
	v_lshl_or_b32 v8, v3, 6, v6
	v_lshlrev_b32_e32 v4, 3, v4
	v_lshlrev_b32_e32 v9, 3, v21
	v_mov_b32_e32 v13, 0
	v_cmp_gt_i32_e32 vcc_lo, s20, v7
	v_add_nc_u32_e32 v23, 0x800, v8
	s_waitcnt lgkmcnt(0)
	v_mad_i64_i32 v[2:3], null, s0, v2, 0
	v_lshl_or_b32 v22, v21, 8, v4
	v_cmp_gt_i32_e64 s0, s20, v5
	s_mul_i32 s17, s17, s8
	s_mul_hi_u32 s24, s16, s8
	v_mad_i64_i32 v[4:5], null, s1, v5, 0
	v_lshlrev_b64 v[2:3], 3, v[2:3]
	s_mul_i32 s16, s16, s8
	s_add_i32 s17, s24, s17
	s_lshl_b64 s[16:17], s[16:17], 3
	v_add_co_u32 v7, s1, v2, s16
	v_add_co_ci_u32_e64 v8, null, s17, v3, s1
	s_mul_i32 s1, s13, s8
	s_mul_hi_u32 s13, s12, s8
	v_lshlrev_b64 v[2:3], 3, v[4:5]
	s_add_i32 s13, s13, s1
	s_mul_i32 s12, s12, s8
	v_add_co_u32 v4, s1, v7, v9
	s_lshl_b64 s[12:13], s[12:13], 3
	v_add_co_ci_u32_e64 v5, null, 0, v8, s1
	v_add_co_u32 v2, s1, v2, s12
	v_add_co_ci_u32_e64 v3, null, s13, v3, s1
	v_add_co_u32 v8, s1, s2, v4
	;; [unrolled: 2-line block ×3, first 2 shown]
	v_add_co_ci_u32_e64 v11, null, 0, v3, s1
	v_mov_b32_e32 v2, 0
	v_add_co_u32 v10, s1, s18, v10
	v_mov_b32_e32 v4, 0
	v_mov_b32_e32 v6, 0
	;; [unrolled: 1-line block ×5, first 2 shown]
	v_add_co_ci_u32_e64 v11, null, s19, v11, s1
	s_branch .LBB42_6
.LBB42_5:                               ;   in Loop: Header=BB42_6 Depth=1
	s_or_b32 exec_lo, exec_lo, s1
	s_waitcnt vmcnt(0)
	ds_write_b64 v23, v[16:17]
	s_waitcnt lgkmcnt(0)
	s_barrier
	buffer_gl0_inv
	ds_read_b128 v[14:17], v20
	ds_read2_b64 v[24:27], v19 offset1:16
	ds_read_b128 v[28:31], v20 offset:1024
	ds_read_b128 v[32:35], v20 offset:16
	ds_read2_b64 v[36:39], v19 offset0:32 offset1:48
	ds_read_b128 v[40:43], v20 offset:1040
	v_add_co_u32 v8, s1, v8, 64
	v_add_co_ci_u32_e64 v9, null, 0, v9, s1
	v_add_co_u32 v10, s1, v10, 64
	v_add_co_ci_u32_e64 v11, null, 0, v11, s1
	s_add_i32 s9, s9, 8
	s_cmp_lt_i32 s9, s21
	s_waitcnt lgkmcnt(4)
	v_fma_f64 v[12:13], v[24:25], v[14:15], v[12:13]
	v_fma_f64 v[6:7], v[26:27], v[14:15], v[6:7]
	s_waitcnt lgkmcnt(3)
	v_fma_f64 v[14:15], v[24:25], v[28:29], v[4:5]
	v_fma_f64 v[24:25], v[26:27], v[28:29], v[2:3]
	ds_read2_b64 v[2:5], v19 offset0:64 offset1:80
	s_waitcnt lgkmcnt(2)
	v_fma_f64 v[26:27], v[36:37], v[16:17], v[12:13]
	v_fma_f64 v[6:7], v[38:39], v[16:17], v[6:7]
	;; [unrolled: 1-line block ×4, first 2 shown]
	ds_read2_b64 v[12:15], v19 offset0:96 offset1:112
	s_waitcnt lgkmcnt(1)
	v_fma_f64 v[28:29], v[2:3], v[32:33], v[26:27]
	v_fma_f64 v[6:7], v[4:5], v[32:33], v[6:7]
	;; [unrolled: 1-line block ×4, first 2 shown]
	ds_read_b128 v[2:5], v20 offset:32
	ds_read2_b64 v[24:27], v19 offset0:128 offset1:144
	s_waitcnt lgkmcnt(2)
	v_fma_f64 v[40:41], v[12:13], v[34:35], v[28:29]
	v_fma_f64 v[6:7], v[14:15], v[34:35], v[6:7]
	v_fma_f64 v[16:17], v[12:13], v[42:43], v[16:17]
	v_fma_f64 v[42:43], v[14:15], v[42:43], v[30:31]
	ds_read_b128 v[12:15], v20 offset:1056
	ds_read_b128 v[28:31], v20 offset:48
	ds_read2_b64 v[32:35], v19 offset0:160 offset1:176
	ds_read_b128 v[36:39], v20 offset:1072
	s_waitcnt lgkmcnt(4)
	v_fma_f64 v[40:41], v[24:25], v[2:3], v[40:41]
	v_fma_f64 v[2:3], v[26:27], v[2:3], v[6:7]
	s_waitcnt lgkmcnt(3)
	v_fma_f64 v[6:7], v[24:25], v[12:13], v[16:17]
	v_fma_f64 v[12:13], v[26:27], v[12:13], v[42:43]
	ds_read2_b64 v[24:27], v19 offset0:192 offset1:208
	s_waitcnt lgkmcnt(2)
	v_fma_f64 v[40:41], v[32:33], v[4:5], v[40:41]
	v_fma_f64 v[2:3], v[34:35], v[4:5], v[2:3]
	;; [unrolled: 1-line block ×4, first 2 shown]
	ds_read2_b64 v[14:17], v19 offset0:224 offset1:240
	s_waitcnt lgkmcnt(0)
	s_barrier
	buffer_gl0_inv
	v_fma_f64 v[12:13], v[24:25], v[28:29], v[40:41]
	v_fma_f64 v[2:3], v[26:27], v[28:29], v[2:3]
	;; [unrolled: 1-line block ×8, first 2 shown]
	s_cbranch_scc0 .LBB42_10
.LBB42_6:                               ; =>This Inner Loop Header: Depth=1
	v_add_nc_u32_e32 v14, s9, v21
	v_cmp_gt_i32_e64 s1, s21, v14
	v_mov_b32_e32 v14, 0
	v_mov_b32_e32 v15, 0
	s_and_b32 s2, vcc_lo, s1
	s_and_saveexec_b32 s1, s2
	s_cbranch_execz .LBB42_8
; %bb.7:                                ;   in Loop: Header=BB42_6 Depth=1
	global_load_dwordx2 v[14:15], v[8:9], off
.LBB42_8:                               ;   in Loop: Header=BB42_6 Depth=1
	s_or_b32 exec_lo, exec_lo, s1
	v_add_nc_u32_e32 v16, s9, v18
	s_waitcnt vmcnt(0)
	ds_write_b64 v22, v[14:15]
	v_cmp_gt_i32_e64 s1, s21, v16
	v_mov_b32_e32 v16, 0
	v_mov_b32_e32 v17, 0
	s_and_b32 s2, s1, s0
	s_and_saveexec_b32 s1, s2
	s_cbranch_execz .LBB42_5
; %bb.9:                                ;   in Loop: Header=BB42_6 Depth=1
	global_load_dwordx2 v[16:17], v[10:11], off
	s_branch .LBB42_5
.LBB42_10:
	s_clause 0x1
	s_load_dword s2, s[4:5], 0x50
	s_load_dwordx2 s[4:5], s[4:5], 0x58
	v_add_nc_u32_e32 v15, s7, v1
	v_add_nc_u32_e32 v0, s6, v0
	v_cmp_gt_i32_e64 s0, s20, v15
	v_cmp_le_i32_e32 vcc_lo, v0, v15
	v_ashrrev_i32_e32 v1, 31, v0
	s_waitcnt lgkmcnt(0)
	v_mad_i64_i32 v[8:9], null, v15, s2, 0
	s_mul_i32 s1, s5, s8
	s_mul_hi_u32 s3, s4, s8
	s_mul_i32 s4, s4, s8
	s_add_i32 s5, s3, s1
	s_lshl_b64 s[4:5], s[4:5], 3
	v_lshlrev_b64 v[8:9], 3, v[8:9]
	s_add_u32 s3, s22, s4
	s_addc_u32 s4, s23, s5
	v_cmp_neq_f64_e64 s5, s[10:11], 0
	s_and_b32 s6, s0, vcc_lo
	v_add_co_u32 v16, s1, s3, v8
	v_add_co_ci_u32_e64 v17, null, s4, v9, s1
	v_cndmask_b32_e64 v14, 0, 1, s5
	s_and_saveexec_b32 s1, s6
	s_cbranch_execz .LBB42_14
; %bb.11:
	v_mul_f64 v[8:9], s[14:15], v[12:13]
	v_lshlrev_b64 v[10:11], 3, v[0:1]
	v_add_co_u32 v10, vcc_lo, v16, v10
	v_add_co_ci_u32_e64 v11, null, v17, v11, vcc_lo
	s_andn2_b32 vcc_lo, exec_lo, s5
	s_cbranch_vccnz .LBB42_13
; %bb.12:
	global_load_dwordx2 v[12:13], v[10:11], off
	s_waitcnt vmcnt(0)
	v_fma_f64 v[8:9], s[10:11], v[12:13], v[8:9]
.LBB42_13:
	global_store_dwordx2 v[10:11], v[8:9], off
.LBB42_14:
	s_or_b32 exec_lo, exec_lo, s1
	v_add_nc_u32_e32 v8, 16, v0
	v_cmp_le_i32_e32 vcc_lo, v8, v15
	v_ashrrev_i32_e32 v9, 31, v8
	s_and_b32 s0, s0, vcc_lo
	s_and_saveexec_b32 s1, s0
	s_cbranch_execz .LBB42_18
; %bb.15:
	v_mul_f64 v[6:7], s[14:15], v[6:7]
	v_lshlrev_b64 v[10:11], 3, v[8:9]
	v_cmp_ne_u32_e32 vcc_lo, 1, v14
	v_add_co_u32 v10, s0, v16, v10
	v_add_co_ci_u32_e64 v11, null, v17, v11, s0
	s_cbranch_vccnz .LBB42_17
; %bb.16:
	global_load_dwordx2 v[12:13], v[10:11], off
	s_waitcnt vmcnt(0)
	v_fma_f64 v[6:7], s[10:11], v[12:13], v[6:7]
.LBB42_17:
	global_store_dwordx2 v[10:11], v[6:7], off
.LBB42_18:
	s_or_b32 exec_lo, exec_lo, s1
	v_add_nc_u32_e32 v10, 16, v15
	v_mad_i64_i32 v[6:7], null, v10, s2, 0
	v_cmp_gt_i32_e64 s0, s20, v10
	v_cmp_le_i32_e32 vcc_lo, v0, v10
	v_lshlrev_b64 v[6:7], 3, v[6:7]
	v_add_co_u32 v6, s1, s3, v6
	v_add_co_ci_u32_e64 v7, null, s4, v7, s1
	s_and_b32 s1, s0, vcc_lo
	s_and_saveexec_b32 s2, s1
	s_cbranch_execz .LBB42_22
; %bb.19:
	v_mul_f64 v[4:5], s[14:15], v[4:5]
	v_lshlrev_b64 v[0:1], 3, v[0:1]
	v_cmp_ne_u32_e32 vcc_lo, 1, v14
	v_add_co_u32 v0, s1, v6, v0
	v_add_co_ci_u32_e64 v1, null, v7, v1, s1
	s_cbranch_vccnz .LBB42_21
; %bb.20:
	global_load_dwordx2 v[11:12], v[0:1], off
	s_waitcnt vmcnt(0)
	v_fma_f64 v[4:5], s[10:11], v[11:12], v[4:5]
.LBB42_21:
	global_store_dwordx2 v[0:1], v[4:5], off
.LBB42_22:
	s_or_b32 exec_lo, exec_lo, s2
	v_cmp_le_i32_e32 vcc_lo, v8, v10
	s_and_b32 s0, s0, vcc_lo
	s_and_saveexec_b32 s1, s0
	s_cbranch_execz .LBB42_26
; %bb.23:
	v_mul_f64 v[0:1], s[14:15], v[2:3]
	v_lshlrev_b64 v[2:3], 3, v[8:9]
	v_cmp_ne_u32_e32 vcc_lo, 1, v14
	v_add_co_u32 v2, s0, v6, v2
	v_add_co_ci_u32_e64 v3, null, v7, v3, s0
	s_cbranch_vccnz .LBB42_25
; %bb.24:
	global_load_dwordx2 v[4:5], v[2:3], off
	s_waitcnt vmcnt(0)
	v_fma_f64 v[0:1], s[10:11], v[4:5], v[0:1]
.LBB42_25:
	global_store_dwordx2 v[2:3], v[0:1], off
.LBB42_26:
	s_endpgm
	.section	.rodata,"a",@progbits
	.p2align	6, 0x0
	.amdhsa_kernel _ZL29rocblas_internal_gemmt_kernelIiLi16ELi32ELi8ELc67ELc78ELc85ELb0ELb0EdPKdS1_PdEviT_T9_T10_S3_lS5_S3_lS4_T11_S3_li
		.amdhsa_group_segment_fixed_size 4096
		.amdhsa_private_segment_fixed_size 0
		.amdhsa_kernarg_size 100
		.amdhsa_user_sgpr_count 6
		.amdhsa_user_sgpr_private_segment_buffer 1
		.amdhsa_user_sgpr_dispatch_ptr 0
		.amdhsa_user_sgpr_queue_ptr 0
		.amdhsa_user_sgpr_kernarg_segment_ptr 1
		.amdhsa_user_sgpr_dispatch_id 0
		.amdhsa_user_sgpr_flat_scratch_init 0
		.amdhsa_user_sgpr_private_segment_size 0
		.amdhsa_wavefront_size32 1
		.amdhsa_uses_dynamic_stack 0
		.amdhsa_system_sgpr_private_segment_wavefront_offset 0
		.amdhsa_system_sgpr_workgroup_id_x 1
		.amdhsa_system_sgpr_workgroup_id_y 1
		.amdhsa_system_sgpr_workgroup_id_z 1
		.amdhsa_system_sgpr_workgroup_info 0
		.amdhsa_system_vgpr_workitem_id 1
		.amdhsa_next_free_vgpr 44
		.amdhsa_next_free_sgpr 25
		.amdhsa_reserve_vcc 1
		.amdhsa_reserve_flat_scratch 0
		.amdhsa_float_round_mode_32 0
		.amdhsa_float_round_mode_16_64 0
		.amdhsa_float_denorm_mode_32 3
		.amdhsa_float_denorm_mode_16_64 3
		.amdhsa_dx10_clamp 1
		.amdhsa_ieee_mode 1
		.amdhsa_fp16_overflow 0
		.amdhsa_workgroup_processor_mode 1
		.amdhsa_memory_ordered 1
		.amdhsa_forward_progress 1
		.amdhsa_shared_vgpr_count 0
		.amdhsa_exception_fp_ieee_invalid_op 0
		.amdhsa_exception_fp_denorm_src 0
		.amdhsa_exception_fp_ieee_div_zero 0
		.amdhsa_exception_fp_ieee_overflow 0
		.amdhsa_exception_fp_ieee_underflow 0
		.amdhsa_exception_fp_ieee_inexact 0
		.amdhsa_exception_int_div_zero 0
	.end_amdhsa_kernel
	.section	.text._ZL29rocblas_internal_gemmt_kernelIiLi16ELi32ELi8ELc67ELc78ELc85ELb0ELb0EdPKdS1_PdEviT_T9_T10_S3_lS5_S3_lS4_T11_S3_li,"axG",@progbits,_ZL29rocblas_internal_gemmt_kernelIiLi16ELi32ELi8ELc67ELc78ELc85ELb0ELb0EdPKdS1_PdEviT_T9_T10_S3_lS5_S3_lS4_T11_S3_li,comdat
.Lfunc_end42:
	.size	_ZL29rocblas_internal_gemmt_kernelIiLi16ELi32ELi8ELc67ELc78ELc85ELb0ELb0EdPKdS1_PdEviT_T9_T10_S3_lS5_S3_lS4_T11_S3_li, .Lfunc_end42-_ZL29rocblas_internal_gemmt_kernelIiLi16ELi32ELi8ELc67ELc78ELc85ELb0ELb0EdPKdS1_PdEviT_T9_T10_S3_lS5_S3_lS4_T11_S3_li
                                        ; -- End function
	.set _ZL29rocblas_internal_gemmt_kernelIiLi16ELi32ELi8ELc67ELc78ELc85ELb0ELb0EdPKdS1_PdEviT_T9_T10_S3_lS5_S3_lS4_T11_S3_li.num_vgpr, 44
	.set _ZL29rocblas_internal_gemmt_kernelIiLi16ELi32ELi8ELc67ELc78ELc85ELb0ELb0EdPKdS1_PdEviT_T9_T10_S3_lS5_S3_lS4_T11_S3_li.num_agpr, 0
	.set _ZL29rocblas_internal_gemmt_kernelIiLi16ELi32ELi8ELc67ELc78ELc85ELb0ELb0EdPKdS1_PdEviT_T9_T10_S3_lS5_S3_lS4_T11_S3_li.numbered_sgpr, 25
	.set _ZL29rocblas_internal_gemmt_kernelIiLi16ELi32ELi8ELc67ELc78ELc85ELb0ELb0EdPKdS1_PdEviT_T9_T10_S3_lS5_S3_lS4_T11_S3_li.num_named_barrier, 0
	.set _ZL29rocblas_internal_gemmt_kernelIiLi16ELi32ELi8ELc67ELc78ELc85ELb0ELb0EdPKdS1_PdEviT_T9_T10_S3_lS5_S3_lS4_T11_S3_li.private_seg_size, 0
	.set _ZL29rocblas_internal_gemmt_kernelIiLi16ELi32ELi8ELc67ELc78ELc85ELb0ELb0EdPKdS1_PdEviT_T9_T10_S3_lS5_S3_lS4_T11_S3_li.uses_vcc, 1
	.set _ZL29rocblas_internal_gemmt_kernelIiLi16ELi32ELi8ELc67ELc78ELc85ELb0ELb0EdPKdS1_PdEviT_T9_T10_S3_lS5_S3_lS4_T11_S3_li.uses_flat_scratch, 0
	.set _ZL29rocblas_internal_gemmt_kernelIiLi16ELi32ELi8ELc67ELc78ELc85ELb0ELb0EdPKdS1_PdEviT_T9_T10_S3_lS5_S3_lS4_T11_S3_li.has_dyn_sized_stack, 0
	.set _ZL29rocblas_internal_gemmt_kernelIiLi16ELi32ELi8ELc67ELc78ELc85ELb0ELb0EdPKdS1_PdEviT_T9_T10_S3_lS5_S3_lS4_T11_S3_li.has_recursion, 0
	.set _ZL29rocblas_internal_gemmt_kernelIiLi16ELi32ELi8ELc67ELc78ELc85ELb0ELb0EdPKdS1_PdEviT_T9_T10_S3_lS5_S3_lS4_T11_S3_li.has_indirect_call, 0
	.section	.AMDGPU.csdata,"",@progbits
; Kernel info:
; codeLenInByte = 1652
; TotalNumSgprs: 27
; NumVgprs: 44
; ScratchSize: 0
; MemoryBound: 0
; FloatMode: 240
; IeeeMode: 1
; LDSByteSize: 4096 bytes/workgroup (compile time only)
; SGPRBlocks: 0
; VGPRBlocks: 5
; NumSGPRsForWavesPerEU: 27
; NumVGPRsForWavesPerEU: 44
; Occupancy: 16
; WaveLimiterHint : 0
; COMPUTE_PGM_RSRC2:SCRATCH_EN: 0
; COMPUTE_PGM_RSRC2:USER_SGPR: 6
; COMPUTE_PGM_RSRC2:TRAP_HANDLER: 0
; COMPUTE_PGM_RSRC2:TGID_X_EN: 1
; COMPUTE_PGM_RSRC2:TGID_Y_EN: 1
; COMPUTE_PGM_RSRC2:TGID_Z_EN: 1
; COMPUTE_PGM_RSRC2:TIDIG_COMP_CNT: 1
	.section	.text._ZL29rocblas_internal_gemmt_kernelIiLi16ELi32ELi8ELc67ELc84ELc85ELb0ELb0EdPKdS1_PdEviT_T9_T10_S3_lS5_S3_lS4_T11_S3_li,"axG",@progbits,_ZL29rocblas_internal_gemmt_kernelIiLi16ELi32ELi8ELc67ELc84ELc85ELb0ELb0EdPKdS1_PdEviT_T9_T10_S3_lS5_S3_lS4_T11_S3_li,comdat
	.globl	_ZL29rocblas_internal_gemmt_kernelIiLi16ELi32ELi8ELc67ELc84ELc85ELb0ELb0EdPKdS1_PdEviT_T9_T10_S3_lS5_S3_lS4_T11_S3_li ; -- Begin function _ZL29rocblas_internal_gemmt_kernelIiLi16ELi32ELi8ELc67ELc84ELc85ELb0ELb0EdPKdS1_PdEviT_T9_T10_S3_lS5_S3_lS4_T11_S3_li
	.p2align	8
	.type	_ZL29rocblas_internal_gemmt_kernelIiLi16ELi32ELi8ELc67ELc84ELc85ELb0ELb0EdPKdS1_PdEviT_T9_T10_S3_lS5_S3_lS4_T11_S3_li,@function
_ZL29rocblas_internal_gemmt_kernelIiLi16ELi32ELi8ELc67ELc84ELc85ELb0ELb0EdPKdS1_PdEviT_T9_T10_S3_lS5_S3_lS4_T11_S3_li: ; @_ZL29rocblas_internal_gemmt_kernelIiLi16ELi32ELi8ELc67ELc84ELc85ELb0ELb0EdPKdS1_PdEviT_T9_T10_S3_lS5_S3_lS4_T11_S3_li
; %bb.0:
	s_load_dwordx4 s[12:15], s[4:5], 0x38
	s_waitcnt lgkmcnt(0)
	s_load_dwordx2 s[10:11], s[14:15], 0x0
	s_clause 0x1
	s_load_dwordx4 s[0:3], s[4:5], 0x8
	s_load_dwordx2 s[20:21], s[4:5], 0x0
	s_waitcnt lgkmcnt(0)
	s_load_dwordx2 s[14:15], s[0:1], 0x0
	v_cmp_neq_f64_e64 s9, s[10:11], 1.0
	s_and_b32 vcc_lo, exec_lo, s9
	s_cbranch_vccnz .LBB43_2
; %bb.1:
	s_waitcnt lgkmcnt(0)
	v_cmp_neq_f64_e64 s0, s[14:15], 0
	s_cmp_lg_u32 s21, 0
	s_cselect_b32 s1, -1, 0
	s_and_b32 s9, s1, s0
.LBB43_2:
	s_andn2_b32 vcc_lo, exec_lo, s9
	s_cbranch_vccnz .LBB43_26
; %bb.3:
	s_waitcnt lgkmcnt(0)
	v_cmp_eq_f64_e64 s0, s[14:15], 0
	s_load_dwordx2 s[22:23], s[4:5], 0x48
	s_lshl_b32 s6, s6, 5
	s_lshl_b32 s7, s7, 5
	s_cmp_lt_i32 s21, 1
	v_mov_b32_e32 v12, 0
	s_cselect_b32 s1, -1, 0
	v_mov_b32_e32 v6, 0
	v_mov_b32_e32 v4, 0
	;; [unrolled: 1-line block ×7, first 2 shown]
	s_mov_b32 s9, 0
	s_or_b32 s0, s0, s1
	s_and_b32 vcc_lo, exec_lo, s0
	s_cbranch_vccnz .LBB43_10
; %bb.4:
	s_load_dword s0, s[4:5], 0x18
	v_lshl_add_u32 v2, v1, 4, v0
	s_clause 0x1
	s_load_dwordx4 s[16:19], s[4:5], 0x20
	s_load_dword s24, s[4:5], 0x30
	v_and_b32_e32 v18, 7, v0
	v_mov_b32_e32 v12, 0
	v_lshlrev_b32_e32 v19, 3, v0
	v_and_b32_e32 v3, 31, v2
	v_lshrrev_b32_e32 v4, 3, v2
	v_lshlrev_b32_e32 v5, 3, v18
	v_lshrrev_b32_e32 v21, 5, v2
	v_lshl_add_u32 v20, v1, 6, 0x800
	v_add_nc_u32_e32 v7, s6, v3
	v_add_nc_u32_e32 v2, s7, v4
	v_lshl_or_b32 v8, v4, 6, v5
	v_or_b32_e32 v6, s6, v3
	v_lshlrev_b32_e32 v3, 3, v3
	v_lshlrev_b32_e32 v10, 3, v21
	v_mov_b32_e32 v13, 0
	v_add_nc_u32_e32 v23, 0x800, v8
	v_cmp_gt_i32_e32 vcc_lo, s20, v6
	s_waitcnt lgkmcnt(0)
	v_mad_i64_i32 v[4:5], null, s0, v7, 0
	s_mul_i32 s1, s17, s8
	s_mul_hi_u32 s17, s16, s8
	v_mad_i64_i32 v[6:7], null, s24, v18, 0
	s_mul_i32 s16, s16, s8
	s_add_i32 s17, s17, s1
	v_lshlrev_b64 v[4:5], 3, v[4:5]
	s_lshl_b64 s[16:17], s[16:17], 3
	v_lshl_or_b32 v22, v21, 8, v3
	v_ashrrev_i32_e32 v3, 31, v2
	v_cmp_gt_i32_e64 s0, s20, v2
	s_ashr_i32 s25, s24, 31
	v_add_co_u32 v8, s1, v4, s16
	v_add_co_ci_u32_e64 v9, null, s17, v5, s1
	s_mul_i32 s1, s13, s8
	s_mul_hi_u32 s13, s12, s8
	v_lshlrev_b64 v[4:5], 3, v[6:7]
	s_add_i32 s13, s13, s1
	s_mul_i32 s12, s12, s8
	v_add_co_u32 v6, s1, v8, v10
	s_lshl_b64 s[12:13], s[12:13], 3
	v_lshlrev_b64 v[2:3], 3, v[2:3]
	v_add_co_ci_u32_e64 v7, null, 0, v9, s1
	v_add_co_u32 v4, s1, s12, v4
	v_add_co_ci_u32_e64 v5, null, s13, v5, s1
	v_add_co_u32 v8, s1, s2, v6
	;; [unrolled: 2-line block ×3, first 2 shown]
	v_add_co_ci_u32_e64 v11, null, v5, v3, s1
	v_mov_b32_e32 v2, 0
	v_add_co_u32 v10, s1, s18, v10
	v_mov_b32_e32 v4, 0
	v_mov_b32_e32 v6, 0
	;; [unrolled: 1-line block ×5, first 2 shown]
	v_add_co_ci_u32_e64 v11, null, s19, v11, s1
	s_lshl_b64 s[2:3], s[24:25], 6
	s_branch .LBB43_6
.LBB43_5:                               ;   in Loop: Header=BB43_6 Depth=1
	s_or_b32 exec_lo, exec_lo, s1
	s_waitcnt vmcnt(0)
	ds_write_b64 v23, v[16:17]
	s_waitcnt lgkmcnt(0)
	s_barrier
	buffer_gl0_inv
	ds_read_b128 v[14:17], v20
	ds_read2_b64 v[24:27], v19 offset1:16
	ds_read_b128 v[28:31], v20 offset:1024
	ds_read_b128 v[32:35], v20 offset:16
	ds_read2_b64 v[36:39], v19 offset0:32 offset1:48
	ds_read_b128 v[40:43], v20 offset:1040
	v_add_co_u32 v8, s1, v8, 64
	v_add_co_ci_u32_e64 v9, null, 0, v9, s1
	v_add_co_u32 v10, s1, v10, s2
	v_add_co_ci_u32_e64 v11, null, s3, v11, s1
	s_add_i32 s9, s9, 8
	s_cmp_lt_i32 s9, s21
	s_waitcnt lgkmcnt(4)
	v_fma_f64 v[12:13], v[24:25], v[14:15], v[12:13]
	v_fma_f64 v[6:7], v[26:27], v[14:15], v[6:7]
	s_waitcnt lgkmcnt(3)
	v_fma_f64 v[14:15], v[24:25], v[28:29], v[4:5]
	v_fma_f64 v[24:25], v[26:27], v[28:29], v[2:3]
	ds_read2_b64 v[2:5], v19 offset0:64 offset1:80
	s_waitcnt lgkmcnt(2)
	v_fma_f64 v[26:27], v[36:37], v[16:17], v[12:13]
	v_fma_f64 v[6:7], v[38:39], v[16:17], v[6:7]
	;; [unrolled: 1-line block ×4, first 2 shown]
	ds_read2_b64 v[12:15], v19 offset0:96 offset1:112
	s_waitcnt lgkmcnt(1)
	v_fma_f64 v[28:29], v[2:3], v[32:33], v[26:27]
	v_fma_f64 v[6:7], v[4:5], v[32:33], v[6:7]
	;; [unrolled: 1-line block ×4, first 2 shown]
	ds_read_b128 v[2:5], v20 offset:32
	ds_read2_b64 v[24:27], v19 offset0:128 offset1:144
	s_waitcnt lgkmcnt(2)
	v_fma_f64 v[40:41], v[12:13], v[34:35], v[28:29]
	v_fma_f64 v[6:7], v[14:15], v[34:35], v[6:7]
	;; [unrolled: 1-line block ×4, first 2 shown]
	ds_read_b128 v[12:15], v20 offset:1056
	ds_read_b128 v[28:31], v20 offset:48
	ds_read2_b64 v[32:35], v19 offset0:160 offset1:176
	ds_read_b128 v[36:39], v20 offset:1072
	s_waitcnt lgkmcnt(4)
	v_fma_f64 v[40:41], v[24:25], v[2:3], v[40:41]
	v_fma_f64 v[2:3], v[26:27], v[2:3], v[6:7]
	s_waitcnt lgkmcnt(3)
	v_fma_f64 v[6:7], v[24:25], v[12:13], v[16:17]
	v_fma_f64 v[12:13], v[26:27], v[12:13], v[42:43]
	ds_read2_b64 v[24:27], v19 offset0:192 offset1:208
	s_waitcnt lgkmcnt(2)
	v_fma_f64 v[40:41], v[32:33], v[4:5], v[40:41]
	v_fma_f64 v[2:3], v[34:35], v[4:5], v[2:3]
	;; [unrolled: 1-line block ×4, first 2 shown]
	ds_read2_b64 v[14:17], v19 offset0:224 offset1:240
	s_waitcnt lgkmcnt(0)
	s_barrier
	buffer_gl0_inv
	v_fma_f64 v[12:13], v[24:25], v[28:29], v[40:41]
	v_fma_f64 v[2:3], v[26:27], v[28:29], v[2:3]
	;; [unrolled: 1-line block ×8, first 2 shown]
	s_cbranch_scc0 .LBB43_10
.LBB43_6:                               ; =>This Inner Loop Header: Depth=1
	v_add_nc_u32_e32 v14, s9, v21
	v_cmp_gt_i32_e64 s1, s21, v14
	v_mov_b32_e32 v14, 0
	v_mov_b32_e32 v15, 0
	s_and_b32 s12, vcc_lo, s1
	s_and_saveexec_b32 s1, s12
	s_cbranch_execz .LBB43_8
; %bb.7:                                ;   in Loop: Header=BB43_6 Depth=1
	global_load_dwordx2 v[14:15], v[8:9], off
.LBB43_8:                               ;   in Loop: Header=BB43_6 Depth=1
	s_or_b32 exec_lo, exec_lo, s1
	v_add_nc_u32_e32 v16, s9, v18
	s_waitcnt vmcnt(0)
	ds_write_b64 v22, v[14:15]
	v_cmp_gt_i32_e64 s1, s21, v16
	v_mov_b32_e32 v16, 0
	v_mov_b32_e32 v17, 0
	s_and_b32 s12, s1, s0
	s_and_saveexec_b32 s1, s12
	s_cbranch_execz .LBB43_5
; %bb.9:                                ;   in Loop: Header=BB43_6 Depth=1
	global_load_dwordx2 v[16:17], v[10:11], off
	s_branch .LBB43_5
.LBB43_10:
	s_clause 0x1
	s_load_dword s2, s[4:5], 0x50
	s_load_dwordx2 s[4:5], s[4:5], 0x58
	v_add_nc_u32_e32 v15, s7, v1
	v_add_nc_u32_e32 v0, s6, v0
	v_cmp_gt_i32_e64 s0, s20, v15
	v_cmp_le_i32_e32 vcc_lo, v0, v15
	v_ashrrev_i32_e32 v1, 31, v0
	s_waitcnt lgkmcnt(0)
	v_mad_i64_i32 v[8:9], null, v15, s2, 0
	s_mul_i32 s1, s5, s8
	s_mul_hi_u32 s3, s4, s8
	s_mul_i32 s4, s4, s8
	s_add_i32 s5, s3, s1
	s_lshl_b64 s[4:5], s[4:5], 3
	v_lshlrev_b64 v[8:9], 3, v[8:9]
	s_add_u32 s3, s22, s4
	s_addc_u32 s4, s23, s5
	v_cmp_neq_f64_e64 s5, s[10:11], 0
	s_and_b32 s6, s0, vcc_lo
	v_add_co_u32 v16, s1, s3, v8
	v_add_co_ci_u32_e64 v17, null, s4, v9, s1
	v_cndmask_b32_e64 v14, 0, 1, s5
	s_and_saveexec_b32 s1, s6
	s_cbranch_execz .LBB43_14
; %bb.11:
	v_mul_f64 v[8:9], s[14:15], v[12:13]
	v_lshlrev_b64 v[10:11], 3, v[0:1]
	v_add_co_u32 v10, vcc_lo, v16, v10
	v_add_co_ci_u32_e64 v11, null, v17, v11, vcc_lo
	s_andn2_b32 vcc_lo, exec_lo, s5
	s_cbranch_vccnz .LBB43_13
; %bb.12:
	global_load_dwordx2 v[12:13], v[10:11], off
	s_waitcnt vmcnt(0)
	v_fma_f64 v[8:9], s[10:11], v[12:13], v[8:9]
.LBB43_13:
	global_store_dwordx2 v[10:11], v[8:9], off
.LBB43_14:
	s_or_b32 exec_lo, exec_lo, s1
	v_add_nc_u32_e32 v8, 16, v0
	v_cmp_le_i32_e32 vcc_lo, v8, v15
	v_ashrrev_i32_e32 v9, 31, v8
	s_and_b32 s0, s0, vcc_lo
	s_and_saveexec_b32 s1, s0
	s_cbranch_execz .LBB43_18
; %bb.15:
	v_mul_f64 v[6:7], s[14:15], v[6:7]
	v_lshlrev_b64 v[10:11], 3, v[8:9]
	v_cmp_ne_u32_e32 vcc_lo, 1, v14
	v_add_co_u32 v10, s0, v16, v10
	v_add_co_ci_u32_e64 v11, null, v17, v11, s0
	s_cbranch_vccnz .LBB43_17
; %bb.16:
	global_load_dwordx2 v[12:13], v[10:11], off
	s_waitcnt vmcnt(0)
	v_fma_f64 v[6:7], s[10:11], v[12:13], v[6:7]
.LBB43_17:
	global_store_dwordx2 v[10:11], v[6:7], off
.LBB43_18:
	s_or_b32 exec_lo, exec_lo, s1
	v_add_nc_u32_e32 v10, 16, v15
	v_mad_i64_i32 v[6:7], null, v10, s2, 0
	v_cmp_gt_i32_e64 s0, s20, v10
	v_cmp_le_i32_e32 vcc_lo, v0, v10
	v_lshlrev_b64 v[6:7], 3, v[6:7]
	v_add_co_u32 v6, s1, s3, v6
	v_add_co_ci_u32_e64 v7, null, s4, v7, s1
	s_and_b32 s1, s0, vcc_lo
	s_and_saveexec_b32 s2, s1
	s_cbranch_execz .LBB43_22
; %bb.19:
	v_mul_f64 v[4:5], s[14:15], v[4:5]
	v_lshlrev_b64 v[0:1], 3, v[0:1]
	v_cmp_ne_u32_e32 vcc_lo, 1, v14
	v_add_co_u32 v0, s1, v6, v0
	v_add_co_ci_u32_e64 v1, null, v7, v1, s1
	s_cbranch_vccnz .LBB43_21
; %bb.20:
	global_load_dwordx2 v[11:12], v[0:1], off
	s_waitcnt vmcnt(0)
	v_fma_f64 v[4:5], s[10:11], v[11:12], v[4:5]
.LBB43_21:
	global_store_dwordx2 v[0:1], v[4:5], off
.LBB43_22:
	s_or_b32 exec_lo, exec_lo, s2
	v_cmp_le_i32_e32 vcc_lo, v8, v10
	s_and_b32 s0, s0, vcc_lo
	s_and_saveexec_b32 s1, s0
	s_cbranch_execz .LBB43_26
; %bb.23:
	v_mul_f64 v[0:1], s[14:15], v[2:3]
	v_lshlrev_b64 v[2:3], 3, v[8:9]
	v_cmp_ne_u32_e32 vcc_lo, 1, v14
	v_add_co_u32 v2, s0, v6, v2
	v_add_co_ci_u32_e64 v3, null, v7, v3, s0
	s_cbranch_vccnz .LBB43_25
; %bb.24:
	global_load_dwordx2 v[4:5], v[2:3], off
	s_waitcnt vmcnt(0)
	v_fma_f64 v[0:1], s[10:11], v[4:5], v[0:1]
.LBB43_25:
	global_store_dwordx2 v[2:3], v[0:1], off
.LBB43_26:
	s_endpgm
	.section	.rodata,"a",@progbits
	.p2align	6, 0x0
	.amdhsa_kernel _ZL29rocblas_internal_gemmt_kernelIiLi16ELi32ELi8ELc67ELc84ELc85ELb0ELb0EdPKdS1_PdEviT_T9_T10_S3_lS5_S3_lS4_T11_S3_li
		.amdhsa_group_segment_fixed_size 4096
		.amdhsa_private_segment_fixed_size 0
		.amdhsa_kernarg_size 100
		.amdhsa_user_sgpr_count 6
		.amdhsa_user_sgpr_private_segment_buffer 1
		.amdhsa_user_sgpr_dispatch_ptr 0
		.amdhsa_user_sgpr_queue_ptr 0
		.amdhsa_user_sgpr_kernarg_segment_ptr 1
		.amdhsa_user_sgpr_dispatch_id 0
		.amdhsa_user_sgpr_flat_scratch_init 0
		.amdhsa_user_sgpr_private_segment_size 0
		.amdhsa_wavefront_size32 1
		.amdhsa_uses_dynamic_stack 0
		.amdhsa_system_sgpr_private_segment_wavefront_offset 0
		.amdhsa_system_sgpr_workgroup_id_x 1
		.amdhsa_system_sgpr_workgroup_id_y 1
		.amdhsa_system_sgpr_workgroup_id_z 1
		.amdhsa_system_sgpr_workgroup_info 0
		.amdhsa_system_vgpr_workitem_id 1
		.amdhsa_next_free_vgpr 44
		.amdhsa_next_free_sgpr 26
		.amdhsa_reserve_vcc 1
		.amdhsa_reserve_flat_scratch 0
		.amdhsa_float_round_mode_32 0
		.amdhsa_float_round_mode_16_64 0
		.amdhsa_float_denorm_mode_32 3
		.amdhsa_float_denorm_mode_16_64 3
		.amdhsa_dx10_clamp 1
		.amdhsa_ieee_mode 1
		.amdhsa_fp16_overflow 0
		.amdhsa_workgroup_processor_mode 1
		.amdhsa_memory_ordered 1
		.amdhsa_forward_progress 1
		.amdhsa_shared_vgpr_count 0
		.amdhsa_exception_fp_ieee_invalid_op 0
		.amdhsa_exception_fp_denorm_src 0
		.amdhsa_exception_fp_ieee_div_zero 0
		.amdhsa_exception_fp_ieee_overflow 0
		.amdhsa_exception_fp_ieee_underflow 0
		.amdhsa_exception_fp_ieee_inexact 0
		.amdhsa_exception_int_div_zero 0
	.end_amdhsa_kernel
	.section	.text._ZL29rocblas_internal_gemmt_kernelIiLi16ELi32ELi8ELc67ELc84ELc85ELb0ELb0EdPKdS1_PdEviT_T9_T10_S3_lS5_S3_lS4_T11_S3_li,"axG",@progbits,_ZL29rocblas_internal_gemmt_kernelIiLi16ELi32ELi8ELc67ELc84ELc85ELb0ELb0EdPKdS1_PdEviT_T9_T10_S3_lS5_S3_lS4_T11_S3_li,comdat
.Lfunc_end43:
	.size	_ZL29rocblas_internal_gemmt_kernelIiLi16ELi32ELi8ELc67ELc84ELc85ELb0ELb0EdPKdS1_PdEviT_T9_T10_S3_lS5_S3_lS4_T11_S3_li, .Lfunc_end43-_ZL29rocblas_internal_gemmt_kernelIiLi16ELi32ELi8ELc67ELc84ELc85ELb0ELb0EdPKdS1_PdEviT_T9_T10_S3_lS5_S3_lS4_T11_S3_li
                                        ; -- End function
	.set _ZL29rocblas_internal_gemmt_kernelIiLi16ELi32ELi8ELc67ELc84ELc85ELb0ELb0EdPKdS1_PdEviT_T9_T10_S3_lS5_S3_lS4_T11_S3_li.num_vgpr, 44
	.set _ZL29rocblas_internal_gemmt_kernelIiLi16ELi32ELi8ELc67ELc84ELc85ELb0ELb0EdPKdS1_PdEviT_T9_T10_S3_lS5_S3_lS4_T11_S3_li.num_agpr, 0
	.set _ZL29rocblas_internal_gemmt_kernelIiLi16ELi32ELi8ELc67ELc84ELc85ELb0ELb0EdPKdS1_PdEviT_T9_T10_S3_lS5_S3_lS4_T11_S3_li.numbered_sgpr, 26
	.set _ZL29rocblas_internal_gemmt_kernelIiLi16ELi32ELi8ELc67ELc84ELc85ELb0ELb0EdPKdS1_PdEviT_T9_T10_S3_lS5_S3_lS4_T11_S3_li.num_named_barrier, 0
	.set _ZL29rocblas_internal_gemmt_kernelIiLi16ELi32ELi8ELc67ELc84ELc85ELb0ELb0EdPKdS1_PdEviT_T9_T10_S3_lS5_S3_lS4_T11_S3_li.private_seg_size, 0
	.set _ZL29rocblas_internal_gemmt_kernelIiLi16ELi32ELi8ELc67ELc84ELc85ELb0ELb0EdPKdS1_PdEviT_T9_T10_S3_lS5_S3_lS4_T11_S3_li.uses_vcc, 1
	.set _ZL29rocblas_internal_gemmt_kernelIiLi16ELi32ELi8ELc67ELc84ELc85ELb0ELb0EdPKdS1_PdEviT_T9_T10_S3_lS5_S3_lS4_T11_S3_li.uses_flat_scratch, 0
	.set _ZL29rocblas_internal_gemmt_kernelIiLi16ELi32ELi8ELc67ELc84ELc85ELb0ELb0EdPKdS1_PdEviT_T9_T10_S3_lS5_S3_lS4_T11_S3_li.has_dyn_sized_stack, 0
	.set _ZL29rocblas_internal_gemmt_kernelIiLi16ELi32ELi8ELc67ELc84ELc85ELb0ELb0EdPKdS1_PdEviT_T9_T10_S3_lS5_S3_lS4_T11_S3_li.has_recursion, 0
	.set _ZL29rocblas_internal_gemmt_kernelIiLi16ELi32ELi8ELc67ELc84ELc85ELb0ELb0EdPKdS1_PdEviT_T9_T10_S3_lS5_S3_lS4_T11_S3_li.has_indirect_call, 0
	.section	.AMDGPU.csdata,"",@progbits
; Kernel info:
; codeLenInByte = 1672
; TotalNumSgprs: 28
; NumVgprs: 44
; ScratchSize: 0
; MemoryBound: 0
; FloatMode: 240
; IeeeMode: 1
; LDSByteSize: 4096 bytes/workgroup (compile time only)
; SGPRBlocks: 0
; VGPRBlocks: 5
; NumSGPRsForWavesPerEU: 28
; NumVGPRsForWavesPerEU: 44
; Occupancy: 16
; WaveLimiterHint : 0
; COMPUTE_PGM_RSRC2:SCRATCH_EN: 0
; COMPUTE_PGM_RSRC2:USER_SGPR: 6
; COMPUTE_PGM_RSRC2:TRAP_HANDLER: 0
; COMPUTE_PGM_RSRC2:TGID_X_EN: 1
; COMPUTE_PGM_RSRC2:TGID_Y_EN: 1
; COMPUTE_PGM_RSRC2:TGID_Z_EN: 1
; COMPUTE_PGM_RSRC2:TIDIG_COMP_CNT: 1
	.section	.text._ZL29rocblas_internal_gemmt_kernelIiLi16ELi32ELi8ELc67ELc67ELc85ELb0ELb0EdPKdS1_PdEviT_T9_T10_S3_lS5_S3_lS4_T11_S3_li,"axG",@progbits,_ZL29rocblas_internal_gemmt_kernelIiLi16ELi32ELi8ELc67ELc67ELc85ELb0ELb0EdPKdS1_PdEviT_T9_T10_S3_lS5_S3_lS4_T11_S3_li,comdat
	.globl	_ZL29rocblas_internal_gemmt_kernelIiLi16ELi32ELi8ELc67ELc67ELc85ELb0ELb0EdPKdS1_PdEviT_T9_T10_S3_lS5_S3_lS4_T11_S3_li ; -- Begin function _ZL29rocblas_internal_gemmt_kernelIiLi16ELi32ELi8ELc67ELc67ELc85ELb0ELb0EdPKdS1_PdEviT_T9_T10_S3_lS5_S3_lS4_T11_S3_li
	.p2align	8
	.type	_ZL29rocblas_internal_gemmt_kernelIiLi16ELi32ELi8ELc67ELc67ELc85ELb0ELb0EdPKdS1_PdEviT_T9_T10_S3_lS5_S3_lS4_T11_S3_li,@function
_ZL29rocblas_internal_gemmt_kernelIiLi16ELi32ELi8ELc67ELc67ELc85ELb0ELb0EdPKdS1_PdEviT_T9_T10_S3_lS5_S3_lS4_T11_S3_li: ; @_ZL29rocblas_internal_gemmt_kernelIiLi16ELi32ELi8ELc67ELc67ELc85ELb0ELb0EdPKdS1_PdEviT_T9_T10_S3_lS5_S3_lS4_T11_S3_li
; %bb.0:
	s_load_dwordx4 s[12:15], s[4:5], 0x38
	s_waitcnt lgkmcnt(0)
	s_load_dwordx2 s[10:11], s[14:15], 0x0
	s_clause 0x1
	s_load_dwordx4 s[0:3], s[4:5], 0x8
	s_load_dwordx2 s[20:21], s[4:5], 0x0
	s_waitcnt lgkmcnt(0)
	s_load_dwordx2 s[14:15], s[0:1], 0x0
	v_cmp_neq_f64_e64 s9, s[10:11], 1.0
	s_and_b32 vcc_lo, exec_lo, s9
	s_cbranch_vccnz .LBB44_2
; %bb.1:
	s_waitcnt lgkmcnt(0)
	v_cmp_neq_f64_e64 s0, s[14:15], 0
	s_cmp_lg_u32 s21, 0
	s_cselect_b32 s1, -1, 0
	s_and_b32 s9, s1, s0
.LBB44_2:
	s_andn2_b32 vcc_lo, exec_lo, s9
	s_cbranch_vccnz .LBB44_26
; %bb.3:
	s_waitcnt lgkmcnt(0)
	v_cmp_eq_f64_e64 s0, s[14:15], 0
	s_load_dwordx2 s[22:23], s[4:5], 0x48
	s_lshl_b32 s6, s6, 5
	s_lshl_b32 s7, s7, 5
	s_cmp_lt_i32 s21, 1
	v_mov_b32_e32 v12, 0
	s_cselect_b32 s1, -1, 0
	v_mov_b32_e32 v6, 0
	v_mov_b32_e32 v4, 0
	;; [unrolled: 1-line block ×7, first 2 shown]
	s_mov_b32 s9, 0
	s_or_b32 s0, s0, s1
	s_and_b32 vcc_lo, exec_lo, s0
	s_cbranch_vccnz .LBB44_10
; %bb.4:
	s_load_dword s0, s[4:5], 0x18
	v_lshl_add_u32 v2, v1, 4, v0
	s_clause 0x1
	s_load_dwordx4 s[16:19], s[4:5], 0x20
	s_load_dword s24, s[4:5], 0x30
	v_and_b32_e32 v18, 7, v0
	v_mov_b32_e32 v12, 0
	v_lshlrev_b32_e32 v19, 3, v0
	v_and_b32_e32 v3, 31, v2
	v_lshrrev_b32_e32 v4, 3, v2
	v_lshlrev_b32_e32 v5, 3, v18
	v_lshrrev_b32_e32 v21, 5, v2
	v_lshl_add_u32 v20, v1, 6, 0x800
	v_add_nc_u32_e32 v7, s6, v3
	v_add_nc_u32_e32 v2, s7, v4
	v_lshl_or_b32 v8, v4, 6, v5
	v_or_b32_e32 v6, s6, v3
	v_lshlrev_b32_e32 v3, 3, v3
	v_lshlrev_b32_e32 v10, 3, v21
	v_mov_b32_e32 v13, 0
	v_add_nc_u32_e32 v23, 0x800, v8
	v_cmp_gt_i32_e32 vcc_lo, s20, v6
	s_waitcnt lgkmcnt(0)
	v_mad_i64_i32 v[4:5], null, s0, v7, 0
	s_mul_i32 s1, s17, s8
	s_mul_hi_u32 s17, s16, s8
	v_mad_i64_i32 v[6:7], null, s24, v18, 0
	s_mul_i32 s16, s16, s8
	s_add_i32 s17, s17, s1
	v_lshlrev_b64 v[4:5], 3, v[4:5]
	s_lshl_b64 s[16:17], s[16:17], 3
	v_lshl_or_b32 v22, v21, 8, v3
	v_ashrrev_i32_e32 v3, 31, v2
	v_cmp_gt_i32_e64 s0, s20, v2
	s_ashr_i32 s25, s24, 31
	v_add_co_u32 v8, s1, v4, s16
	v_add_co_ci_u32_e64 v9, null, s17, v5, s1
	s_mul_i32 s1, s13, s8
	s_mul_hi_u32 s13, s12, s8
	v_lshlrev_b64 v[4:5], 3, v[6:7]
	s_add_i32 s13, s13, s1
	s_mul_i32 s12, s12, s8
	v_add_co_u32 v6, s1, v8, v10
	s_lshl_b64 s[12:13], s[12:13], 3
	v_lshlrev_b64 v[2:3], 3, v[2:3]
	v_add_co_ci_u32_e64 v7, null, 0, v9, s1
	v_add_co_u32 v4, s1, s12, v4
	v_add_co_ci_u32_e64 v5, null, s13, v5, s1
	v_add_co_u32 v8, s1, s2, v6
	;; [unrolled: 2-line block ×3, first 2 shown]
	v_add_co_ci_u32_e64 v11, null, v5, v3, s1
	v_mov_b32_e32 v2, 0
	v_add_co_u32 v10, s1, s18, v10
	v_mov_b32_e32 v4, 0
	v_mov_b32_e32 v6, 0
	;; [unrolled: 1-line block ×5, first 2 shown]
	v_add_co_ci_u32_e64 v11, null, s19, v11, s1
	s_lshl_b64 s[2:3], s[24:25], 6
	s_branch .LBB44_6
.LBB44_5:                               ;   in Loop: Header=BB44_6 Depth=1
	s_or_b32 exec_lo, exec_lo, s1
	s_waitcnt vmcnt(0)
	ds_write_b64 v23, v[16:17]
	s_waitcnt lgkmcnt(0)
	s_barrier
	buffer_gl0_inv
	ds_read_b128 v[14:17], v20
	ds_read2_b64 v[24:27], v19 offset1:16
	ds_read_b128 v[28:31], v20 offset:1024
	ds_read_b128 v[32:35], v20 offset:16
	ds_read2_b64 v[36:39], v19 offset0:32 offset1:48
	ds_read_b128 v[40:43], v20 offset:1040
	v_add_co_u32 v8, s1, v8, 64
	v_add_co_ci_u32_e64 v9, null, 0, v9, s1
	v_add_co_u32 v10, s1, v10, s2
	v_add_co_ci_u32_e64 v11, null, s3, v11, s1
	s_add_i32 s9, s9, 8
	s_cmp_lt_i32 s9, s21
	s_waitcnt lgkmcnt(4)
	v_fma_f64 v[12:13], v[24:25], v[14:15], v[12:13]
	v_fma_f64 v[6:7], v[26:27], v[14:15], v[6:7]
	s_waitcnt lgkmcnt(3)
	v_fma_f64 v[14:15], v[24:25], v[28:29], v[4:5]
	v_fma_f64 v[24:25], v[26:27], v[28:29], v[2:3]
	ds_read2_b64 v[2:5], v19 offset0:64 offset1:80
	s_waitcnt lgkmcnt(2)
	v_fma_f64 v[26:27], v[36:37], v[16:17], v[12:13]
	v_fma_f64 v[6:7], v[38:39], v[16:17], v[6:7]
	;; [unrolled: 1-line block ×4, first 2 shown]
	ds_read2_b64 v[12:15], v19 offset0:96 offset1:112
	s_waitcnt lgkmcnt(1)
	v_fma_f64 v[28:29], v[2:3], v[32:33], v[26:27]
	v_fma_f64 v[6:7], v[4:5], v[32:33], v[6:7]
	;; [unrolled: 1-line block ×4, first 2 shown]
	ds_read_b128 v[2:5], v20 offset:32
	ds_read2_b64 v[24:27], v19 offset0:128 offset1:144
	s_waitcnt lgkmcnt(2)
	v_fma_f64 v[40:41], v[12:13], v[34:35], v[28:29]
	v_fma_f64 v[6:7], v[14:15], v[34:35], v[6:7]
	;; [unrolled: 1-line block ×4, first 2 shown]
	ds_read_b128 v[12:15], v20 offset:1056
	ds_read_b128 v[28:31], v20 offset:48
	ds_read2_b64 v[32:35], v19 offset0:160 offset1:176
	ds_read_b128 v[36:39], v20 offset:1072
	s_waitcnt lgkmcnt(4)
	v_fma_f64 v[40:41], v[24:25], v[2:3], v[40:41]
	v_fma_f64 v[2:3], v[26:27], v[2:3], v[6:7]
	s_waitcnt lgkmcnt(3)
	v_fma_f64 v[6:7], v[24:25], v[12:13], v[16:17]
	v_fma_f64 v[12:13], v[26:27], v[12:13], v[42:43]
	ds_read2_b64 v[24:27], v19 offset0:192 offset1:208
	s_waitcnt lgkmcnt(2)
	v_fma_f64 v[40:41], v[32:33], v[4:5], v[40:41]
	v_fma_f64 v[2:3], v[34:35], v[4:5], v[2:3]
	;; [unrolled: 1-line block ×4, first 2 shown]
	ds_read2_b64 v[14:17], v19 offset0:224 offset1:240
	s_waitcnt lgkmcnt(0)
	s_barrier
	buffer_gl0_inv
	v_fma_f64 v[12:13], v[24:25], v[28:29], v[40:41]
	v_fma_f64 v[2:3], v[26:27], v[28:29], v[2:3]
	;; [unrolled: 1-line block ×8, first 2 shown]
	s_cbranch_scc0 .LBB44_10
.LBB44_6:                               ; =>This Inner Loop Header: Depth=1
	v_add_nc_u32_e32 v14, s9, v21
	v_cmp_gt_i32_e64 s1, s21, v14
	v_mov_b32_e32 v14, 0
	v_mov_b32_e32 v15, 0
	s_and_b32 s12, vcc_lo, s1
	s_and_saveexec_b32 s1, s12
	s_cbranch_execz .LBB44_8
; %bb.7:                                ;   in Loop: Header=BB44_6 Depth=1
	global_load_dwordx2 v[14:15], v[8:9], off
.LBB44_8:                               ;   in Loop: Header=BB44_6 Depth=1
	s_or_b32 exec_lo, exec_lo, s1
	v_add_nc_u32_e32 v16, s9, v18
	s_waitcnt vmcnt(0)
	ds_write_b64 v22, v[14:15]
	v_cmp_gt_i32_e64 s1, s21, v16
	v_mov_b32_e32 v16, 0
	v_mov_b32_e32 v17, 0
	s_and_b32 s12, s1, s0
	s_and_saveexec_b32 s1, s12
	s_cbranch_execz .LBB44_5
; %bb.9:                                ;   in Loop: Header=BB44_6 Depth=1
	global_load_dwordx2 v[16:17], v[10:11], off
	s_branch .LBB44_5
.LBB44_10:
	s_clause 0x1
	s_load_dword s2, s[4:5], 0x50
	s_load_dwordx2 s[4:5], s[4:5], 0x58
	v_add_nc_u32_e32 v15, s7, v1
	v_add_nc_u32_e32 v0, s6, v0
	v_cmp_gt_i32_e64 s0, s20, v15
	v_cmp_le_i32_e32 vcc_lo, v0, v15
	v_ashrrev_i32_e32 v1, 31, v0
	s_waitcnt lgkmcnt(0)
	v_mad_i64_i32 v[8:9], null, v15, s2, 0
	s_mul_i32 s1, s5, s8
	s_mul_hi_u32 s3, s4, s8
	s_mul_i32 s4, s4, s8
	s_add_i32 s5, s3, s1
	s_lshl_b64 s[4:5], s[4:5], 3
	v_lshlrev_b64 v[8:9], 3, v[8:9]
	s_add_u32 s3, s22, s4
	s_addc_u32 s4, s23, s5
	v_cmp_neq_f64_e64 s5, s[10:11], 0
	s_and_b32 s6, s0, vcc_lo
	v_add_co_u32 v16, s1, s3, v8
	v_add_co_ci_u32_e64 v17, null, s4, v9, s1
	v_cndmask_b32_e64 v14, 0, 1, s5
	s_and_saveexec_b32 s1, s6
	s_cbranch_execz .LBB44_14
; %bb.11:
	v_mul_f64 v[8:9], s[14:15], v[12:13]
	v_lshlrev_b64 v[10:11], 3, v[0:1]
	v_add_co_u32 v10, vcc_lo, v16, v10
	v_add_co_ci_u32_e64 v11, null, v17, v11, vcc_lo
	s_andn2_b32 vcc_lo, exec_lo, s5
	s_cbranch_vccnz .LBB44_13
; %bb.12:
	global_load_dwordx2 v[12:13], v[10:11], off
	s_waitcnt vmcnt(0)
	v_fma_f64 v[8:9], s[10:11], v[12:13], v[8:9]
.LBB44_13:
	global_store_dwordx2 v[10:11], v[8:9], off
.LBB44_14:
	s_or_b32 exec_lo, exec_lo, s1
	v_add_nc_u32_e32 v8, 16, v0
	v_cmp_le_i32_e32 vcc_lo, v8, v15
	v_ashrrev_i32_e32 v9, 31, v8
	s_and_b32 s0, s0, vcc_lo
	s_and_saveexec_b32 s1, s0
	s_cbranch_execz .LBB44_18
; %bb.15:
	v_mul_f64 v[6:7], s[14:15], v[6:7]
	v_lshlrev_b64 v[10:11], 3, v[8:9]
	v_cmp_ne_u32_e32 vcc_lo, 1, v14
	v_add_co_u32 v10, s0, v16, v10
	v_add_co_ci_u32_e64 v11, null, v17, v11, s0
	s_cbranch_vccnz .LBB44_17
; %bb.16:
	global_load_dwordx2 v[12:13], v[10:11], off
	s_waitcnt vmcnt(0)
	v_fma_f64 v[6:7], s[10:11], v[12:13], v[6:7]
.LBB44_17:
	global_store_dwordx2 v[10:11], v[6:7], off
.LBB44_18:
	s_or_b32 exec_lo, exec_lo, s1
	v_add_nc_u32_e32 v10, 16, v15
	v_mad_i64_i32 v[6:7], null, v10, s2, 0
	v_cmp_gt_i32_e64 s0, s20, v10
	v_cmp_le_i32_e32 vcc_lo, v0, v10
	v_lshlrev_b64 v[6:7], 3, v[6:7]
	v_add_co_u32 v6, s1, s3, v6
	v_add_co_ci_u32_e64 v7, null, s4, v7, s1
	s_and_b32 s1, s0, vcc_lo
	s_and_saveexec_b32 s2, s1
	s_cbranch_execz .LBB44_22
; %bb.19:
	v_mul_f64 v[4:5], s[14:15], v[4:5]
	v_lshlrev_b64 v[0:1], 3, v[0:1]
	v_cmp_ne_u32_e32 vcc_lo, 1, v14
	v_add_co_u32 v0, s1, v6, v0
	v_add_co_ci_u32_e64 v1, null, v7, v1, s1
	s_cbranch_vccnz .LBB44_21
; %bb.20:
	global_load_dwordx2 v[11:12], v[0:1], off
	s_waitcnt vmcnt(0)
	v_fma_f64 v[4:5], s[10:11], v[11:12], v[4:5]
.LBB44_21:
	global_store_dwordx2 v[0:1], v[4:5], off
.LBB44_22:
	s_or_b32 exec_lo, exec_lo, s2
	v_cmp_le_i32_e32 vcc_lo, v8, v10
	s_and_b32 s0, s0, vcc_lo
	s_and_saveexec_b32 s1, s0
	s_cbranch_execz .LBB44_26
; %bb.23:
	v_mul_f64 v[0:1], s[14:15], v[2:3]
	v_lshlrev_b64 v[2:3], 3, v[8:9]
	v_cmp_ne_u32_e32 vcc_lo, 1, v14
	v_add_co_u32 v2, s0, v6, v2
	v_add_co_ci_u32_e64 v3, null, v7, v3, s0
	s_cbranch_vccnz .LBB44_25
; %bb.24:
	global_load_dwordx2 v[4:5], v[2:3], off
	s_waitcnt vmcnt(0)
	v_fma_f64 v[0:1], s[10:11], v[4:5], v[0:1]
.LBB44_25:
	global_store_dwordx2 v[2:3], v[0:1], off
.LBB44_26:
	s_endpgm
	.section	.rodata,"a",@progbits
	.p2align	6, 0x0
	.amdhsa_kernel _ZL29rocblas_internal_gemmt_kernelIiLi16ELi32ELi8ELc67ELc67ELc85ELb0ELb0EdPKdS1_PdEviT_T9_T10_S3_lS5_S3_lS4_T11_S3_li
		.amdhsa_group_segment_fixed_size 4096
		.amdhsa_private_segment_fixed_size 0
		.amdhsa_kernarg_size 100
		.amdhsa_user_sgpr_count 6
		.amdhsa_user_sgpr_private_segment_buffer 1
		.amdhsa_user_sgpr_dispatch_ptr 0
		.amdhsa_user_sgpr_queue_ptr 0
		.amdhsa_user_sgpr_kernarg_segment_ptr 1
		.amdhsa_user_sgpr_dispatch_id 0
		.amdhsa_user_sgpr_flat_scratch_init 0
		.amdhsa_user_sgpr_private_segment_size 0
		.amdhsa_wavefront_size32 1
		.amdhsa_uses_dynamic_stack 0
		.amdhsa_system_sgpr_private_segment_wavefront_offset 0
		.amdhsa_system_sgpr_workgroup_id_x 1
		.amdhsa_system_sgpr_workgroup_id_y 1
		.amdhsa_system_sgpr_workgroup_id_z 1
		.amdhsa_system_sgpr_workgroup_info 0
		.amdhsa_system_vgpr_workitem_id 1
		.amdhsa_next_free_vgpr 44
		.amdhsa_next_free_sgpr 26
		.amdhsa_reserve_vcc 1
		.amdhsa_reserve_flat_scratch 0
		.amdhsa_float_round_mode_32 0
		.amdhsa_float_round_mode_16_64 0
		.amdhsa_float_denorm_mode_32 3
		.amdhsa_float_denorm_mode_16_64 3
		.amdhsa_dx10_clamp 1
		.amdhsa_ieee_mode 1
		.amdhsa_fp16_overflow 0
		.amdhsa_workgroup_processor_mode 1
		.amdhsa_memory_ordered 1
		.amdhsa_forward_progress 1
		.amdhsa_shared_vgpr_count 0
		.amdhsa_exception_fp_ieee_invalid_op 0
		.amdhsa_exception_fp_denorm_src 0
		.amdhsa_exception_fp_ieee_div_zero 0
		.amdhsa_exception_fp_ieee_overflow 0
		.amdhsa_exception_fp_ieee_underflow 0
		.amdhsa_exception_fp_ieee_inexact 0
		.amdhsa_exception_int_div_zero 0
	.end_amdhsa_kernel
	.section	.text._ZL29rocblas_internal_gemmt_kernelIiLi16ELi32ELi8ELc67ELc67ELc85ELb0ELb0EdPKdS1_PdEviT_T9_T10_S3_lS5_S3_lS4_T11_S3_li,"axG",@progbits,_ZL29rocblas_internal_gemmt_kernelIiLi16ELi32ELi8ELc67ELc67ELc85ELb0ELb0EdPKdS1_PdEviT_T9_T10_S3_lS5_S3_lS4_T11_S3_li,comdat
.Lfunc_end44:
	.size	_ZL29rocblas_internal_gemmt_kernelIiLi16ELi32ELi8ELc67ELc67ELc85ELb0ELb0EdPKdS1_PdEviT_T9_T10_S3_lS5_S3_lS4_T11_S3_li, .Lfunc_end44-_ZL29rocblas_internal_gemmt_kernelIiLi16ELi32ELi8ELc67ELc67ELc85ELb0ELb0EdPKdS1_PdEviT_T9_T10_S3_lS5_S3_lS4_T11_S3_li
                                        ; -- End function
	.set _ZL29rocblas_internal_gemmt_kernelIiLi16ELi32ELi8ELc67ELc67ELc85ELb0ELb0EdPKdS1_PdEviT_T9_T10_S3_lS5_S3_lS4_T11_S3_li.num_vgpr, 44
	.set _ZL29rocblas_internal_gemmt_kernelIiLi16ELi32ELi8ELc67ELc67ELc85ELb0ELb0EdPKdS1_PdEviT_T9_T10_S3_lS5_S3_lS4_T11_S3_li.num_agpr, 0
	.set _ZL29rocblas_internal_gemmt_kernelIiLi16ELi32ELi8ELc67ELc67ELc85ELb0ELb0EdPKdS1_PdEviT_T9_T10_S3_lS5_S3_lS4_T11_S3_li.numbered_sgpr, 26
	.set _ZL29rocblas_internal_gemmt_kernelIiLi16ELi32ELi8ELc67ELc67ELc85ELb0ELb0EdPKdS1_PdEviT_T9_T10_S3_lS5_S3_lS4_T11_S3_li.num_named_barrier, 0
	.set _ZL29rocblas_internal_gemmt_kernelIiLi16ELi32ELi8ELc67ELc67ELc85ELb0ELb0EdPKdS1_PdEviT_T9_T10_S3_lS5_S3_lS4_T11_S3_li.private_seg_size, 0
	.set _ZL29rocblas_internal_gemmt_kernelIiLi16ELi32ELi8ELc67ELc67ELc85ELb0ELb0EdPKdS1_PdEviT_T9_T10_S3_lS5_S3_lS4_T11_S3_li.uses_vcc, 1
	.set _ZL29rocblas_internal_gemmt_kernelIiLi16ELi32ELi8ELc67ELc67ELc85ELb0ELb0EdPKdS1_PdEviT_T9_T10_S3_lS5_S3_lS4_T11_S3_li.uses_flat_scratch, 0
	.set _ZL29rocblas_internal_gemmt_kernelIiLi16ELi32ELi8ELc67ELc67ELc85ELb0ELb0EdPKdS1_PdEviT_T9_T10_S3_lS5_S3_lS4_T11_S3_li.has_dyn_sized_stack, 0
	.set _ZL29rocblas_internal_gemmt_kernelIiLi16ELi32ELi8ELc67ELc67ELc85ELb0ELb0EdPKdS1_PdEviT_T9_T10_S3_lS5_S3_lS4_T11_S3_li.has_recursion, 0
	.set _ZL29rocblas_internal_gemmt_kernelIiLi16ELi32ELi8ELc67ELc67ELc85ELb0ELb0EdPKdS1_PdEviT_T9_T10_S3_lS5_S3_lS4_T11_S3_li.has_indirect_call, 0
	.section	.AMDGPU.csdata,"",@progbits
; Kernel info:
; codeLenInByte = 1672
; TotalNumSgprs: 28
; NumVgprs: 44
; ScratchSize: 0
; MemoryBound: 0
; FloatMode: 240
; IeeeMode: 1
; LDSByteSize: 4096 bytes/workgroup (compile time only)
; SGPRBlocks: 0
; VGPRBlocks: 5
; NumSGPRsForWavesPerEU: 28
; NumVGPRsForWavesPerEU: 44
; Occupancy: 16
; WaveLimiterHint : 0
; COMPUTE_PGM_RSRC2:SCRATCH_EN: 0
; COMPUTE_PGM_RSRC2:USER_SGPR: 6
; COMPUTE_PGM_RSRC2:TRAP_HANDLER: 0
; COMPUTE_PGM_RSRC2:TGID_X_EN: 1
; COMPUTE_PGM_RSRC2:TGID_Y_EN: 1
; COMPUTE_PGM_RSRC2:TGID_Z_EN: 1
; COMPUTE_PGM_RSRC2:TIDIG_COMP_CNT: 1
	.section	.text._ZL29rocblas_internal_gemmt_kernelIiLi16ELi32ELi8ELc78ELc78ELc76ELb0ELb0EdPKdS1_PdEviT_T9_T10_S3_lS5_S3_lS4_T11_S3_li,"axG",@progbits,_ZL29rocblas_internal_gemmt_kernelIiLi16ELi32ELi8ELc78ELc78ELc76ELb0ELb0EdPKdS1_PdEviT_T9_T10_S3_lS5_S3_lS4_T11_S3_li,comdat
	.globl	_ZL29rocblas_internal_gemmt_kernelIiLi16ELi32ELi8ELc78ELc78ELc76ELb0ELb0EdPKdS1_PdEviT_T9_T10_S3_lS5_S3_lS4_T11_S3_li ; -- Begin function _ZL29rocblas_internal_gemmt_kernelIiLi16ELi32ELi8ELc78ELc78ELc76ELb0ELb0EdPKdS1_PdEviT_T9_T10_S3_lS5_S3_lS4_T11_S3_li
	.p2align	8
	.type	_ZL29rocblas_internal_gemmt_kernelIiLi16ELi32ELi8ELc78ELc78ELc76ELb0ELb0EdPKdS1_PdEviT_T9_T10_S3_lS5_S3_lS4_T11_S3_li,@function
_ZL29rocblas_internal_gemmt_kernelIiLi16ELi32ELi8ELc78ELc78ELc76ELb0ELb0EdPKdS1_PdEviT_T9_T10_S3_lS5_S3_lS4_T11_S3_li: ; @_ZL29rocblas_internal_gemmt_kernelIiLi16ELi32ELi8ELc78ELc78ELc76ELb0ELb0EdPKdS1_PdEviT_T9_T10_S3_lS5_S3_lS4_T11_S3_li
; %bb.0:
	s_load_dwordx4 s[12:15], s[4:5], 0x38
	s_waitcnt lgkmcnt(0)
	s_load_dwordx2 s[10:11], s[14:15], 0x0
	s_clause 0x1
	s_load_dwordx4 s[0:3], s[4:5], 0x8
	s_load_dwordx2 s[20:21], s[4:5], 0x0
	s_waitcnt lgkmcnt(0)
	s_load_dwordx2 s[14:15], s[0:1], 0x0
	v_cmp_neq_f64_e64 s9, s[10:11], 1.0
	s_and_b32 vcc_lo, exec_lo, s9
	s_cbranch_vccnz .LBB45_2
; %bb.1:
	s_waitcnt lgkmcnt(0)
	v_cmp_neq_f64_e64 s0, s[14:15], 0
	s_cmp_lg_u32 s21, 0
	s_cselect_b32 s1, -1, 0
	s_and_b32 s9, s1, s0
.LBB45_2:
	s_andn2_b32 vcc_lo, exec_lo, s9
	s_cbranch_vccnz .LBB45_26
; %bb.3:
	s_waitcnt lgkmcnt(0)
	v_cmp_eq_f64_e64 s0, s[14:15], 0
	s_load_dwordx2 s[22:23], s[4:5], 0x48
	s_lshl_b32 s9, s6, 5
	s_lshl_b32 s24, s7, 5
	s_cmp_lt_i32 s21, 1
	v_mov_b32_e32 v12, 0
	s_cselect_b32 s1, -1, 0
	v_mov_b32_e32 v6, 0
	v_mov_b32_e32 v4, 0
	;; [unrolled: 1-line block ×7, first 2 shown]
	s_mov_b32 s25, 0
	s_or_b32 s0, s0, s1
	s_and_b32 vcc_lo, exec_lo, s0
	s_cbranch_vccnz .LBB45_10
; %bb.4:
	s_load_dword s6, s[4:5], 0x18
	v_lshl_add_u32 v2, v1, 4, v0
	s_clause 0x1
	s_load_dwordx4 s[16:19], s[4:5], 0x20
	s_load_dword s1, s[4:5], 0x30
	v_and_b32_e32 v18, 7, v0
	v_mov_b32_e32 v12, 0
	v_lshlrev_b32_e32 v19, 3, v0
	v_and_b32_e32 v3, 31, v2
	v_lshrrev_b32_e32 v4, 3, v2
	v_lshlrev_b32_e32 v10, 3, v18
	v_lshrrev_b32_e32 v21, 5, v2
	v_lshl_add_u32 v20, v1, 6, 0x800
	v_or_b32_e32 v5, s9, v3
	v_add_nc_u32_e32 v6, s24, v4
	v_lshl_or_b32 v8, v4, 6, v10
	v_lshlrev_b32_e32 v7, 3, v3
	v_add_nc_u32_e32 v2, s9, v3
	v_cmp_gt_i32_e32 vcc_lo, s20, v5
	v_cmp_gt_i32_e64 s0, s20, v6
	v_add_nc_u32_e32 v23, 0x800, v8
	v_lshl_or_b32 v22, v21, 8, v7
	s_waitcnt lgkmcnt(0)
	v_mad_i64_i32 v[4:5], null, v21, s6, 0
	s_mul_i32 s7, s17, s8
	s_mul_hi_u32 s17, s16, s8
	v_mad_i64_i32 v[6:7], null, s1, v6, 0
	v_ashrrev_i32_e32 v3, 31, v2
	s_mul_i32 s16, s16, s8
	v_lshlrev_b64 v[4:5], 3, v[4:5]
	s_add_i32 s17, s17, s7
	s_mul_hi_u32 s7, s12, s8
	s_lshl_b64 s[16:17], s[16:17], 3
	v_lshlrev_b64 v[2:3], 3, v[2:3]
	s_mul_i32 s12, s12, s8
	v_add_co_u32 v8, s1, v4, s16
	v_add_co_ci_u32_e64 v9, null, s17, v5, s1
	s_mul_i32 s1, s13, s8
	v_lshlrev_b64 v[4:5], 3, v[6:7]
	s_add_i32 s13, s7, s1
	v_add_co_u32 v2, s1, v8, v2
	s_lshl_b64 s[12:13], s[12:13], 3
	v_add_co_ci_u32_e64 v3, null, v9, v3, s1
	v_add_co_u32 v4, s1, v4, s12
	v_add_co_ci_u32_e64 v5, null, s13, v5, s1
	v_add_co_u32 v8, s1, s2, v2
	;; [unrolled: 2-line block ×3, first 2 shown]
	v_add_co_ci_u32_e64 v11, null, 0, v5, s1
	v_mov_b32_e32 v2, 0
	v_add_co_u32 v10, s1, s18, v10
	v_mov_b32_e32 v4, 0
	v_mov_b32_e32 v6, 0
	;; [unrolled: 1-line block ×6, first 2 shown]
	v_add_co_ci_u32_e64 v11, null, s19, v11, s1
	s_ashr_i32 s7, s6, 31
	s_lshl_b64 s[2:3], s[6:7], 6
	s_branch .LBB45_6
.LBB45_5:                               ;   in Loop: Header=BB45_6 Depth=1
	s_or_b32 exec_lo, exec_lo, s1
	s_waitcnt vmcnt(0)
	ds_write_b64 v23, v[16:17]
	s_waitcnt lgkmcnt(0)
	s_barrier
	buffer_gl0_inv
	ds_read_b128 v[14:17], v20
	ds_read2_b64 v[24:27], v19 offset1:16
	ds_read_b128 v[28:31], v20 offset:1024
	ds_read_b128 v[32:35], v20 offset:16
	ds_read2_b64 v[36:39], v19 offset0:32 offset1:48
	ds_read_b128 v[40:43], v20 offset:1040
	v_add_co_u32 v8, s1, v8, s2
	v_add_co_ci_u32_e64 v9, null, s3, v9, s1
	v_add_co_u32 v10, s1, v10, 64
	v_add_co_ci_u32_e64 v11, null, 0, v11, s1
	s_add_i32 s25, s25, 8
	s_cmp_lt_i32 s25, s21
	s_waitcnt lgkmcnt(4)
	v_fma_f64 v[12:13], v[24:25], v[14:15], v[12:13]
	v_fma_f64 v[6:7], v[26:27], v[14:15], v[6:7]
	s_waitcnt lgkmcnt(3)
	v_fma_f64 v[14:15], v[24:25], v[28:29], v[4:5]
	v_fma_f64 v[24:25], v[26:27], v[28:29], v[2:3]
	ds_read2_b64 v[2:5], v19 offset0:64 offset1:80
	s_waitcnt lgkmcnt(2)
	v_fma_f64 v[26:27], v[36:37], v[16:17], v[12:13]
	v_fma_f64 v[6:7], v[38:39], v[16:17], v[6:7]
	;; [unrolled: 1-line block ×4, first 2 shown]
	ds_read2_b64 v[12:15], v19 offset0:96 offset1:112
	s_waitcnt lgkmcnt(1)
	v_fma_f64 v[28:29], v[2:3], v[32:33], v[26:27]
	v_fma_f64 v[6:7], v[4:5], v[32:33], v[6:7]
	;; [unrolled: 1-line block ×4, first 2 shown]
	ds_read_b128 v[2:5], v20 offset:32
	ds_read2_b64 v[24:27], v19 offset0:128 offset1:144
	s_waitcnt lgkmcnt(2)
	v_fma_f64 v[40:41], v[12:13], v[34:35], v[28:29]
	v_fma_f64 v[6:7], v[14:15], v[34:35], v[6:7]
	;; [unrolled: 1-line block ×4, first 2 shown]
	ds_read_b128 v[12:15], v20 offset:1056
	ds_read_b128 v[28:31], v20 offset:48
	ds_read2_b64 v[32:35], v19 offset0:160 offset1:176
	ds_read_b128 v[36:39], v20 offset:1072
	s_waitcnt lgkmcnt(4)
	v_fma_f64 v[40:41], v[24:25], v[2:3], v[40:41]
	v_fma_f64 v[2:3], v[26:27], v[2:3], v[6:7]
	s_waitcnt lgkmcnt(3)
	v_fma_f64 v[6:7], v[24:25], v[12:13], v[16:17]
	v_fma_f64 v[12:13], v[26:27], v[12:13], v[42:43]
	ds_read2_b64 v[24:27], v19 offset0:192 offset1:208
	s_waitcnt lgkmcnt(2)
	v_fma_f64 v[40:41], v[32:33], v[4:5], v[40:41]
	v_fma_f64 v[2:3], v[34:35], v[4:5], v[2:3]
	;; [unrolled: 1-line block ×4, first 2 shown]
	ds_read2_b64 v[14:17], v19 offset0:224 offset1:240
	s_waitcnt lgkmcnt(0)
	s_barrier
	buffer_gl0_inv
	v_fma_f64 v[12:13], v[24:25], v[28:29], v[40:41]
	v_fma_f64 v[2:3], v[26:27], v[28:29], v[2:3]
	;; [unrolled: 1-line block ×8, first 2 shown]
	s_cbranch_scc0 .LBB45_10
.LBB45_6:                               ; =>This Inner Loop Header: Depth=1
	v_add_nc_u32_e32 v14, s25, v21
	v_cmp_gt_i32_e64 s1, s21, v14
	v_mov_b32_e32 v14, 0
	v_mov_b32_e32 v15, 0
	s_and_b32 s6, vcc_lo, s1
	s_and_saveexec_b32 s1, s6
	s_cbranch_execz .LBB45_8
; %bb.7:                                ;   in Loop: Header=BB45_6 Depth=1
	global_load_dwordx2 v[14:15], v[8:9], off
.LBB45_8:                               ;   in Loop: Header=BB45_6 Depth=1
	s_or_b32 exec_lo, exec_lo, s1
	v_add_nc_u32_e32 v16, s25, v18
	s_waitcnt vmcnt(0)
	ds_write_b64 v22, v[14:15]
	v_cmp_gt_i32_e64 s1, s21, v16
	v_mov_b32_e32 v16, 0
	v_mov_b32_e32 v17, 0
	s_and_b32 s6, s1, s0
	s_and_saveexec_b32 s1, s6
	s_cbranch_execz .LBB45_5
; %bb.9:                                ;   in Loop: Header=BB45_6 Depth=1
	global_load_dwordx2 v[16:17], v[10:11], off
	s_branch .LBB45_5
.LBB45_10:
	s_clause 0x1
	s_load_dword s3, s[4:5], 0x50
	s_load_dwordx2 s[4:5], s[4:5], 0x58
	v_add_nc_u32_e32 v15, s24, v1
	v_add_nc_u32_e32 v0, s9, v0
	v_cmp_le_i32_e32 vcc_lo, v15, v0
	v_cmp_gt_i32_e64 s0, s20, v0
	v_ashrrev_i32_e32 v1, 31, v0
	s_waitcnt lgkmcnt(0)
	v_mad_i64_i32 v[8:9], null, v15, s3, 0
	s_mul_i32 s1, s5, s8
	s_mul_hi_u32 s2, s4, s8
	s_mul_i32 s4, s4, s8
	s_add_i32 s5, s2, s1
	v_cmp_neq_f64_e64 s2, s[10:11], 0
	s_lshl_b64 s[4:5], s[4:5], 3
	v_lshlrev_b64 v[8:9], 3, v[8:9]
	s_add_u32 s4, s22, s4
	s_addc_u32 s5, s23, s5
	s_and_b32 s6, vcc_lo, s0
	v_add_co_u32 v16, s1, s4, v8
	v_add_co_ci_u32_e64 v17, null, s5, v9, s1
	v_cndmask_b32_e64 v14, 0, 1, s2
	s_and_saveexec_b32 s1, s6
	s_cbranch_execz .LBB45_14
; %bb.11:
	v_mul_f64 v[8:9], s[14:15], v[12:13]
	v_lshlrev_b64 v[10:11], 3, v[0:1]
	v_add_co_u32 v10, vcc_lo, v16, v10
	v_add_co_ci_u32_e64 v11, null, v17, v11, vcc_lo
	s_andn2_b32 vcc_lo, exec_lo, s2
	s_cbranch_vccnz .LBB45_13
; %bb.12:
	global_load_dwordx2 v[12:13], v[10:11], off
	s_waitcnt vmcnt(0)
	v_fma_f64 v[8:9], s[10:11], v[12:13], v[8:9]
.LBB45_13:
	global_store_dwordx2 v[10:11], v[8:9], off
.LBB45_14:
	s_or_b32 exec_lo, exec_lo, s1
	v_add_nc_u32_e32 v8, 16, v0
	v_cmp_le_i32_e32 vcc_lo, v15, v8
	v_cmp_gt_i32_e64 s1, s20, v8
	v_ashrrev_i32_e32 v9, 31, v8
	s_and_b32 s2, vcc_lo, s1
	s_and_saveexec_b32 s6, s2
	s_cbranch_execz .LBB45_18
; %bb.15:
	v_mul_f64 v[6:7], s[14:15], v[6:7]
	v_lshlrev_b64 v[10:11], 3, v[8:9]
	v_cmp_ne_u32_e32 vcc_lo, 1, v14
	v_add_co_u32 v10, s2, v16, v10
	v_add_co_ci_u32_e64 v11, null, v17, v11, s2
	s_cbranch_vccnz .LBB45_17
; %bb.16:
	global_load_dwordx2 v[12:13], v[10:11], off
	s_waitcnt vmcnt(0)
	v_fma_f64 v[6:7], s[10:11], v[12:13], v[6:7]
.LBB45_17:
	global_store_dwordx2 v[10:11], v[6:7], off
.LBB45_18:
	s_or_b32 exec_lo, exec_lo, s6
	v_add_nc_u32_e32 v10, 16, v15
	v_mad_i64_i32 v[6:7], null, v10, s3, 0
	v_cmp_le_i32_e32 vcc_lo, v10, v0
	s_and_b32 s0, vcc_lo, s0
	v_lshlrev_b64 v[6:7], 3, v[6:7]
	v_add_co_u32 v6, s2, s4, v6
	v_add_co_ci_u32_e64 v7, null, s5, v7, s2
	s_and_saveexec_b32 s2, s0
	s_cbranch_execz .LBB45_22
; %bb.19:
	v_mul_f64 v[4:5], s[14:15], v[4:5]
	v_lshlrev_b64 v[0:1], 3, v[0:1]
	v_cmp_ne_u32_e32 vcc_lo, 1, v14
	v_add_co_u32 v0, s0, v6, v0
	v_add_co_ci_u32_e64 v1, null, v7, v1, s0
	s_cbranch_vccnz .LBB45_21
; %bb.20:
	global_load_dwordx2 v[11:12], v[0:1], off
	s_waitcnt vmcnt(0)
	v_fma_f64 v[4:5], s[10:11], v[11:12], v[4:5]
.LBB45_21:
	global_store_dwordx2 v[0:1], v[4:5], off
.LBB45_22:
	s_or_b32 exec_lo, exec_lo, s2
	v_cmp_le_i32_e32 vcc_lo, v10, v8
	s_and_b32 s0, vcc_lo, s1
	s_and_saveexec_b32 s1, s0
	s_cbranch_execz .LBB45_26
; %bb.23:
	v_mul_f64 v[0:1], s[14:15], v[2:3]
	v_lshlrev_b64 v[2:3], 3, v[8:9]
	v_cmp_ne_u32_e32 vcc_lo, 1, v14
	v_add_co_u32 v2, s0, v6, v2
	v_add_co_ci_u32_e64 v3, null, v7, v3, s0
	s_cbranch_vccnz .LBB45_25
; %bb.24:
	global_load_dwordx2 v[4:5], v[2:3], off
	s_waitcnt vmcnt(0)
	v_fma_f64 v[0:1], s[10:11], v[4:5], v[0:1]
.LBB45_25:
	global_store_dwordx2 v[2:3], v[0:1], off
.LBB45_26:
	s_endpgm
	.section	.rodata,"a",@progbits
	.p2align	6, 0x0
	.amdhsa_kernel _ZL29rocblas_internal_gemmt_kernelIiLi16ELi32ELi8ELc78ELc78ELc76ELb0ELb0EdPKdS1_PdEviT_T9_T10_S3_lS5_S3_lS4_T11_S3_li
		.amdhsa_group_segment_fixed_size 4096
		.amdhsa_private_segment_fixed_size 0
		.amdhsa_kernarg_size 100
		.amdhsa_user_sgpr_count 6
		.amdhsa_user_sgpr_private_segment_buffer 1
		.amdhsa_user_sgpr_dispatch_ptr 0
		.amdhsa_user_sgpr_queue_ptr 0
		.amdhsa_user_sgpr_kernarg_segment_ptr 1
		.amdhsa_user_sgpr_dispatch_id 0
		.amdhsa_user_sgpr_flat_scratch_init 0
		.amdhsa_user_sgpr_private_segment_size 0
		.amdhsa_wavefront_size32 1
		.amdhsa_uses_dynamic_stack 0
		.amdhsa_system_sgpr_private_segment_wavefront_offset 0
		.amdhsa_system_sgpr_workgroup_id_x 1
		.amdhsa_system_sgpr_workgroup_id_y 1
		.amdhsa_system_sgpr_workgroup_id_z 1
		.amdhsa_system_sgpr_workgroup_info 0
		.amdhsa_system_vgpr_workitem_id 1
		.amdhsa_next_free_vgpr 44
		.amdhsa_next_free_sgpr 26
		.amdhsa_reserve_vcc 1
		.amdhsa_reserve_flat_scratch 0
		.amdhsa_float_round_mode_32 0
		.amdhsa_float_round_mode_16_64 0
		.amdhsa_float_denorm_mode_32 3
		.amdhsa_float_denorm_mode_16_64 3
		.amdhsa_dx10_clamp 1
		.amdhsa_ieee_mode 1
		.amdhsa_fp16_overflow 0
		.amdhsa_workgroup_processor_mode 1
		.amdhsa_memory_ordered 1
		.amdhsa_forward_progress 1
		.amdhsa_shared_vgpr_count 0
		.amdhsa_exception_fp_ieee_invalid_op 0
		.amdhsa_exception_fp_denorm_src 0
		.amdhsa_exception_fp_ieee_div_zero 0
		.amdhsa_exception_fp_ieee_overflow 0
		.amdhsa_exception_fp_ieee_underflow 0
		.amdhsa_exception_fp_ieee_inexact 0
		.amdhsa_exception_int_div_zero 0
	.end_amdhsa_kernel
	.section	.text._ZL29rocblas_internal_gemmt_kernelIiLi16ELi32ELi8ELc78ELc78ELc76ELb0ELb0EdPKdS1_PdEviT_T9_T10_S3_lS5_S3_lS4_T11_S3_li,"axG",@progbits,_ZL29rocblas_internal_gemmt_kernelIiLi16ELi32ELi8ELc78ELc78ELc76ELb0ELb0EdPKdS1_PdEviT_T9_T10_S3_lS5_S3_lS4_T11_S3_li,comdat
.Lfunc_end45:
	.size	_ZL29rocblas_internal_gemmt_kernelIiLi16ELi32ELi8ELc78ELc78ELc76ELb0ELb0EdPKdS1_PdEviT_T9_T10_S3_lS5_S3_lS4_T11_S3_li, .Lfunc_end45-_ZL29rocblas_internal_gemmt_kernelIiLi16ELi32ELi8ELc78ELc78ELc76ELb0ELb0EdPKdS1_PdEviT_T9_T10_S3_lS5_S3_lS4_T11_S3_li
                                        ; -- End function
	.set _ZL29rocblas_internal_gemmt_kernelIiLi16ELi32ELi8ELc78ELc78ELc76ELb0ELb0EdPKdS1_PdEviT_T9_T10_S3_lS5_S3_lS4_T11_S3_li.num_vgpr, 44
	.set _ZL29rocblas_internal_gemmt_kernelIiLi16ELi32ELi8ELc78ELc78ELc76ELb0ELb0EdPKdS1_PdEviT_T9_T10_S3_lS5_S3_lS4_T11_S3_li.num_agpr, 0
	.set _ZL29rocblas_internal_gemmt_kernelIiLi16ELi32ELi8ELc78ELc78ELc76ELb0ELb0EdPKdS1_PdEviT_T9_T10_S3_lS5_S3_lS4_T11_S3_li.numbered_sgpr, 26
	.set _ZL29rocblas_internal_gemmt_kernelIiLi16ELi32ELi8ELc78ELc78ELc76ELb0ELb0EdPKdS1_PdEviT_T9_T10_S3_lS5_S3_lS4_T11_S3_li.num_named_barrier, 0
	.set _ZL29rocblas_internal_gemmt_kernelIiLi16ELi32ELi8ELc78ELc78ELc76ELb0ELb0EdPKdS1_PdEviT_T9_T10_S3_lS5_S3_lS4_T11_S3_li.private_seg_size, 0
	.set _ZL29rocblas_internal_gemmt_kernelIiLi16ELi32ELi8ELc78ELc78ELc76ELb0ELb0EdPKdS1_PdEviT_T9_T10_S3_lS5_S3_lS4_T11_S3_li.uses_vcc, 1
	.set _ZL29rocblas_internal_gemmt_kernelIiLi16ELi32ELi8ELc78ELc78ELc76ELb0ELb0EdPKdS1_PdEviT_T9_T10_S3_lS5_S3_lS4_T11_S3_li.uses_flat_scratch, 0
	.set _ZL29rocblas_internal_gemmt_kernelIiLi16ELi32ELi8ELc78ELc78ELc76ELb0ELb0EdPKdS1_PdEviT_T9_T10_S3_lS5_S3_lS4_T11_S3_li.has_dyn_sized_stack, 0
	.set _ZL29rocblas_internal_gemmt_kernelIiLi16ELi32ELi8ELc78ELc78ELc76ELb0ELb0EdPKdS1_PdEviT_T9_T10_S3_lS5_S3_lS4_T11_S3_li.has_recursion, 0
	.set _ZL29rocblas_internal_gemmt_kernelIiLi16ELi32ELi8ELc78ELc78ELc76ELb0ELb0EdPKdS1_PdEviT_T9_T10_S3_lS5_S3_lS4_T11_S3_li.has_indirect_call, 0
	.section	.AMDGPU.csdata,"",@progbits
; Kernel info:
; codeLenInByte = 1668
; TotalNumSgprs: 28
; NumVgprs: 44
; ScratchSize: 0
; MemoryBound: 0
; FloatMode: 240
; IeeeMode: 1
; LDSByteSize: 4096 bytes/workgroup (compile time only)
; SGPRBlocks: 0
; VGPRBlocks: 5
; NumSGPRsForWavesPerEU: 28
; NumVGPRsForWavesPerEU: 44
; Occupancy: 16
; WaveLimiterHint : 0
; COMPUTE_PGM_RSRC2:SCRATCH_EN: 0
; COMPUTE_PGM_RSRC2:USER_SGPR: 6
; COMPUTE_PGM_RSRC2:TRAP_HANDLER: 0
; COMPUTE_PGM_RSRC2:TGID_X_EN: 1
; COMPUTE_PGM_RSRC2:TGID_Y_EN: 1
; COMPUTE_PGM_RSRC2:TGID_Z_EN: 1
; COMPUTE_PGM_RSRC2:TIDIG_COMP_CNT: 1
	.section	.text._ZL29rocblas_internal_gemmt_kernelIiLi16ELi32ELi8ELc78ELc84ELc76ELb0ELb0EdPKdS1_PdEviT_T9_T10_S3_lS5_S3_lS4_T11_S3_li,"axG",@progbits,_ZL29rocblas_internal_gemmt_kernelIiLi16ELi32ELi8ELc78ELc84ELc76ELb0ELb0EdPKdS1_PdEviT_T9_T10_S3_lS5_S3_lS4_T11_S3_li,comdat
	.globl	_ZL29rocblas_internal_gemmt_kernelIiLi16ELi32ELi8ELc78ELc84ELc76ELb0ELb0EdPKdS1_PdEviT_T9_T10_S3_lS5_S3_lS4_T11_S3_li ; -- Begin function _ZL29rocblas_internal_gemmt_kernelIiLi16ELi32ELi8ELc78ELc84ELc76ELb0ELb0EdPKdS1_PdEviT_T9_T10_S3_lS5_S3_lS4_T11_S3_li
	.p2align	8
	.type	_ZL29rocblas_internal_gemmt_kernelIiLi16ELi32ELi8ELc78ELc84ELc76ELb0ELb0EdPKdS1_PdEviT_T9_T10_S3_lS5_S3_lS4_T11_S3_li,@function
_ZL29rocblas_internal_gemmt_kernelIiLi16ELi32ELi8ELc78ELc84ELc76ELb0ELb0EdPKdS1_PdEviT_T9_T10_S3_lS5_S3_lS4_T11_S3_li: ; @_ZL29rocblas_internal_gemmt_kernelIiLi16ELi32ELi8ELc78ELc84ELc76ELb0ELb0EdPKdS1_PdEviT_T9_T10_S3_lS5_S3_lS4_T11_S3_li
; %bb.0:
	s_load_dwordx4 s[12:15], s[4:5], 0x38
	s_waitcnt lgkmcnt(0)
	s_load_dwordx2 s[10:11], s[14:15], 0x0
	s_clause 0x1
	s_load_dwordx4 s[0:3], s[4:5], 0x8
	s_load_dwordx2 s[20:21], s[4:5], 0x0
	s_waitcnt lgkmcnt(0)
	s_load_dwordx2 s[14:15], s[0:1], 0x0
	v_cmp_neq_f64_e64 s9, s[10:11], 1.0
	s_and_b32 vcc_lo, exec_lo, s9
	s_cbranch_vccnz .LBB46_2
; %bb.1:
	s_waitcnt lgkmcnt(0)
	v_cmp_neq_f64_e64 s0, s[14:15], 0
	s_cmp_lg_u32 s21, 0
	s_cselect_b32 s1, -1, 0
	s_and_b32 s9, s1, s0
.LBB46_2:
	s_andn2_b32 vcc_lo, exec_lo, s9
	s_cbranch_vccnz .LBB46_26
; %bb.3:
	s_waitcnt lgkmcnt(0)
	v_cmp_eq_f64_e64 s0, s[14:15], 0
	s_load_dwordx2 s[22:23], s[4:5], 0x48
	s_lshl_b32 s9, s6, 5
	s_lshl_b32 s24, s7, 5
	s_cmp_lt_i32 s21, 1
	v_mov_b32_e32 v12, 0
	s_cselect_b32 s1, -1, 0
	v_mov_b32_e32 v6, 0
	v_mov_b32_e32 v4, 0
	;; [unrolled: 1-line block ×7, first 2 shown]
	s_mov_b32 s25, 0
	s_or_b32 s0, s0, s1
	s_and_b32 vcc_lo, exec_lo, s0
	s_cbranch_vccnz .LBB46_10
; %bb.4:
	s_clause 0x2
	s_load_dword s6, s[4:5], 0x18
	s_load_dwordx4 s[16:19], s[4:5], 0x20
	s_load_dword s26, s[4:5], 0x30
	v_lshl_add_u32 v2, v1, 4, v0
	v_and_b32_e32 v18, 7, v0
	s_mul_i32 s13, s13, s8
	s_mul_hi_u32 s27, s12, s8
	s_mul_i32 s12, s12, s8
	v_and_b32_e32 v6, 31, v2
	v_lshrrev_b32_e32 v3, 3, v2
	v_lshlrev_b32_e32 v4, 3, v18
	v_lshrrev_b32_e32 v19, 5, v2
	s_add_i32 s13, s27, s13
	v_or_b32_e32 v5, s9, v6
	v_add_nc_u32_e32 v2, s24, v3
	v_lshl_or_b32 v3, v3, 6, v4
	v_lshlrev_b32_e32 v7, 3, v6
	v_add_nc_u32_e32 v6, s9, v6
	v_cmp_gt_i32_e32 vcc_lo, s20, v5
	s_lshl_b64 s[12:13], s[12:13], 3
	s_waitcnt lgkmcnt(0)
	v_mad_i64_i32 v[4:5], null, v19, s6, 0
	s_mul_i32 s1, s17, s8
	s_mul_hi_u32 s17, s16, s8
	v_mad_i64_i32 v[8:9], null, s26, v18, 0
	v_lshl_or_b32 v20, v19, 8, v7
	v_ashrrev_i32_e32 v7, 31, v6
	v_lshlrev_b64 v[4:5], 3, v[4:5]
	s_add_i32 s17, s17, s1
	s_mul_i32 s16, s16, s8
	v_add_nc_u32_e32 v21, 0x800, v3
	s_lshl_b64 s[16:17], s[16:17], 3
	v_lshlrev_b64 v[6:7], 3, v[6:7]
	v_add_co_u32 v10, s1, v4, s16
	v_ashrrev_i32_e32 v3, 31, v2
	v_add_co_ci_u32_e64 v11, null, s17, v5, s1
	v_lshlrev_b64 v[4:5], 3, v[8:9]
	v_add_co_u32 v6, s1, v10, v6
	v_cmp_gt_i32_e64 s0, s20, v2
	v_lshlrev_b64 v[2:3], 3, v[2:3]
	v_add_co_ci_u32_e64 v7, null, v11, v7, s1
	v_add_co_u32 v4, s1, s12, v4
	v_add_co_ci_u32_e64 v5, null, s13, v5, s1
	v_add_co_u32 v8, s1, s2, v6
	;; [unrolled: 2-line block ×3, first 2 shown]
	v_add_co_ci_u32_e64 v11, null, v5, v3, s1
	v_mov_b32_e32 v2, 0
	v_add_co_u32 v10, s1, s18, v10
	v_mov_b32_e32 v4, 0
	v_mov_b32_e32 v6, 0
	;; [unrolled: 1-line block ×3, first 2 shown]
	v_lshlrev_b32_e32 v22, 3, v0
	v_lshl_add_u32 v23, v1, 6, 0x800
	v_mov_b32_e32 v3, 0
	v_mov_b32_e32 v5, 0
	;; [unrolled: 1-line block ×4, first 2 shown]
	v_add_co_ci_u32_e64 v11, null, s19, v11, s1
	s_ashr_i32 s7, s6, 31
	s_ashr_i32 s27, s26, 31
	s_lshl_b64 s[2:3], s[6:7], 6
	s_lshl_b64 s[6:7], s[26:27], 6
	s_branch .LBB46_6
.LBB46_5:                               ;   in Loop: Header=BB46_6 Depth=1
	s_or_b32 exec_lo, exec_lo, s1
	s_waitcnt vmcnt(0)
	ds_write_b64 v21, v[16:17]
	s_waitcnt lgkmcnt(0)
	s_barrier
	buffer_gl0_inv
	ds_read_b128 v[14:17], v23
	ds_read2_b64 v[24:27], v22 offset1:16
	ds_read_b128 v[28:31], v23 offset:1024
	ds_read_b128 v[32:35], v23 offset:16
	ds_read2_b64 v[36:39], v22 offset0:32 offset1:48
	ds_read_b128 v[40:43], v23 offset:1040
	v_add_co_u32 v8, s1, v8, s2
	v_add_co_ci_u32_e64 v9, null, s3, v9, s1
	v_add_co_u32 v10, s1, v10, s6
	v_add_co_ci_u32_e64 v11, null, s7, v11, s1
	s_add_i32 s25, s25, 8
	s_cmp_lt_i32 s25, s21
	s_waitcnt lgkmcnt(4)
	v_fma_f64 v[12:13], v[24:25], v[14:15], v[12:13]
	v_fma_f64 v[6:7], v[26:27], v[14:15], v[6:7]
	s_waitcnt lgkmcnt(3)
	v_fma_f64 v[14:15], v[24:25], v[28:29], v[4:5]
	v_fma_f64 v[24:25], v[26:27], v[28:29], v[2:3]
	ds_read2_b64 v[2:5], v22 offset0:64 offset1:80
	s_waitcnt lgkmcnt(2)
	v_fma_f64 v[26:27], v[36:37], v[16:17], v[12:13]
	v_fma_f64 v[6:7], v[38:39], v[16:17], v[6:7]
	;; [unrolled: 1-line block ×4, first 2 shown]
	ds_read2_b64 v[12:15], v22 offset0:96 offset1:112
	s_waitcnt lgkmcnt(1)
	v_fma_f64 v[28:29], v[2:3], v[32:33], v[26:27]
	v_fma_f64 v[6:7], v[4:5], v[32:33], v[6:7]
	;; [unrolled: 1-line block ×4, first 2 shown]
	ds_read_b128 v[2:5], v23 offset:32
	ds_read2_b64 v[24:27], v22 offset0:128 offset1:144
	s_waitcnt lgkmcnt(2)
	v_fma_f64 v[40:41], v[12:13], v[34:35], v[28:29]
	v_fma_f64 v[6:7], v[14:15], v[34:35], v[6:7]
	;; [unrolled: 1-line block ×4, first 2 shown]
	ds_read_b128 v[12:15], v23 offset:1056
	ds_read_b128 v[28:31], v23 offset:48
	ds_read2_b64 v[32:35], v22 offset0:160 offset1:176
	ds_read_b128 v[36:39], v23 offset:1072
	s_waitcnt lgkmcnt(4)
	v_fma_f64 v[40:41], v[24:25], v[2:3], v[40:41]
	v_fma_f64 v[2:3], v[26:27], v[2:3], v[6:7]
	s_waitcnt lgkmcnt(3)
	v_fma_f64 v[6:7], v[24:25], v[12:13], v[16:17]
	v_fma_f64 v[12:13], v[26:27], v[12:13], v[42:43]
	ds_read2_b64 v[24:27], v22 offset0:192 offset1:208
	s_waitcnt lgkmcnt(2)
	v_fma_f64 v[40:41], v[32:33], v[4:5], v[40:41]
	v_fma_f64 v[2:3], v[34:35], v[4:5], v[2:3]
	;; [unrolled: 1-line block ×4, first 2 shown]
	ds_read2_b64 v[14:17], v22 offset0:224 offset1:240
	s_waitcnt lgkmcnt(0)
	s_barrier
	buffer_gl0_inv
	v_fma_f64 v[12:13], v[24:25], v[28:29], v[40:41]
	v_fma_f64 v[2:3], v[26:27], v[28:29], v[2:3]
	;; [unrolled: 1-line block ×8, first 2 shown]
	s_cbranch_scc0 .LBB46_10
.LBB46_6:                               ; =>This Inner Loop Header: Depth=1
	v_add_nc_u32_e32 v14, s25, v19
	v_cmp_gt_i32_e64 s1, s21, v14
	v_mov_b32_e32 v14, 0
	v_mov_b32_e32 v15, 0
	s_and_b32 s12, vcc_lo, s1
	s_and_saveexec_b32 s1, s12
	s_cbranch_execz .LBB46_8
; %bb.7:                                ;   in Loop: Header=BB46_6 Depth=1
	global_load_dwordx2 v[14:15], v[8:9], off
.LBB46_8:                               ;   in Loop: Header=BB46_6 Depth=1
	s_or_b32 exec_lo, exec_lo, s1
	v_add_nc_u32_e32 v16, s25, v18
	s_waitcnt vmcnt(0)
	ds_write_b64 v20, v[14:15]
	v_cmp_gt_i32_e64 s1, s21, v16
	v_mov_b32_e32 v16, 0
	v_mov_b32_e32 v17, 0
	s_and_b32 s12, s1, s0
	s_and_saveexec_b32 s1, s12
	s_cbranch_execz .LBB46_5
; %bb.9:                                ;   in Loop: Header=BB46_6 Depth=1
	global_load_dwordx2 v[16:17], v[10:11], off
	s_branch .LBB46_5
.LBB46_10:
	s_clause 0x1
	s_load_dword s3, s[4:5], 0x50
	s_load_dwordx2 s[4:5], s[4:5], 0x58
	v_add_nc_u32_e32 v15, s24, v1
	v_add_nc_u32_e32 v0, s9, v0
	v_cmp_le_i32_e32 vcc_lo, v15, v0
	v_cmp_gt_i32_e64 s0, s20, v0
	v_ashrrev_i32_e32 v1, 31, v0
	s_waitcnt lgkmcnt(0)
	v_mad_i64_i32 v[8:9], null, v15, s3, 0
	s_mul_i32 s1, s5, s8
	s_mul_hi_u32 s2, s4, s8
	s_mul_i32 s4, s4, s8
	s_add_i32 s5, s2, s1
	v_cmp_neq_f64_e64 s2, s[10:11], 0
	s_lshl_b64 s[4:5], s[4:5], 3
	v_lshlrev_b64 v[8:9], 3, v[8:9]
	s_add_u32 s4, s22, s4
	s_addc_u32 s5, s23, s5
	s_and_b32 s6, vcc_lo, s0
	v_add_co_u32 v16, s1, s4, v8
	v_add_co_ci_u32_e64 v17, null, s5, v9, s1
	v_cndmask_b32_e64 v14, 0, 1, s2
	s_and_saveexec_b32 s1, s6
	s_cbranch_execz .LBB46_14
; %bb.11:
	v_mul_f64 v[8:9], s[14:15], v[12:13]
	v_lshlrev_b64 v[10:11], 3, v[0:1]
	v_add_co_u32 v10, vcc_lo, v16, v10
	v_add_co_ci_u32_e64 v11, null, v17, v11, vcc_lo
	s_andn2_b32 vcc_lo, exec_lo, s2
	s_cbranch_vccnz .LBB46_13
; %bb.12:
	global_load_dwordx2 v[12:13], v[10:11], off
	s_waitcnt vmcnt(0)
	v_fma_f64 v[8:9], s[10:11], v[12:13], v[8:9]
.LBB46_13:
	global_store_dwordx2 v[10:11], v[8:9], off
.LBB46_14:
	s_or_b32 exec_lo, exec_lo, s1
	v_add_nc_u32_e32 v8, 16, v0
	v_cmp_le_i32_e32 vcc_lo, v15, v8
	v_cmp_gt_i32_e64 s1, s20, v8
	v_ashrrev_i32_e32 v9, 31, v8
	s_and_b32 s2, vcc_lo, s1
	s_and_saveexec_b32 s6, s2
	s_cbranch_execz .LBB46_18
; %bb.15:
	v_mul_f64 v[6:7], s[14:15], v[6:7]
	v_lshlrev_b64 v[10:11], 3, v[8:9]
	v_cmp_ne_u32_e32 vcc_lo, 1, v14
	v_add_co_u32 v10, s2, v16, v10
	v_add_co_ci_u32_e64 v11, null, v17, v11, s2
	s_cbranch_vccnz .LBB46_17
; %bb.16:
	global_load_dwordx2 v[12:13], v[10:11], off
	s_waitcnt vmcnt(0)
	v_fma_f64 v[6:7], s[10:11], v[12:13], v[6:7]
.LBB46_17:
	global_store_dwordx2 v[10:11], v[6:7], off
.LBB46_18:
	s_or_b32 exec_lo, exec_lo, s6
	v_add_nc_u32_e32 v10, 16, v15
	v_mad_i64_i32 v[6:7], null, v10, s3, 0
	v_cmp_le_i32_e32 vcc_lo, v10, v0
	s_and_b32 s0, vcc_lo, s0
	v_lshlrev_b64 v[6:7], 3, v[6:7]
	v_add_co_u32 v6, s2, s4, v6
	v_add_co_ci_u32_e64 v7, null, s5, v7, s2
	s_and_saveexec_b32 s2, s0
	s_cbranch_execz .LBB46_22
; %bb.19:
	v_mul_f64 v[4:5], s[14:15], v[4:5]
	v_lshlrev_b64 v[0:1], 3, v[0:1]
	v_cmp_ne_u32_e32 vcc_lo, 1, v14
	v_add_co_u32 v0, s0, v6, v0
	v_add_co_ci_u32_e64 v1, null, v7, v1, s0
	s_cbranch_vccnz .LBB46_21
; %bb.20:
	global_load_dwordx2 v[11:12], v[0:1], off
	s_waitcnt vmcnt(0)
	v_fma_f64 v[4:5], s[10:11], v[11:12], v[4:5]
.LBB46_21:
	global_store_dwordx2 v[0:1], v[4:5], off
.LBB46_22:
	s_or_b32 exec_lo, exec_lo, s2
	v_cmp_le_i32_e32 vcc_lo, v10, v8
	s_and_b32 s0, vcc_lo, s1
	s_and_saveexec_b32 s1, s0
	s_cbranch_execz .LBB46_26
; %bb.23:
	v_mul_f64 v[0:1], s[14:15], v[2:3]
	v_lshlrev_b64 v[2:3], 3, v[8:9]
	v_cmp_ne_u32_e32 vcc_lo, 1, v14
	v_add_co_u32 v2, s0, v6, v2
	v_add_co_ci_u32_e64 v3, null, v7, v3, s0
	s_cbranch_vccnz .LBB46_25
; %bb.24:
	global_load_dwordx2 v[4:5], v[2:3], off
	s_waitcnt vmcnt(0)
	v_fma_f64 v[0:1], s[10:11], v[4:5], v[0:1]
.LBB46_25:
	global_store_dwordx2 v[2:3], v[0:1], off
.LBB46_26:
	s_endpgm
	.section	.rodata,"a",@progbits
	.p2align	6, 0x0
	.amdhsa_kernel _ZL29rocblas_internal_gemmt_kernelIiLi16ELi32ELi8ELc78ELc84ELc76ELb0ELb0EdPKdS1_PdEviT_T9_T10_S3_lS5_S3_lS4_T11_S3_li
		.amdhsa_group_segment_fixed_size 4096
		.amdhsa_private_segment_fixed_size 0
		.amdhsa_kernarg_size 100
		.amdhsa_user_sgpr_count 6
		.amdhsa_user_sgpr_private_segment_buffer 1
		.amdhsa_user_sgpr_dispatch_ptr 0
		.amdhsa_user_sgpr_queue_ptr 0
		.amdhsa_user_sgpr_kernarg_segment_ptr 1
		.amdhsa_user_sgpr_dispatch_id 0
		.amdhsa_user_sgpr_flat_scratch_init 0
		.amdhsa_user_sgpr_private_segment_size 0
		.amdhsa_wavefront_size32 1
		.amdhsa_uses_dynamic_stack 0
		.amdhsa_system_sgpr_private_segment_wavefront_offset 0
		.amdhsa_system_sgpr_workgroup_id_x 1
		.amdhsa_system_sgpr_workgroup_id_y 1
		.amdhsa_system_sgpr_workgroup_id_z 1
		.amdhsa_system_sgpr_workgroup_info 0
		.amdhsa_system_vgpr_workitem_id 1
		.amdhsa_next_free_vgpr 44
		.amdhsa_next_free_sgpr 28
		.amdhsa_reserve_vcc 1
		.amdhsa_reserve_flat_scratch 0
		.amdhsa_float_round_mode_32 0
		.amdhsa_float_round_mode_16_64 0
		.amdhsa_float_denorm_mode_32 3
		.amdhsa_float_denorm_mode_16_64 3
		.amdhsa_dx10_clamp 1
		.amdhsa_ieee_mode 1
		.amdhsa_fp16_overflow 0
		.amdhsa_workgroup_processor_mode 1
		.amdhsa_memory_ordered 1
		.amdhsa_forward_progress 1
		.amdhsa_shared_vgpr_count 0
		.amdhsa_exception_fp_ieee_invalid_op 0
		.amdhsa_exception_fp_denorm_src 0
		.amdhsa_exception_fp_ieee_div_zero 0
		.amdhsa_exception_fp_ieee_overflow 0
		.amdhsa_exception_fp_ieee_underflow 0
		.amdhsa_exception_fp_ieee_inexact 0
		.amdhsa_exception_int_div_zero 0
	.end_amdhsa_kernel
	.section	.text._ZL29rocblas_internal_gemmt_kernelIiLi16ELi32ELi8ELc78ELc84ELc76ELb0ELb0EdPKdS1_PdEviT_T9_T10_S3_lS5_S3_lS4_T11_S3_li,"axG",@progbits,_ZL29rocblas_internal_gemmt_kernelIiLi16ELi32ELi8ELc78ELc84ELc76ELb0ELb0EdPKdS1_PdEviT_T9_T10_S3_lS5_S3_lS4_T11_S3_li,comdat
.Lfunc_end46:
	.size	_ZL29rocblas_internal_gemmt_kernelIiLi16ELi32ELi8ELc78ELc84ELc76ELb0ELb0EdPKdS1_PdEviT_T9_T10_S3_lS5_S3_lS4_T11_S3_li, .Lfunc_end46-_ZL29rocblas_internal_gemmt_kernelIiLi16ELi32ELi8ELc78ELc84ELc76ELb0ELb0EdPKdS1_PdEviT_T9_T10_S3_lS5_S3_lS4_T11_S3_li
                                        ; -- End function
	.set _ZL29rocblas_internal_gemmt_kernelIiLi16ELi32ELi8ELc78ELc84ELc76ELb0ELb0EdPKdS1_PdEviT_T9_T10_S3_lS5_S3_lS4_T11_S3_li.num_vgpr, 44
	.set _ZL29rocblas_internal_gemmt_kernelIiLi16ELi32ELi8ELc78ELc84ELc76ELb0ELb0EdPKdS1_PdEviT_T9_T10_S3_lS5_S3_lS4_T11_S3_li.num_agpr, 0
	.set _ZL29rocblas_internal_gemmt_kernelIiLi16ELi32ELi8ELc78ELc84ELc76ELb0ELb0EdPKdS1_PdEviT_T9_T10_S3_lS5_S3_lS4_T11_S3_li.numbered_sgpr, 28
	.set _ZL29rocblas_internal_gemmt_kernelIiLi16ELi32ELi8ELc78ELc84ELc76ELb0ELb0EdPKdS1_PdEviT_T9_T10_S3_lS5_S3_lS4_T11_S3_li.num_named_barrier, 0
	.set _ZL29rocblas_internal_gemmt_kernelIiLi16ELi32ELi8ELc78ELc84ELc76ELb0ELb0EdPKdS1_PdEviT_T9_T10_S3_lS5_S3_lS4_T11_S3_li.private_seg_size, 0
	.set _ZL29rocblas_internal_gemmt_kernelIiLi16ELi32ELi8ELc78ELc84ELc76ELb0ELb0EdPKdS1_PdEviT_T9_T10_S3_lS5_S3_lS4_T11_S3_li.uses_vcc, 1
	.set _ZL29rocblas_internal_gemmt_kernelIiLi16ELi32ELi8ELc78ELc84ELc76ELb0ELb0EdPKdS1_PdEviT_T9_T10_S3_lS5_S3_lS4_T11_S3_li.uses_flat_scratch, 0
	.set _ZL29rocblas_internal_gemmt_kernelIiLi16ELi32ELi8ELc78ELc84ELc76ELb0ELb0EdPKdS1_PdEviT_T9_T10_S3_lS5_S3_lS4_T11_S3_li.has_dyn_sized_stack, 0
	.set _ZL29rocblas_internal_gemmt_kernelIiLi16ELi32ELi8ELc78ELc84ELc76ELb0ELb0EdPKdS1_PdEviT_T9_T10_S3_lS5_S3_lS4_T11_S3_li.has_recursion, 0
	.set _ZL29rocblas_internal_gemmt_kernelIiLi16ELi32ELi8ELc78ELc84ELc76ELb0ELb0EdPKdS1_PdEviT_T9_T10_S3_lS5_S3_lS4_T11_S3_li.has_indirect_call, 0
	.section	.AMDGPU.csdata,"",@progbits
; Kernel info:
; codeLenInByte = 1688
; TotalNumSgprs: 30
; NumVgprs: 44
; ScratchSize: 0
; MemoryBound: 0
; FloatMode: 240
; IeeeMode: 1
; LDSByteSize: 4096 bytes/workgroup (compile time only)
; SGPRBlocks: 0
; VGPRBlocks: 5
; NumSGPRsForWavesPerEU: 30
; NumVGPRsForWavesPerEU: 44
; Occupancy: 16
; WaveLimiterHint : 0
; COMPUTE_PGM_RSRC2:SCRATCH_EN: 0
; COMPUTE_PGM_RSRC2:USER_SGPR: 6
; COMPUTE_PGM_RSRC2:TRAP_HANDLER: 0
; COMPUTE_PGM_RSRC2:TGID_X_EN: 1
; COMPUTE_PGM_RSRC2:TGID_Y_EN: 1
; COMPUTE_PGM_RSRC2:TGID_Z_EN: 1
; COMPUTE_PGM_RSRC2:TIDIG_COMP_CNT: 1
	.section	.text._ZL29rocblas_internal_gemmt_kernelIiLi16ELi32ELi8ELc78ELc67ELc76ELb0ELb0EdPKdS1_PdEviT_T9_T10_S3_lS5_S3_lS4_T11_S3_li,"axG",@progbits,_ZL29rocblas_internal_gemmt_kernelIiLi16ELi32ELi8ELc78ELc67ELc76ELb0ELb0EdPKdS1_PdEviT_T9_T10_S3_lS5_S3_lS4_T11_S3_li,comdat
	.globl	_ZL29rocblas_internal_gemmt_kernelIiLi16ELi32ELi8ELc78ELc67ELc76ELb0ELb0EdPKdS1_PdEviT_T9_T10_S3_lS5_S3_lS4_T11_S3_li ; -- Begin function _ZL29rocblas_internal_gemmt_kernelIiLi16ELi32ELi8ELc78ELc67ELc76ELb0ELb0EdPKdS1_PdEviT_T9_T10_S3_lS5_S3_lS4_T11_S3_li
	.p2align	8
	.type	_ZL29rocblas_internal_gemmt_kernelIiLi16ELi32ELi8ELc78ELc67ELc76ELb0ELb0EdPKdS1_PdEviT_T9_T10_S3_lS5_S3_lS4_T11_S3_li,@function
_ZL29rocblas_internal_gemmt_kernelIiLi16ELi32ELi8ELc78ELc67ELc76ELb0ELb0EdPKdS1_PdEviT_T9_T10_S3_lS5_S3_lS4_T11_S3_li: ; @_ZL29rocblas_internal_gemmt_kernelIiLi16ELi32ELi8ELc78ELc67ELc76ELb0ELb0EdPKdS1_PdEviT_T9_T10_S3_lS5_S3_lS4_T11_S3_li
; %bb.0:
	s_load_dwordx4 s[12:15], s[4:5], 0x38
	s_waitcnt lgkmcnt(0)
	s_load_dwordx2 s[10:11], s[14:15], 0x0
	s_clause 0x1
	s_load_dwordx4 s[0:3], s[4:5], 0x8
	s_load_dwordx2 s[20:21], s[4:5], 0x0
	s_waitcnt lgkmcnt(0)
	s_load_dwordx2 s[14:15], s[0:1], 0x0
	v_cmp_neq_f64_e64 s9, s[10:11], 1.0
	s_and_b32 vcc_lo, exec_lo, s9
	s_cbranch_vccnz .LBB47_2
; %bb.1:
	s_waitcnt lgkmcnt(0)
	v_cmp_neq_f64_e64 s0, s[14:15], 0
	s_cmp_lg_u32 s21, 0
	s_cselect_b32 s1, -1, 0
	s_and_b32 s9, s1, s0
.LBB47_2:
	s_andn2_b32 vcc_lo, exec_lo, s9
	s_cbranch_vccnz .LBB47_26
; %bb.3:
	s_waitcnt lgkmcnt(0)
	v_cmp_eq_f64_e64 s0, s[14:15], 0
	s_load_dwordx2 s[22:23], s[4:5], 0x48
	s_lshl_b32 s9, s6, 5
	s_lshl_b32 s24, s7, 5
	s_cmp_lt_i32 s21, 1
	v_mov_b32_e32 v12, 0
	s_cselect_b32 s1, -1, 0
	v_mov_b32_e32 v6, 0
	v_mov_b32_e32 v4, 0
	;; [unrolled: 1-line block ×7, first 2 shown]
	s_mov_b32 s25, 0
	s_or_b32 s0, s0, s1
	s_and_b32 vcc_lo, exec_lo, s0
	s_cbranch_vccnz .LBB47_10
; %bb.4:
	s_clause 0x2
	s_load_dword s6, s[4:5], 0x18
	s_load_dwordx4 s[16:19], s[4:5], 0x20
	s_load_dword s26, s[4:5], 0x30
	v_lshl_add_u32 v2, v1, 4, v0
	v_and_b32_e32 v18, 7, v0
	s_mul_i32 s13, s13, s8
	s_mul_hi_u32 s27, s12, s8
	s_mul_i32 s12, s12, s8
	v_and_b32_e32 v6, 31, v2
	v_lshrrev_b32_e32 v3, 3, v2
	v_lshlrev_b32_e32 v4, 3, v18
	v_lshrrev_b32_e32 v19, 5, v2
	s_add_i32 s13, s27, s13
	v_or_b32_e32 v5, s9, v6
	v_add_nc_u32_e32 v2, s24, v3
	v_lshl_or_b32 v3, v3, 6, v4
	v_lshlrev_b32_e32 v7, 3, v6
	v_add_nc_u32_e32 v6, s9, v6
	v_cmp_gt_i32_e32 vcc_lo, s20, v5
	s_lshl_b64 s[12:13], s[12:13], 3
	s_waitcnt lgkmcnt(0)
	v_mad_i64_i32 v[4:5], null, v19, s6, 0
	s_mul_i32 s1, s17, s8
	s_mul_hi_u32 s17, s16, s8
	v_mad_i64_i32 v[8:9], null, s26, v18, 0
	v_lshl_or_b32 v20, v19, 8, v7
	v_ashrrev_i32_e32 v7, 31, v6
	v_lshlrev_b64 v[4:5], 3, v[4:5]
	s_add_i32 s17, s17, s1
	s_mul_i32 s16, s16, s8
	v_add_nc_u32_e32 v21, 0x800, v3
	s_lshl_b64 s[16:17], s[16:17], 3
	v_lshlrev_b64 v[6:7], 3, v[6:7]
	v_add_co_u32 v10, s1, v4, s16
	v_ashrrev_i32_e32 v3, 31, v2
	v_add_co_ci_u32_e64 v11, null, s17, v5, s1
	v_lshlrev_b64 v[4:5], 3, v[8:9]
	v_add_co_u32 v6, s1, v10, v6
	v_cmp_gt_i32_e64 s0, s20, v2
	v_lshlrev_b64 v[2:3], 3, v[2:3]
	v_add_co_ci_u32_e64 v7, null, v11, v7, s1
	v_add_co_u32 v4, s1, s12, v4
	v_add_co_ci_u32_e64 v5, null, s13, v5, s1
	v_add_co_u32 v8, s1, s2, v6
	;; [unrolled: 2-line block ×3, first 2 shown]
	v_add_co_ci_u32_e64 v11, null, v5, v3, s1
	v_mov_b32_e32 v2, 0
	v_add_co_u32 v10, s1, s18, v10
	v_mov_b32_e32 v4, 0
	v_mov_b32_e32 v6, 0
	;; [unrolled: 1-line block ×3, first 2 shown]
	v_lshlrev_b32_e32 v22, 3, v0
	v_lshl_add_u32 v23, v1, 6, 0x800
	v_mov_b32_e32 v3, 0
	v_mov_b32_e32 v5, 0
	;; [unrolled: 1-line block ×4, first 2 shown]
	v_add_co_ci_u32_e64 v11, null, s19, v11, s1
	s_ashr_i32 s7, s6, 31
	s_ashr_i32 s27, s26, 31
	s_lshl_b64 s[2:3], s[6:7], 6
	s_lshl_b64 s[6:7], s[26:27], 6
	s_branch .LBB47_6
.LBB47_5:                               ;   in Loop: Header=BB47_6 Depth=1
	s_or_b32 exec_lo, exec_lo, s1
	s_waitcnt vmcnt(0)
	ds_write_b64 v21, v[16:17]
	s_waitcnt lgkmcnt(0)
	s_barrier
	buffer_gl0_inv
	ds_read_b128 v[14:17], v23
	ds_read2_b64 v[24:27], v22 offset1:16
	ds_read_b128 v[28:31], v23 offset:1024
	ds_read_b128 v[32:35], v23 offset:16
	ds_read2_b64 v[36:39], v22 offset0:32 offset1:48
	ds_read_b128 v[40:43], v23 offset:1040
	v_add_co_u32 v8, s1, v8, s2
	v_add_co_ci_u32_e64 v9, null, s3, v9, s1
	v_add_co_u32 v10, s1, v10, s6
	v_add_co_ci_u32_e64 v11, null, s7, v11, s1
	s_add_i32 s25, s25, 8
	s_cmp_lt_i32 s25, s21
	s_waitcnt lgkmcnt(4)
	v_fma_f64 v[12:13], v[24:25], v[14:15], v[12:13]
	v_fma_f64 v[6:7], v[26:27], v[14:15], v[6:7]
	s_waitcnt lgkmcnt(3)
	v_fma_f64 v[14:15], v[24:25], v[28:29], v[4:5]
	v_fma_f64 v[24:25], v[26:27], v[28:29], v[2:3]
	ds_read2_b64 v[2:5], v22 offset0:64 offset1:80
	s_waitcnt lgkmcnt(2)
	v_fma_f64 v[26:27], v[36:37], v[16:17], v[12:13]
	v_fma_f64 v[6:7], v[38:39], v[16:17], v[6:7]
	;; [unrolled: 1-line block ×4, first 2 shown]
	ds_read2_b64 v[12:15], v22 offset0:96 offset1:112
	s_waitcnt lgkmcnt(1)
	v_fma_f64 v[28:29], v[2:3], v[32:33], v[26:27]
	v_fma_f64 v[6:7], v[4:5], v[32:33], v[6:7]
	;; [unrolled: 1-line block ×4, first 2 shown]
	ds_read_b128 v[2:5], v23 offset:32
	ds_read2_b64 v[24:27], v22 offset0:128 offset1:144
	s_waitcnt lgkmcnt(2)
	v_fma_f64 v[40:41], v[12:13], v[34:35], v[28:29]
	v_fma_f64 v[6:7], v[14:15], v[34:35], v[6:7]
	;; [unrolled: 1-line block ×4, first 2 shown]
	ds_read_b128 v[12:15], v23 offset:1056
	ds_read_b128 v[28:31], v23 offset:48
	ds_read2_b64 v[32:35], v22 offset0:160 offset1:176
	ds_read_b128 v[36:39], v23 offset:1072
	s_waitcnt lgkmcnt(4)
	v_fma_f64 v[40:41], v[24:25], v[2:3], v[40:41]
	v_fma_f64 v[2:3], v[26:27], v[2:3], v[6:7]
	s_waitcnt lgkmcnt(3)
	v_fma_f64 v[6:7], v[24:25], v[12:13], v[16:17]
	v_fma_f64 v[12:13], v[26:27], v[12:13], v[42:43]
	ds_read2_b64 v[24:27], v22 offset0:192 offset1:208
	s_waitcnt lgkmcnt(2)
	v_fma_f64 v[40:41], v[32:33], v[4:5], v[40:41]
	v_fma_f64 v[2:3], v[34:35], v[4:5], v[2:3]
	;; [unrolled: 1-line block ×4, first 2 shown]
	ds_read2_b64 v[14:17], v22 offset0:224 offset1:240
	s_waitcnt lgkmcnt(0)
	s_barrier
	buffer_gl0_inv
	v_fma_f64 v[12:13], v[24:25], v[28:29], v[40:41]
	v_fma_f64 v[2:3], v[26:27], v[28:29], v[2:3]
	;; [unrolled: 1-line block ×8, first 2 shown]
	s_cbranch_scc0 .LBB47_10
.LBB47_6:                               ; =>This Inner Loop Header: Depth=1
	v_add_nc_u32_e32 v14, s25, v19
	v_cmp_gt_i32_e64 s1, s21, v14
	v_mov_b32_e32 v14, 0
	v_mov_b32_e32 v15, 0
	s_and_b32 s12, vcc_lo, s1
	s_and_saveexec_b32 s1, s12
	s_cbranch_execz .LBB47_8
; %bb.7:                                ;   in Loop: Header=BB47_6 Depth=1
	global_load_dwordx2 v[14:15], v[8:9], off
.LBB47_8:                               ;   in Loop: Header=BB47_6 Depth=1
	s_or_b32 exec_lo, exec_lo, s1
	v_add_nc_u32_e32 v16, s25, v18
	s_waitcnt vmcnt(0)
	ds_write_b64 v20, v[14:15]
	v_cmp_gt_i32_e64 s1, s21, v16
	v_mov_b32_e32 v16, 0
	v_mov_b32_e32 v17, 0
	s_and_b32 s12, s1, s0
	s_and_saveexec_b32 s1, s12
	s_cbranch_execz .LBB47_5
; %bb.9:                                ;   in Loop: Header=BB47_6 Depth=1
	global_load_dwordx2 v[16:17], v[10:11], off
	s_branch .LBB47_5
.LBB47_10:
	s_clause 0x1
	s_load_dword s3, s[4:5], 0x50
	s_load_dwordx2 s[4:5], s[4:5], 0x58
	v_add_nc_u32_e32 v15, s24, v1
	v_add_nc_u32_e32 v0, s9, v0
	v_cmp_le_i32_e32 vcc_lo, v15, v0
	v_cmp_gt_i32_e64 s0, s20, v0
	v_ashrrev_i32_e32 v1, 31, v0
	s_waitcnt lgkmcnt(0)
	v_mad_i64_i32 v[8:9], null, v15, s3, 0
	s_mul_i32 s1, s5, s8
	s_mul_hi_u32 s2, s4, s8
	s_mul_i32 s4, s4, s8
	s_add_i32 s5, s2, s1
	v_cmp_neq_f64_e64 s2, s[10:11], 0
	s_lshl_b64 s[4:5], s[4:5], 3
	v_lshlrev_b64 v[8:9], 3, v[8:9]
	s_add_u32 s4, s22, s4
	s_addc_u32 s5, s23, s5
	s_and_b32 s6, vcc_lo, s0
	v_add_co_u32 v16, s1, s4, v8
	v_add_co_ci_u32_e64 v17, null, s5, v9, s1
	v_cndmask_b32_e64 v14, 0, 1, s2
	s_and_saveexec_b32 s1, s6
	s_cbranch_execz .LBB47_14
; %bb.11:
	v_mul_f64 v[8:9], s[14:15], v[12:13]
	v_lshlrev_b64 v[10:11], 3, v[0:1]
	v_add_co_u32 v10, vcc_lo, v16, v10
	v_add_co_ci_u32_e64 v11, null, v17, v11, vcc_lo
	s_andn2_b32 vcc_lo, exec_lo, s2
	s_cbranch_vccnz .LBB47_13
; %bb.12:
	global_load_dwordx2 v[12:13], v[10:11], off
	s_waitcnt vmcnt(0)
	v_fma_f64 v[8:9], s[10:11], v[12:13], v[8:9]
.LBB47_13:
	global_store_dwordx2 v[10:11], v[8:9], off
.LBB47_14:
	s_or_b32 exec_lo, exec_lo, s1
	v_add_nc_u32_e32 v8, 16, v0
	v_cmp_le_i32_e32 vcc_lo, v15, v8
	v_cmp_gt_i32_e64 s1, s20, v8
	v_ashrrev_i32_e32 v9, 31, v8
	s_and_b32 s2, vcc_lo, s1
	s_and_saveexec_b32 s6, s2
	s_cbranch_execz .LBB47_18
; %bb.15:
	v_mul_f64 v[6:7], s[14:15], v[6:7]
	v_lshlrev_b64 v[10:11], 3, v[8:9]
	v_cmp_ne_u32_e32 vcc_lo, 1, v14
	v_add_co_u32 v10, s2, v16, v10
	v_add_co_ci_u32_e64 v11, null, v17, v11, s2
	s_cbranch_vccnz .LBB47_17
; %bb.16:
	global_load_dwordx2 v[12:13], v[10:11], off
	s_waitcnt vmcnt(0)
	v_fma_f64 v[6:7], s[10:11], v[12:13], v[6:7]
.LBB47_17:
	global_store_dwordx2 v[10:11], v[6:7], off
.LBB47_18:
	s_or_b32 exec_lo, exec_lo, s6
	v_add_nc_u32_e32 v10, 16, v15
	v_mad_i64_i32 v[6:7], null, v10, s3, 0
	v_cmp_le_i32_e32 vcc_lo, v10, v0
	s_and_b32 s0, vcc_lo, s0
	v_lshlrev_b64 v[6:7], 3, v[6:7]
	v_add_co_u32 v6, s2, s4, v6
	v_add_co_ci_u32_e64 v7, null, s5, v7, s2
	s_and_saveexec_b32 s2, s0
	s_cbranch_execz .LBB47_22
; %bb.19:
	v_mul_f64 v[4:5], s[14:15], v[4:5]
	v_lshlrev_b64 v[0:1], 3, v[0:1]
	v_cmp_ne_u32_e32 vcc_lo, 1, v14
	v_add_co_u32 v0, s0, v6, v0
	v_add_co_ci_u32_e64 v1, null, v7, v1, s0
	s_cbranch_vccnz .LBB47_21
; %bb.20:
	global_load_dwordx2 v[11:12], v[0:1], off
	s_waitcnt vmcnt(0)
	v_fma_f64 v[4:5], s[10:11], v[11:12], v[4:5]
.LBB47_21:
	global_store_dwordx2 v[0:1], v[4:5], off
.LBB47_22:
	s_or_b32 exec_lo, exec_lo, s2
	v_cmp_le_i32_e32 vcc_lo, v10, v8
	s_and_b32 s0, vcc_lo, s1
	s_and_saveexec_b32 s1, s0
	s_cbranch_execz .LBB47_26
; %bb.23:
	v_mul_f64 v[0:1], s[14:15], v[2:3]
	v_lshlrev_b64 v[2:3], 3, v[8:9]
	v_cmp_ne_u32_e32 vcc_lo, 1, v14
	v_add_co_u32 v2, s0, v6, v2
	v_add_co_ci_u32_e64 v3, null, v7, v3, s0
	s_cbranch_vccnz .LBB47_25
; %bb.24:
	global_load_dwordx2 v[4:5], v[2:3], off
	s_waitcnt vmcnt(0)
	v_fma_f64 v[0:1], s[10:11], v[4:5], v[0:1]
.LBB47_25:
	global_store_dwordx2 v[2:3], v[0:1], off
.LBB47_26:
	s_endpgm
	.section	.rodata,"a",@progbits
	.p2align	6, 0x0
	.amdhsa_kernel _ZL29rocblas_internal_gemmt_kernelIiLi16ELi32ELi8ELc78ELc67ELc76ELb0ELb0EdPKdS1_PdEviT_T9_T10_S3_lS5_S3_lS4_T11_S3_li
		.amdhsa_group_segment_fixed_size 4096
		.amdhsa_private_segment_fixed_size 0
		.amdhsa_kernarg_size 100
		.amdhsa_user_sgpr_count 6
		.amdhsa_user_sgpr_private_segment_buffer 1
		.amdhsa_user_sgpr_dispatch_ptr 0
		.amdhsa_user_sgpr_queue_ptr 0
		.amdhsa_user_sgpr_kernarg_segment_ptr 1
		.amdhsa_user_sgpr_dispatch_id 0
		.amdhsa_user_sgpr_flat_scratch_init 0
		.amdhsa_user_sgpr_private_segment_size 0
		.amdhsa_wavefront_size32 1
		.amdhsa_uses_dynamic_stack 0
		.amdhsa_system_sgpr_private_segment_wavefront_offset 0
		.amdhsa_system_sgpr_workgroup_id_x 1
		.amdhsa_system_sgpr_workgroup_id_y 1
		.amdhsa_system_sgpr_workgroup_id_z 1
		.amdhsa_system_sgpr_workgroup_info 0
		.amdhsa_system_vgpr_workitem_id 1
		.amdhsa_next_free_vgpr 44
		.amdhsa_next_free_sgpr 28
		.amdhsa_reserve_vcc 1
		.amdhsa_reserve_flat_scratch 0
		.amdhsa_float_round_mode_32 0
		.amdhsa_float_round_mode_16_64 0
		.amdhsa_float_denorm_mode_32 3
		.amdhsa_float_denorm_mode_16_64 3
		.amdhsa_dx10_clamp 1
		.amdhsa_ieee_mode 1
		.amdhsa_fp16_overflow 0
		.amdhsa_workgroup_processor_mode 1
		.amdhsa_memory_ordered 1
		.amdhsa_forward_progress 1
		.amdhsa_shared_vgpr_count 0
		.amdhsa_exception_fp_ieee_invalid_op 0
		.amdhsa_exception_fp_denorm_src 0
		.amdhsa_exception_fp_ieee_div_zero 0
		.amdhsa_exception_fp_ieee_overflow 0
		.amdhsa_exception_fp_ieee_underflow 0
		.amdhsa_exception_fp_ieee_inexact 0
		.amdhsa_exception_int_div_zero 0
	.end_amdhsa_kernel
	.section	.text._ZL29rocblas_internal_gemmt_kernelIiLi16ELi32ELi8ELc78ELc67ELc76ELb0ELb0EdPKdS1_PdEviT_T9_T10_S3_lS5_S3_lS4_T11_S3_li,"axG",@progbits,_ZL29rocblas_internal_gemmt_kernelIiLi16ELi32ELi8ELc78ELc67ELc76ELb0ELb0EdPKdS1_PdEviT_T9_T10_S3_lS5_S3_lS4_T11_S3_li,comdat
.Lfunc_end47:
	.size	_ZL29rocblas_internal_gemmt_kernelIiLi16ELi32ELi8ELc78ELc67ELc76ELb0ELb0EdPKdS1_PdEviT_T9_T10_S3_lS5_S3_lS4_T11_S3_li, .Lfunc_end47-_ZL29rocblas_internal_gemmt_kernelIiLi16ELi32ELi8ELc78ELc67ELc76ELb0ELb0EdPKdS1_PdEviT_T9_T10_S3_lS5_S3_lS4_T11_S3_li
                                        ; -- End function
	.set _ZL29rocblas_internal_gemmt_kernelIiLi16ELi32ELi8ELc78ELc67ELc76ELb0ELb0EdPKdS1_PdEviT_T9_T10_S3_lS5_S3_lS4_T11_S3_li.num_vgpr, 44
	.set _ZL29rocblas_internal_gemmt_kernelIiLi16ELi32ELi8ELc78ELc67ELc76ELb0ELb0EdPKdS1_PdEviT_T9_T10_S3_lS5_S3_lS4_T11_S3_li.num_agpr, 0
	.set _ZL29rocblas_internal_gemmt_kernelIiLi16ELi32ELi8ELc78ELc67ELc76ELb0ELb0EdPKdS1_PdEviT_T9_T10_S3_lS5_S3_lS4_T11_S3_li.numbered_sgpr, 28
	.set _ZL29rocblas_internal_gemmt_kernelIiLi16ELi32ELi8ELc78ELc67ELc76ELb0ELb0EdPKdS1_PdEviT_T9_T10_S3_lS5_S3_lS4_T11_S3_li.num_named_barrier, 0
	.set _ZL29rocblas_internal_gemmt_kernelIiLi16ELi32ELi8ELc78ELc67ELc76ELb0ELb0EdPKdS1_PdEviT_T9_T10_S3_lS5_S3_lS4_T11_S3_li.private_seg_size, 0
	.set _ZL29rocblas_internal_gemmt_kernelIiLi16ELi32ELi8ELc78ELc67ELc76ELb0ELb0EdPKdS1_PdEviT_T9_T10_S3_lS5_S3_lS4_T11_S3_li.uses_vcc, 1
	.set _ZL29rocblas_internal_gemmt_kernelIiLi16ELi32ELi8ELc78ELc67ELc76ELb0ELb0EdPKdS1_PdEviT_T9_T10_S3_lS5_S3_lS4_T11_S3_li.uses_flat_scratch, 0
	.set _ZL29rocblas_internal_gemmt_kernelIiLi16ELi32ELi8ELc78ELc67ELc76ELb0ELb0EdPKdS1_PdEviT_T9_T10_S3_lS5_S3_lS4_T11_S3_li.has_dyn_sized_stack, 0
	.set _ZL29rocblas_internal_gemmt_kernelIiLi16ELi32ELi8ELc78ELc67ELc76ELb0ELb0EdPKdS1_PdEviT_T9_T10_S3_lS5_S3_lS4_T11_S3_li.has_recursion, 0
	.set _ZL29rocblas_internal_gemmt_kernelIiLi16ELi32ELi8ELc78ELc67ELc76ELb0ELb0EdPKdS1_PdEviT_T9_T10_S3_lS5_S3_lS4_T11_S3_li.has_indirect_call, 0
	.section	.AMDGPU.csdata,"",@progbits
; Kernel info:
; codeLenInByte = 1688
; TotalNumSgprs: 30
; NumVgprs: 44
; ScratchSize: 0
; MemoryBound: 0
; FloatMode: 240
; IeeeMode: 1
; LDSByteSize: 4096 bytes/workgroup (compile time only)
; SGPRBlocks: 0
; VGPRBlocks: 5
; NumSGPRsForWavesPerEU: 30
; NumVGPRsForWavesPerEU: 44
; Occupancy: 16
; WaveLimiterHint : 0
; COMPUTE_PGM_RSRC2:SCRATCH_EN: 0
; COMPUTE_PGM_RSRC2:USER_SGPR: 6
; COMPUTE_PGM_RSRC2:TRAP_HANDLER: 0
; COMPUTE_PGM_RSRC2:TGID_X_EN: 1
; COMPUTE_PGM_RSRC2:TGID_Y_EN: 1
; COMPUTE_PGM_RSRC2:TGID_Z_EN: 1
; COMPUTE_PGM_RSRC2:TIDIG_COMP_CNT: 1
	.section	.text._ZL29rocblas_internal_gemmt_kernelIiLi16ELi32ELi8ELc84ELc78ELc76ELb0ELb0EdPKdS1_PdEviT_T9_T10_S3_lS5_S3_lS4_T11_S3_li,"axG",@progbits,_ZL29rocblas_internal_gemmt_kernelIiLi16ELi32ELi8ELc84ELc78ELc76ELb0ELb0EdPKdS1_PdEviT_T9_T10_S3_lS5_S3_lS4_T11_S3_li,comdat
	.globl	_ZL29rocblas_internal_gemmt_kernelIiLi16ELi32ELi8ELc84ELc78ELc76ELb0ELb0EdPKdS1_PdEviT_T9_T10_S3_lS5_S3_lS4_T11_S3_li ; -- Begin function _ZL29rocblas_internal_gemmt_kernelIiLi16ELi32ELi8ELc84ELc78ELc76ELb0ELb0EdPKdS1_PdEviT_T9_T10_S3_lS5_S3_lS4_T11_S3_li
	.p2align	8
	.type	_ZL29rocblas_internal_gemmt_kernelIiLi16ELi32ELi8ELc84ELc78ELc76ELb0ELb0EdPKdS1_PdEviT_T9_T10_S3_lS5_S3_lS4_T11_S3_li,@function
_ZL29rocblas_internal_gemmt_kernelIiLi16ELi32ELi8ELc84ELc78ELc76ELb0ELb0EdPKdS1_PdEviT_T9_T10_S3_lS5_S3_lS4_T11_S3_li: ; @_ZL29rocblas_internal_gemmt_kernelIiLi16ELi32ELi8ELc84ELc78ELc76ELb0ELb0EdPKdS1_PdEviT_T9_T10_S3_lS5_S3_lS4_T11_S3_li
; %bb.0:
	s_load_dwordx4 s[12:15], s[4:5], 0x38
	s_waitcnt lgkmcnt(0)
	s_load_dwordx2 s[10:11], s[14:15], 0x0
	s_clause 0x1
	s_load_dwordx4 s[0:3], s[4:5], 0x8
	s_load_dwordx2 s[20:21], s[4:5], 0x0
	s_waitcnt lgkmcnt(0)
	s_load_dwordx2 s[14:15], s[0:1], 0x0
	v_cmp_neq_f64_e64 s9, s[10:11], 1.0
	s_and_b32 vcc_lo, exec_lo, s9
	s_cbranch_vccnz .LBB48_2
; %bb.1:
	s_waitcnt lgkmcnt(0)
	v_cmp_neq_f64_e64 s0, s[14:15], 0
	s_cmp_lg_u32 s21, 0
	s_cselect_b32 s1, -1, 0
	s_and_b32 s9, s1, s0
.LBB48_2:
	s_andn2_b32 vcc_lo, exec_lo, s9
	s_cbranch_vccnz .LBB48_26
; %bb.3:
	s_waitcnt lgkmcnt(0)
	v_cmp_eq_f64_e64 s0, s[14:15], 0
	s_load_dwordx2 s[22:23], s[4:5], 0x48
	s_lshl_b32 s6, s6, 5
	s_lshl_b32 s7, s7, 5
	s_cmp_lt_i32 s21, 1
	v_mov_b32_e32 v12, 0
	s_cselect_b32 s1, -1, 0
	v_mov_b32_e32 v6, 0
	v_mov_b32_e32 v4, 0
	;; [unrolled: 1-line block ×7, first 2 shown]
	s_mov_b32 s9, 0
	s_or_b32 s0, s0, s1
	s_and_b32 vcc_lo, exec_lo, s0
	s_cbranch_vccnz .LBB48_10
; %bb.4:
	s_load_dword s0, s[4:5], 0x18
	v_lshl_add_u32 v2, v1, 4, v0
	s_clause 0x1
	s_load_dwordx4 s[16:19], s[4:5], 0x20
	s_load_dword s1, s[4:5], 0x30
	v_and_b32_e32 v18, 7, v0
	v_mov_b32_e32 v12, 0
	v_lshlrev_b32_e32 v19, 3, v0
	v_and_b32_e32 v4, 31, v2
	v_lshrrev_b32_e32 v3, 3, v2
	v_lshrrev_b32_e32 v21, 5, v2
	v_lshlrev_b32_e32 v6, 3, v18
	v_lshl_add_u32 v20, v1, 6, 0x800
	v_add_nc_u32_e32 v2, s6, v4
	v_add_nc_u32_e32 v5, s7, v3
	v_or_b32_e32 v7, s6, v4
	v_lshl_or_b32 v8, v3, 6, v6
	v_lshlrev_b32_e32 v4, 3, v4
	v_lshlrev_b32_e32 v9, 3, v21
	v_mov_b32_e32 v13, 0
	v_cmp_gt_i32_e32 vcc_lo, s20, v7
	v_add_nc_u32_e32 v23, 0x800, v8
	s_waitcnt lgkmcnt(0)
	v_mad_i64_i32 v[2:3], null, s0, v2, 0
	v_lshl_or_b32 v22, v21, 8, v4
	v_cmp_gt_i32_e64 s0, s20, v5
	s_mul_i32 s17, s17, s8
	s_mul_hi_u32 s24, s16, s8
	v_mad_i64_i32 v[4:5], null, s1, v5, 0
	v_lshlrev_b64 v[2:3], 3, v[2:3]
	s_mul_i32 s16, s16, s8
	s_add_i32 s17, s24, s17
	s_lshl_b64 s[16:17], s[16:17], 3
	v_add_co_u32 v7, s1, v2, s16
	v_add_co_ci_u32_e64 v8, null, s17, v3, s1
	s_mul_i32 s1, s13, s8
	s_mul_hi_u32 s13, s12, s8
	v_lshlrev_b64 v[2:3], 3, v[4:5]
	s_add_i32 s13, s13, s1
	s_mul_i32 s12, s12, s8
	v_add_co_u32 v4, s1, v7, v9
	s_lshl_b64 s[12:13], s[12:13], 3
	v_add_co_ci_u32_e64 v5, null, 0, v8, s1
	v_add_co_u32 v2, s1, v2, s12
	v_add_co_ci_u32_e64 v3, null, s13, v3, s1
	v_add_co_u32 v8, s1, s2, v4
	;; [unrolled: 2-line block ×3, first 2 shown]
	v_add_co_ci_u32_e64 v11, null, 0, v3, s1
	v_mov_b32_e32 v2, 0
	v_add_co_u32 v10, s1, s18, v10
	v_mov_b32_e32 v4, 0
	v_mov_b32_e32 v6, 0
	;; [unrolled: 1-line block ×5, first 2 shown]
	v_add_co_ci_u32_e64 v11, null, s19, v11, s1
	s_branch .LBB48_6
.LBB48_5:                               ;   in Loop: Header=BB48_6 Depth=1
	s_or_b32 exec_lo, exec_lo, s1
	s_waitcnt vmcnt(0)
	ds_write_b64 v23, v[16:17]
	s_waitcnt lgkmcnt(0)
	s_barrier
	buffer_gl0_inv
	ds_read_b128 v[14:17], v20
	ds_read2_b64 v[24:27], v19 offset1:16
	ds_read_b128 v[28:31], v20 offset:1024
	ds_read_b128 v[32:35], v20 offset:16
	ds_read2_b64 v[36:39], v19 offset0:32 offset1:48
	ds_read_b128 v[40:43], v20 offset:1040
	v_add_co_u32 v8, s1, v8, 64
	v_add_co_ci_u32_e64 v9, null, 0, v9, s1
	v_add_co_u32 v10, s1, v10, 64
	v_add_co_ci_u32_e64 v11, null, 0, v11, s1
	s_add_i32 s9, s9, 8
	s_cmp_lt_i32 s9, s21
	s_waitcnt lgkmcnt(4)
	v_fma_f64 v[12:13], v[24:25], v[14:15], v[12:13]
	v_fma_f64 v[6:7], v[26:27], v[14:15], v[6:7]
	s_waitcnt lgkmcnt(3)
	v_fma_f64 v[14:15], v[24:25], v[28:29], v[4:5]
	v_fma_f64 v[24:25], v[26:27], v[28:29], v[2:3]
	ds_read2_b64 v[2:5], v19 offset0:64 offset1:80
	s_waitcnt lgkmcnt(2)
	v_fma_f64 v[26:27], v[36:37], v[16:17], v[12:13]
	v_fma_f64 v[6:7], v[38:39], v[16:17], v[6:7]
	;; [unrolled: 1-line block ×4, first 2 shown]
	ds_read2_b64 v[12:15], v19 offset0:96 offset1:112
	s_waitcnt lgkmcnt(1)
	v_fma_f64 v[28:29], v[2:3], v[32:33], v[26:27]
	v_fma_f64 v[6:7], v[4:5], v[32:33], v[6:7]
	;; [unrolled: 1-line block ×4, first 2 shown]
	ds_read_b128 v[2:5], v20 offset:32
	ds_read2_b64 v[24:27], v19 offset0:128 offset1:144
	s_waitcnt lgkmcnt(2)
	v_fma_f64 v[40:41], v[12:13], v[34:35], v[28:29]
	v_fma_f64 v[6:7], v[14:15], v[34:35], v[6:7]
	;; [unrolled: 1-line block ×4, first 2 shown]
	ds_read_b128 v[12:15], v20 offset:1056
	ds_read_b128 v[28:31], v20 offset:48
	ds_read2_b64 v[32:35], v19 offset0:160 offset1:176
	ds_read_b128 v[36:39], v20 offset:1072
	s_waitcnt lgkmcnt(4)
	v_fma_f64 v[40:41], v[24:25], v[2:3], v[40:41]
	v_fma_f64 v[2:3], v[26:27], v[2:3], v[6:7]
	s_waitcnt lgkmcnt(3)
	v_fma_f64 v[6:7], v[24:25], v[12:13], v[16:17]
	v_fma_f64 v[12:13], v[26:27], v[12:13], v[42:43]
	ds_read2_b64 v[24:27], v19 offset0:192 offset1:208
	s_waitcnt lgkmcnt(2)
	v_fma_f64 v[40:41], v[32:33], v[4:5], v[40:41]
	v_fma_f64 v[2:3], v[34:35], v[4:5], v[2:3]
	;; [unrolled: 1-line block ×4, first 2 shown]
	ds_read2_b64 v[14:17], v19 offset0:224 offset1:240
	s_waitcnt lgkmcnt(0)
	s_barrier
	buffer_gl0_inv
	v_fma_f64 v[12:13], v[24:25], v[28:29], v[40:41]
	v_fma_f64 v[2:3], v[26:27], v[28:29], v[2:3]
	;; [unrolled: 1-line block ×8, first 2 shown]
	s_cbranch_scc0 .LBB48_10
.LBB48_6:                               ; =>This Inner Loop Header: Depth=1
	v_add_nc_u32_e32 v14, s9, v21
	v_cmp_gt_i32_e64 s1, s21, v14
	v_mov_b32_e32 v14, 0
	v_mov_b32_e32 v15, 0
	s_and_b32 s2, vcc_lo, s1
	s_and_saveexec_b32 s1, s2
	s_cbranch_execz .LBB48_8
; %bb.7:                                ;   in Loop: Header=BB48_6 Depth=1
	global_load_dwordx2 v[14:15], v[8:9], off
.LBB48_8:                               ;   in Loop: Header=BB48_6 Depth=1
	s_or_b32 exec_lo, exec_lo, s1
	v_add_nc_u32_e32 v16, s9, v18
	s_waitcnt vmcnt(0)
	ds_write_b64 v22, v[14:15]
	v_cmp_gt_i32_e64 s1, s21, v16
	v_mov_b32_e32 v16, 0
	v_mov_b32_e32 v17, 0
	s_and_b32 s2, s1, s0
	s_and_saveexec_b32 s1, s2
	s_cbranch_execz .LBB48_5
; %bb.9:                                ;   in Loop: Header=BB48_6 Depth=1
	global_load_dwordx2 v[16:17], v[10:11], off
	s_branch .LBB48_5
.LBB48_10:
	s_clause 0x1
	s_load_dword s3, s[4:5], 0x50
	s_load_dwordx2 s[4:5], s[4:5], 0x58
	v_add_nc_u32_e32 v15, s7, v1
	v_add_nc_u32_e32 v0, s6, v0
	v_cmp_le_i32_e32 vcc_lo, v15, v0
	v_cmp_gt_i32_e64 s0, s20, v0
	v_ashrrev_i32_e32 v1, 31, v0
	s_waitcnt lgkmcnt(0)
	v_mad_i64_i32 v[8:9], null, v15, s3, 0
	s_mul_i32 s1, s5, s8
	s_mul_hi_u32 s2, s4, s8
	s_mul_i32 s4, s4, s8
	s_add_i32 s5, s2, s1
	v_cmp_neq_f64_e64 s2, s[10:11], 0
	s_lshl_b64 s[4:5], s[4:5], 3
	v_lshlrev_b64 v[8:9], 3, v[8:9]
	s_add_u32 s4, s22, s4
	s_addc_u32 s5, s23, s5
	s_and_b32 s6, vcc_lo, s0
	v_add_co_u32 v16, s1, s4, v8
	v_add_co_ci_u32_e64 v17, null, s5, v9, s1
	v_cndmask_b32_e64 v14, 0, 1, s2
	s_and_saveexec_b32 s1, s6
	s_cbranch_execz .LBB48_14
; %bb.11:
	v_mul_f64 v[8:9], s[14:15], v[12:13]
	v_lshlrev_b64 v[10:11], 3, v[0:1]
	v_add_co_u32 v10, vcc_lo, v16, v10
	v_add_co_ci_u32_e64 v11, null, v17, v11, vcc_lo
	s_andn2_b32 vcc_lo, exec_lo, s2
	s_cbranch_vccnz .LBB48_13
; %bb.12:
	global_load_dwordx2 v[12:13], v[10:11], off
	s_waitcnt vmcnt(0)
	v_fma_f64 v[8:9], s[10:11], v[12:13], v[8:9]
.LBB48_13:
	global_store_dwordx2 v[10:11], v[8:9], off
.LBB48_14:
	s_or_b32 exec_lo, exec_lo, s1
	v_add_nc_u32_e32 v8, 16, v0
	v_cmp_le_i32_e32 vcc_lo, v15, v8
	v_cmp_gt_i32_e64 s1, s20, v8
	v_ashrrev_i32_e32 v9, 31, v8
	s_and_b32 s2, vcc_lo, s1
	s_and_saveexec_b32 s6, s2
	s_cbranch_execz .LBB48_18
; %bb.15:
	v_mul_f64 v[6:7], s[14:15], v[6:7]
	v_lshlrev_b64 v[10:11], 3, v[8:9]
	v_cmp_ne_u32_e32 vcc_lo, 1, v14
	v_add_co_u32 v10, s2, v16, v10
	v_add_co_ci_u32_e64 v11, null, v17, v11, s2
	s_cbranch_vccnz .LBB48_17
; %bb.16:
	global_load_dwordx2 v[12:13], v[10:11], off
	s_waitcnt vmcnt(0)
	v_fma_f64 v[6:7], s[10:11], v[12:13], v[6:7]
.LBB48_17:
	global_store_dwordx2 v[10:11], v[6:7], off
.LBB48_18:
	s_or_b32 exec_lo, exec_lo, s6
	v_add_nc_u32_e32 v10, 16, v15
	v_mad_i64_i32 v[6:7], null, v10, s3, 0
	v_cmp_le_i32_e32 vcc_lo, v10, v0
	s_and_b32 s0, vcc_lo, s0
	v_lshlrev_b64 v[6:7], 3, v[6:7]
	v_add_co_u32 v6, s2, s4, v6
	v_add_co_ci_u32_e64 v7, null, s5, v7, s2
	s_and_saveexec_b32 s2, s0
	s_cbranch_execz .LBB48_22
; %bb.19:
	v_mul_f64 v[4:5], s[14:15], v[4:5]
	v_lshlrev_b64 v[0:1], 3, v[0:1]
	v_cmp_ne_u32_e32 vcc_lo, 1, v14
	v_add_co_u32 v0, s0, v6, v0
	v_add_co_ci_u32_e64 v1, null, v7, v1, s0
	s_cbranch_vccnz .LBB48_21
; %bb.20:
	global_load_dwordx2 v[11:12], v[0:1], off
	s_waitcnt vmcnt(0)
	v_fma_f64 v[4:5], s[10:11], v[11:12], v[4:5]
.LBB48_21:
	global_store_dwordx2 v[0:1], v[4:5], off
.LBB48_22:
	s_or_b32 exec_lo, exec_lo, s2
	v_cmp_le_i32_e32 vcc_lo, v10, v8
	s_and_b32 s0, vcc_lo, s1
	s_and_saveexec_b32 s1, s0
	s_cbranch_execz .LBB48_26
; %bb.23:
	v_mul_f64 v[0:1], s[14:15], v[2:3]
	v_lshlrev_b64 v[2:3], 3, v[8:9]
	v_cmp_ne_u32_e32 vcc_lo, 1, v14
	v_add_co_u32 v2, s0, v6, v2
	v_add_co_ci_u32_e64 v3, null, v7, v3, s0
	s_cbranch_vccnz .LBB48_25
; %bb.24:
	global_load_dwordx2 v[4:5], v[2:3], off
	s_waitcnt vmcnt(0)
	v_fma_f64 v[0:1], s[10:11], v[4:5], v[0:1]
.LBB48_25:
	global_store_dwordx2 v[2:3], v[0:1], off
.LBB48_26:
	s_endpgm
	.section	.rodata,"a",@progbits
	.p2align	6, 0x0
	.amdhsa_kernel _ZL29rocblas_internal_gemmt_kernelIiLi16ELi32ELi8ELc84ELc78ELc76ELb0ELb0EdPKdS1_PdEviT_T9_T10_S3_lS5_S3_lS4_T11_S3_li
		.amdhsa_group_segment_fixed_size 4096
		.amdhsa_private_segment_fixed_size 0
		.amdhsa_kernarg_size 100
		.amdhsa_user_sgpr_count 6
		.amdhsa_user_sgpr_private_segment_buffer 1
		.amdhsa_user_sgpr_dispatch_ptr 0
		.amdhsa_user_sgpr_queue_ptr 0
		.amdhsa_user_sgpr_kernarg_segment_ptr 1
		.amdhsa_user_sgpr_dispatch_id 0
		.amdhsa_user_sgpr_flat_scratch_init 0
		.amdhsa_user_sgpr_private_segment_size 0
		.amdhsa_wavefront_size32 1
		.amdhsa_uses_dynamic_stack 0
		.amdhsa_system_sgpr_private_segment_wavefront_offset 0
		.amdhsa_system_sgpr_workgroup_id_x 1
		.amdhsa_system_sgpr_workgroup_id_y 1
		.amdhsa_system_sgpr_workgroup_id_z 1
		.amdhsa_system_sgpr_workgroup_info 0
		.amdhsa_system_vgpr_workitem_id 1
		.amdhsa_next_free_vgpr 44
		.amdhsa_next_free_sgpr 25
		.amdhsa_reserve_vcc 1
		.amdhsa_reserve_flat_scratch 0
		.amdhsa_float_round_mode_32 0
		.amdhsa_float_round_mode_16_64 0
		.amdhsa_float_denorm_mode_32 3
		.amdhsa_float_denorm_mode_16_64 3
		.amdhsa_dx10_clamp 1
		.amdhsa_ieee_mode 1
		.amdhsa_fp16_overflow 0
		.amdhsa_workgroup_processor_mode 1
		.amdhsa_memory_ordered 1
		.amdhsa_forward_progress 1
		.amdhsa_shared_vgpr_count 0
		.amdhsa_exception_fp_ieee_invalid_op 0
		.amdhsa_exception_fp_denorm_src 0
		.amdhsa_exception_fp_ieee_div_zero 0
		.amdhsa_exception_fp_ieee_overflow 0
		.amdhsa_exception_fp_ieee_underflow 0
		.amdhsa_exception_fp_ieee_inexact 0
		.amdhsa_exception_int_div_zero 0
	.end_amdhsa_kernel
	.section	.text._ZL29rocblas_internal_gemmt_kernelIiLi16ELi32ELi8ELc84ELc78ELc76ELb0ELb0EdPKdS1_PdEviT_T9_T10_S3_lS5_S3_lS4_T11_S3_li,"axG",@progbits,_ZL29rocblas_internal_gemmt_kernelIiLi16ELi32ELi8ELc84ELc78ELc76ELb0ELb0EdPKdS1_PdEviT_T9_T10_S3_lS5_S3_lS4_T11_S3_li,comdat
.Lfunc_end48:
	.size	_ZL29rocblas_internal_gemmt_kernelIiLi16ELi32ELi8ELc84ELc78ELc76ELb0ELb0EdPKdS1_PdEviT_T9_T10_S3_lS5_S3_lS4_T11_S3_li, .Lfunc_end48-_ZL29rocblas_internal_gemmt_kernelIiLi16ELi32ELi8ELc84ELc78ELc76ELb0ELb0EdPKdS1_PdEviT_T9_T10_S3_lS5_S3_lS4_T11_S3_li
                                        ; -- End function
	.set _ZL29rocblas_internal_gemmt_kernelIiLi16ELi32ELi8ELc84ELc78ELc76ELb0ELb0EdPKdS1_PdEviT_T9_T10_S3_lS5_S3_lS4_T11_S3_li.num_vgpr, 44
	.set _ZL29rocblas_internal_gemmt_kernelIiLi16ELi32ELi8ELc84ELc78ELc76ELb0ELb0EdPKdS1_PdEviT_T9_T10_S3_lS5_S3_lS4_T11_S3_li.num_agpr, 0
	.set _ZL29rocblas_internal_gemmt_kernelIiLi16ELi32ELi8ELc84ELc78ELc76ELb0ELb0EdPKdS1_PdEviT_T9_T10_S3_lS5_S3_lS4_T11_S3_li.numbered_sgpr, 25
	.set _ZL29rocblas_internal_gemmt_kernelIiLi16ELi32ELi8ELc84ELc78ELc76ELb0ELb0EdPKdS1_PdEviT_T9_T10_S3_lS5_S3_lS4_T11_S3_li.num_named_barrier, 0
	.set _ZL29rocblas_internal_gemmt_kernelIiLi16ELi32ELi8ELc84ELc78ELc76ELb0ELb0EdPKdS1_PdEviT_T9_T10_S3_lS5_S3_lS4_T11_S3_li.private_seg_size, 0
	.set _ZL29rocblas_internal_gemmt_kernelIiLi16ELi32ELi8ELc84ELc78ELc76ELb0ELb0EdPKdS1_PdEviT_T9_T10_S3_lS5_S3_lS4_T11_S3_li.uses_vcc, 1
	.set _ZL29rocblas_internal_gemmt_kernelIiLi16ELi32ELi8ELc84ELc78ELc76ELb0ELb0EdPKdS1_PdEviT_T9_T10_S3_lS5_S3_lS4_T11_S3_li.uses_flat_scratch, 0
	.set _ZL29rocblas_internal_gemmt_kernelIiLi16ELi32ELi8ELc84ELc78ELc76ELb0ELb0EdPKdS1_PdEviT_T9_T10_S3_lS5_S3_lS4_T11_S3_li.has_dyn_sized_stack, 0
	.set _ZL29rocblas_internal_gemmt_kernelIiLi16ELi32ELi8ELc84ELc78ELc76ELb0ELb0EdPKdS1_PdEviT_T9_T10_S3_lS5_S3_lS4_T11_S3_li.has_recursion, 0
	.set _ZL29rocblas_internal_gemmt_kernelIiLi16ELi32ELi8ELc84ELc78ELc76ELb0ELb0EdPKdS1_PdEviT_T9_T10_S3_lS5_S3_lS4_T11_S3_li.has_indirect_call, 0
	.section	.AMDGPU.csdata,"",@progbits
; Kernel info:
; codeLenInByte = 1652
; TotalNumSgprs: 27
; NumVgprs: 44
; ScratchSize: 0
; MemoryBound: 0
; FloatMode: 240
; IeeeMode: 1
; LDSByteSize: 4096 bytes/workgroup (compile time only)
; SGPRBlocks: 0
; VGPRBlocks: 5
; NumSGPRsForWavesPerEU: 27
; NumVGPRsForWavesPerEU: 44
; Occupancy: 16
; WaveLimiterHint : 0
; COMPUTE_PGM_RSRC2:SCRATCH_EN: 0
; COMPUTE_PGM_RSRC2:USER_SGPR: 6
; COMPUTE_PGM_RSRC2:TRAP_HANDLER: 0
; COMPUTE_PGM_RSRC2:TGID_X_EN: 1
; COMPUTE_PGM_RSRC2:TGID_Y_EN: 1
; COMPUTE_PGM_RSRC2:TGID_Z_EN: 1
; COMPUTE_PGM_RSRC2:TIDIG_COMP_CNT: 1
	.section	.text._ZL29rocblas_internal_gemmt_kernelIiLi16ELi32ELi8ELc84ELc84ELc76ELb0ELb0EdPKdS1_PdEviT_T9_T10_S3_lS5_S3_lS4_T11_S3_li,"axG",@progbits,_ZL29rocblas_internal_gemmt_kernelIiLi16ELi32ELi8ELc84ELc84ELc76ELb0ELb0EdPKdS1_PdEviT_T9_T10_S3_lS5_S3_lS4_T11_S3_li,comdat
	.globl	_ZL29rocblas_internal_gemmt_kernelIiLi16ELi32ELi8ELc84ELc84ELc76ELb0ELb0EdPKdS1_PdEviT_T9_T10_S3_lS5_S3_lS4_T11_S3_li ; -- Begin function _ZL29rocblas_internal_gemmt_kernelIiLi16ELi32ELi8ELc84ELc84ELc76ELb0ELb0EdPKdS1_PdEviT_T9_T10_S3_lS5_S3_lS4_T11_S3_li
	.p2align	8
	.type	_ZL29rocblas_internal_gemmt_kernelIiLi16ELi32ELi8ELc84ELc84ELc76ELb0ELb0EdPKdS1_PdEviT_T9_T10_S3_lS5_S3_lS4_T11_S3_li,@function
_ZL29rocblas_internal_gemmt_kernelIiLi16ELi32ELi8ELc84ELc84ELc76ELb0ELb0EdPKdS1_PdEviT_T9_T10_S3_lS5_S3_lS4_T11_S3_li: ; @_ZL29rocblas_internal_gemmt_kernelIiLi16ELi32ELi8ELc84ELc84ELc76ELb0ELb0EdPKdS1_PdEviT_T9_T10_S3_lS5_S3_lS4_T11_S3_li
; %bb.0:
	s_load_dwordx4 s[12:15], s[4:5], 0x38
	s_waitcnt lgkmcnt(0)
	s_load_dwordx2 s[10:11], s[14:15], 0x0
	s_clause 0x1
	s_load_dwordx4 s[0:3], s[4:5], 0x8
	s_load_dwordx2 s[20:21], s[4:5], 0x0
	s_waitcnt lgkmcnt(0)
	s_load_dwordx2 s[14:15], s[0:1], 0x0
	v_cmp_neq_f64_e64 s9, s[10:11], 1.0
	s_and_b32 vcc_lo, exec_lo, s9
	s_cbranch_vccnz .LBB49_2
; %bb.1:
	s_waitcnt lgkmcnt(0)
	v_cmp_neq_f64_e64 s0, s[14:15], 0
	s_cmp_lg_u32 s21, 0
	s_cselect_b32 s1, -1, 0
	s_and_b32 s9, s1, s0
.LBB49_2:
	s_andn2_b32 vcc_lo, exec_lo, s9
	s_cbranch_vccnz .LBB49_26
; %bb.3:
	s_waitcnt lgkmcnt(0)
	v_cmp_eq_f64_e64 s0, s[14:15], 0
	s_load_dwordx2 s[22:23], s[4:5], 0x48
	s_lshl_b32 s6, s6, 5
	s_lshl_b32 s7, s7, 5
	s_cmp_lt_i32 s21, 1
	v_mov_b32_e32 v12, 0
	s_cselect_b32 s1, -1, 0
	v_mov_b32_e32 v6, 0
	v_mov_b32_e32 v4, 0
	;; [unrolled: 1-line block ×7, first 2 shown]
	s_mov_b32 s9, 0
	s_or_b32 s0, s0, s1
	s_and_b32 vcc_lo, exec_lo, s0
	s_cbranch_vccnz .LBB49_10
; %bb.4:
	s_load_dword s0, s[4:5], 0x18
	v_lshl_add_u32 v2, v1, 4, v0
	s_clause 0x1
	s_load_dwordx4 s[16:19], s[4:5], 0x20
	s_load_dword s24, s[4:5], 0x30
	v_and_b32_e32 v18, 7, v0
	v_mov_b32_e32 v12, 0
	v_lshlrev_b32_e32 v19, 3, v0
	v_and_b32_e32 v3, 31, v2
	v_lshrrev_b32_e32 v4, 3, v2
	v_lshlrev_b32_e32 v5, 3, v18
	v_lshrrev_b32_e32 v21, 5, v2
	v_lshl_add_u32 v20, v1, 6, 0x800
	v_add_nc_u32_e32 v7, s6, v3
	v_add_nc_u32_e32 v2, s7, v4
	v_lshl_or_b32 v8, v4, 6, v5
	v_or_b32_e32 v6, s6, v3
	v_lshlrev_b32_e32 v3, 3, v3
	v_lshlrev_b32_e32 v10, 3, v21
	v_mov_b32_e32 v13, 0
	v_add_nc_u32_e32 v23, 0x800, v8
	v_cmp_gt_i32_e32 vcc_lo, s20, v6
	s_waitcnt lgkmcnt(0)
	v_mad_i64_i32 v[4:5], null, s0, v7, 0
	s_mul_i32 s1, s17, s8
	s_mul_hi_u32 s17, s16, s8
	v_mad_i64_i32 v[6:7], null, s24, v18, 0
	s_mul_i32 s16, s16, s8
	s_add_i32 s17, s17, s1
	v_lshlrev_b64 v[4:5], 3, v[4:5]
	s_lshl_b64 s[16:17], s[16:17], 3
	v_lshl_or_b32 v22, v21, 8, v3
	v_ashrrev_i32_e32 v3, 31, v2
	v_cmp_gt_i32_e64 s0, s20, v2
	s_ashr_i32 s25, s24, 31
	v_add_co_u32 v8, s1, v4, s16
	v_add_co_ci_u32_e64 v9, null, s17, v5, s1
	s_mul_i32 s1, s13, s8
	s_mul_hi_u32 s13, s12, s8
	v_lshlrev_b64 v[4:5], 3, v[6:7]
	s_add_i32 s13, s13, s1
	s_mul_i32 s12, s12, s8
	v_add_co_u32 v6, s1, v8, v10
	s_lshl_b64 s[12:13], s[12:13], 3
	v_lshlrev_b64 v[2:3], 3, v[2:3]
	v_add_co_ci_u32_e64 v7, null, 0, v9, s1
	v_add_co_u32 v4, s1, s12, v4
	v_add_co_ci_u32_e64 v5, null, s13, v5, s1
	v_add_co_u32 v8, s1, s2, v6
	;; [unrolled: 2-line block ×3, first 2 shown]
	v_add_co_ci_u32_e64 v11, null, v5, v3, s1
	v_mov_b32_e32 v2, 0
	v_add_co_u32 v10, s1, s18, v10
	v_mov_b32_e32 v4, 0
	v_mov_b32_e32 v6, 0
	v_mov_b32_e32 v3, 0
	v_mov_b32_e32 v5, 0
	v_mov_b32_e32 v7, 0
	v_add_co_ci_u32_e64 v11, null, s19, v11, s1
	s_lshl_b64 s[2:3], s[24:25], 6
	s_branch .LBB49_6
.LBB49_5:                               ;   in Loop: Header=BB49_6 Depth=1
	s_or_b32 exec_lo, exec_lo, s1
	s_waitcnt vmcnt(0)
	ds_write_b64 v23, v[16:17]
	s_waitcnt lgkmcnt(0)
	s_barrier
	buffer_gl0_inv
	ds_read_b128 v[14:17], v20
	ds_read2_b64 v[24:27], v19 offset1:16
	ds_read_b128 v[28:31], v20 offset:1024
	ds_read_b128 v[32:35], v20 offset:16
	ds_read2_b64 v[36:39], v19 offset0:32 offset1:48
	ds_read_b128 v[40:43], v20 offset:1040
	v_add_co_u32 v8, s1, v8, 64
	v_add_co_ci_u32_e64 v9, null, 0, v9, s1
	v_add_co_u32 v10, s1, v10, s2
	v_add_co_ci_u32_e64 v11, null, s3, v11, s1
	s_add_i32 s9, s9, 8
	s_cmp_lt_i32 s9, s21
	s_waitcnt lgkmcnt(4)
	v_fma_f64 v[12:13], v[24:25], v[14:15], v[12:13]
	v_fma_f64 v[6:7], v[26:27], v[14:15], v[6:7]
	s_waitcnt lgkmcnt(3)
	v_fma_f64 v[14:15], v[24:25], v[28:29], v[4:5]
	v_fma_f64 v[24:25], v[26:27], v[28:29], v[2:3]
	ds_read2_b64 v[2:5], v19 offset0:64 offset1:80
	s_waitcnt lgkmcnt(2)
	v_fma_f64 v[26:27], v[36:37], v[16:17], v[12:13]
	v_fma_f64 v[6:7], v[38:39], v[16:17], v[6:7]
	;; [unrolled: 1-line block ×4, first 2 shown]
	ds_read2_b64 v[12:15], v19 offset0:96 offset1:112
	s_waitcnt lgkmcnt(1)
	v_fma_f64 v[28:29], v[2:3], v[32:33], v[26:27]
	v_fma_f64 v[6:7], v[4:5], v[32:33], v[6:7]
	;; [unrolled: 1-line block ×4, first 2 shown]
	ds_read_b128 v[2:5], v20 offset:32
	ds_read2_b64 v[24:27], v19 offset0:128 offset1:144
	s_waitcnt lgkmcnt(2)
	v_fma_f64 v[40:41], v[12:13], v[34:35], v[28:29]
	v_fma_f64 v[6:7], v[14:15], v[34:35], v[6:7]
	v_fma_f64 v[16:17], v[12:13], v[42:43], v[16:17]
	v_fma_f64 v[42:43], v[14:15], v[42:43], v[30:31]
	ds_read_b128 v[12:15], v20 offset:1056
	ds_read_b128 v[28:31], v20 offset:48
	ds_read2_b64 v[32:35], v19 offset0:160 offset1:176
	ds_read_b128 v[36:39], v20 offset:1072
	s_waitcnt lgkmcnt(4)
	v_fma_f64 v[40:41], v[24:25], v[2:3], v[40:41]
	v_fma_f64 v[2:3], v[26:27], v[2:3], v[6:7]
	s_waitcnt lgkmcnt(3)
	v_fma_f64 v[6:7], v[24:25], v[12:13], v[16:17]
	v_fma_f64 v[12:13], v[26:27], v[12:13], v[42:43]
	ds_read2_b64 v[24:27], v19 offset0:192 offset1:208
	s_waitcnt lgkmcnt(2)
	v_fma_f64 v[40:41], v[32:33], v[4:5], v[40:41]
	v_fma_f64 v[2:3], v[34:35], v[4:5], v[2:3]
	;; [unrolled: 1-line block ×4, first 2 shown]
	ds_read2_b64 v[14:17], v19 offset0:224 offset1:240
	s_waitcnt lgkmcnt(0)
	s_barrier
	buffer_gl0_inv
	v_fma_f64 v[12:13], v[24:25], v[28:29], v[40:41]
	v_fma_f64 v[2:3], v[26:27], v[28:29], v[2:3]
	;; [unrolled: 1-line block ×8, first 2 shown]
	s_cbranch_scc0 .LBB49_10
.LBB49_6:                               ; =>This Inner Loop Header: Depth=1
	v_add_nc_u32_e32 v14, s9, v21
	v_cmp_gt_i32_e64 s1, s21, v14
	v_mov_b32_e32 v14, 0
	v_mov_b32_e32 v15, 0
	s_and_b32 s12, vcc_lo, s1
	s_and_saveexec_b32 s1, s12
	s_cbranch_execz .LBB49_8
; %bb.7:                                ;   in Loop: Header=BB49_6 Depth=1
	global_load_dwordx2 v[14:15], v[8:9], off
.LBB49_8:                               ;   in Loop: Header=BB49_6 Depth=1
	s_or_b32 exec_lo, exec_lo, s1
	v_add_nc_u32_e32 v16, s9, v18
	s_waitcnt vmcnt(0)
	ds_write_b64 v22, v[14:15]
	v_cmp_gt_i32_e64 s1, s21, v16
	v_mov_b32_e32 v16, 0
	v_mov_b32_e32 v17, 0
	s_and_b32 s12, s1, s0
	s_and_saveexec_b32 s1, s12
	s_cbranch_execz .LBB49_5
; %bb.9:                                ;   in Loop: Header=BB49_6 Depth=1
	global_load_dwordx2 v[16:17], v[10:11], off
	s_branch .LBB49_5
.LBB49_10:
	s_clause 0x1
	s_load_dword s3, s[4:5], 0x50
	s_load_dwordx2 s[4:5], s[4:5], 0x58
	v_add_nc_u32_e32 v15, s7, v1
	v_add_nc_u32_e32 v0, s6, v0
	v_cmp_le_i32_e32 vcc_lo, v15, v0
	v_cmp_gt_i32_e64 s0, s20, v0
	v_ashrrev_i32_e32 v1, 31, v0
	s_waitcnt lgkmcnt(0)
	v_mad_i64_i32 v[8:9], null, v15, s3, 0
	s_mul_i32 s1, s5, s8
	s_mul_hi_u32 s2, s4, s8
	s_mul_i32 s4, s4, s8
	s_add_i32 s5, s2, s1
	v_cmp_neq_f64_e64 s2, s[10:11], 0
	s_lshl_b64 s[4:5], s[4:5], 3
	v_lshlrev_b64 v[8:9], 3, v[8:9]
	s_add_u32 s4, s22, s4
	s_addc_u32 s5, s23, s5
	s_and_b32 s6, vcc_lo, s0
	v_add_co_u32 v16, s1, s4, v8
	v_add_co_ci_u32_e64 v17, null, s5, v9, s1
	v_cndmask_b32_e64 v14, 0, 1, s2
	s_and_saveexec_b32 s1, s6
	s_cbranch_execz .LBB49_14
; %bb.11:
	v_mul_f64 v[8:9], s[14:15], v[12:13]
	v_lshlrev_b64 v[10:11], 3, v[0:1]
	v_add_co_u32 v10, vcc_lo, v16, v10
	v_add_co_ci_u32_e64 v11, null, v17, v11, vcc_lo
	s_andn2_b32 vcc_lo, exec_lo, s2
	s_cbranch_vccnz .LBB49_13
; %bb.12:
	global_load_dwordx2 v[12:13], v[10:11], off
	s_waitcnt vmcnt(0)
	v_fma_f64 v[8:9], s[10:11], v[12:13], v[8:9]
.LBB49_13:
	global_store_dwordx2 v[10:11], v[8:9], off
.LBB49_14:
	s_or_b32 exec_lo, exec_lo, s1
	v_add_nc_u32_e32 v8, 16, v0
	v_cmp_le_i32_e32 vcc_lo, v15, v8
	v_cmp_gt_i32_e64 s1, s20, v8
	v_ashrrev_i32_e32 v9, 31, v8
	s_and_b32 s2, vcc_lo, s1
	s_and_saveexec_b32 s6, s2
	s_cbranch_execz .LBB49_18
; %bb.15:
	v_mul_f64 v[6:7], s[14:15], v[6:7]
	v_lshlrev_b64 v[10:11], 3, v[8:9]
	v_cmp_ne_u32_e32 vcc_lo, 1, v14
	v_add_co_u32 v10, s2, v16, v10
	v_add_co_ci_u32_e64 v11, null, v17, v11, s2
	s_cbranch_vccnz .LBB49_17
; %bb.16:
	global_load_dwordx2 v[12:13], v[10:11], off
	s_waitcnt vmcnt(0)
	v_fma_f64 v[6:7], s[10:11], v[12:13], v[6:7]
.LBB49_17:
	global_store_dwordx2 v[10:11], v[6:7], off
.LBB49_18:
	s_or_b32 exec_lo, exec_lo, s6
	v_add_nc_u32_e32 v10, 16, v15
	v_mad_i64_i32 v[6:7], null, v10, s3, 0
	v_cmp_le_i32_e32 vcc_lo, v10, v0
	s_and_b32 s0, vcc_lo, s0
	v_lshlrev_b64 v[6:7], 3, v[6:7]
	v_add_co_u32 v6, s2, s4, v6
	v_add_co_ci_u32_e64 v7, null, s5, v7, s2
	s_and_saveexec_b32 s2, s0
	s_cbranch_execz .LBB49_22
; %bb.19:
	v_mul_f64 v[4:5], s[14:15], v[4:5]
	v_lshlrev_b64 v[0:1], 3, v[0:1]
	v_cmp_ne_u32_e32 vcc_lo, 1, v14
	v_add_co_u32 v0, s0, v6, v0
	v_add_co_ci_u32_e64 v1, null, v7, v1, s0
	s_cbranch_vccnz .LBB49_21
; %bb.20:
	global_load_dwordx2 v[11:12], v[0:1], off
	s_waitcnt vmcnt(0)
	v_fma_f64 v[4:5], s[10:11], v[11:12], v[4:5]
.LBB49_21:
	global_store_dwordx2 v[0:1], v[4:5], off
.LBB49_22:
	s_or_b32 exec_lo, exec_lo, s2
	v_cmp_le_i32_e32 vcc_lo, v10, v8
	s_and_b32 s0, vcc_lo, s1
	s_and_saveexec_b32 s1, s0
	s_cbranch_execz .LBB49_26
; %bb.23:
	v_mul_f64 v[0:1], s[14:15], v[2:3]
	v_lshlrev_b64 v[2:3], 3, v[8:9]
	v_cmp_ne_u32_e32 vcc_lo, 1, v14
	v_add_co_u32 v2, s0, v6, v2
	v_add_co_ci_u32_e64 v3, null, v7, v3, s0
	s_cbranch_vccnz .LBB49_25
; %bb.24:
	global_load_dwordx2 v[4:5], v[2:3], off
	s_waitcnt vmcnt(0)
	v_fma_f64 v[0:1], s[10:11], v[4:5], v[0:1]
.LBB49_25:
	global_store_dwordx2 v[2:3], v[0:1], off
.LBB49_26:
	s_endpgm
	.section	.rodata,"a",@progbits
	.p2align	6, 0x0
	.amdhsa_kernel _ZL29rocblas_internal_gemmt_kernelIiLi16ELi32ELi8ELc84ELc84ELc76ELb0ELb0EdPKdS1_PdEviT_T9_T10_S3_lS5_S3_lS4_T11_S3_li
		.amdhsa_group_segment_fixed_size 4096
		.amdhsa_private_segment_fixed_size 0
		.amdhsa_kernarg_size 100
		.amdhsa_user_sgpr_count 6
		.amdhsa_user_sgpr_private_segment_buffer 1
		.amdhsa_user_sgpr_dispatch_ptr 0
		.amdhsa_user_sgpr_queue_ptr 0
		.amdhsa_user_sgpr_kernarg_segment_ptr 1
		.amdhsa_user_sgpr_dispatch_id 0
		.amdhsa_user_sgpr_flat_scratch_init 0
		.amdhsa_user_sgpr_private_segment_size 0
		.amdhsa_wavefront_size32 1
		.amdhsa_uses_dynamic_stack 0
		.amdhsa_system_sgpr_private_segment_wavefront_offset 0
		.amdhsa_system_sgpr_workgroup_id_x 1
		.amdhsa_system_sgpr_workgroup_id_y 1
		.amdhsa_system_sgpr_workgroup_id_z 1
		.amdhsa_system_sgpr_workgroup_info 0
		.amdhsa_system_vgpr_workitem_id 1
		.amdhsa_next_free_vgpr 44
		.amdhsa_next_free_sgpr 26
		.amdhsa_reserve_vcc 1
		.amdhsa_reserve_flat_scratch 0
		.amdhsa_float_round_mode_32 0
		.amdhsa_float_round_mode_16_64 0
		.amdhsa_float_denorm_mode_32 3
		.amdhsa_float_denorm_mode_16_64 3
		.amdhsa_dx10_clamp 1
		.amdhsa_ieee_mode 1
		.amdhsa_fp16_overflow 0
		.amdhsa_workgroup_processor_mode 1
		.amdhsa_memory_ordered 1
		.amdhsa_forward_progress 1
		.amdhsa_shared_vgpr_count 0
		.amdhsa_exception_fp_ieee_invalid_op 0
		.amdhsa_exception_fp_denorm_src 0
		.amdhsa_exception_fp_ieee_div_zero 0
		.amdhsa_exception_fp_ieee_overflow 0
		.amdhsa_exception_fp_ieee_underflow 0
		.amdhsa_exception_fp_ieee_inexact 0
		.amdhsa_exception_int_div_zero 0
	.end_amdhsa_kernel
	.section	.text._ZL29rocblas_internal_gemmt_kernelIiLi16ELi32ELi8ELc84ELc84ELc76ELb0ELb0EdPKdS1_PdEviT_T9_T10_S3_lS5_S3_lS4_T11_S3_li,"axG",@progbits,_ZL29rocblas_internal_gemmt_kernelIiLi16ELi32ELi8ELc84ELc84ELc76ELb0ELb0EdPKdS1_PdEviT_T9_T10_S3_lS5_S3_lS4_T11_S3_li,comdat
.Lfunc_end49:
	.size	_ZL29rocblas_internal_gemmt_kernelIiLi16ELi32ELi8ELc84ELc84ELc76ELb0ELb0EdPKdS1_PdEviT_T9_T10_S3_lS5_S3_lS4_T11_S3_li, .Lfunc_end49-_ZL29rocblas_internal_gemmt_kernelIiLi16ELi32ELi8ELc84ELc84ELc76ELb0ELb0EdPKdS1_PdEviT_T9_T10_S3_lS5_S3_lS4_T11_S3_li
                                        ; -- End function
	.set _ZL29rocblas_internal_gemmt_kernelIiLi16ELi32ELi8ELc84ELc84ELc76ELb0ELb0EdPKdS1_PdEviT_T9_T10_S3_lS5_S3_lS4_T11_S3_li.num_vgpr, 44
	.set _ZL29rocblas_internal_gemmt_kernelIiLi16ELi32ELi8ELc84ELc84ELc76ELb0ELb0EdPKdS1_PdEviT_T9_T10_S3_lS5_S3_lS4_T11_S3_li.num_agpr, 0
	.set _ZL29rocblas_internal_gemmt_kernelIiLi16ELi32ELi8ELc84ELc84ELc76ELb0ELb0EdPKdS1_PdEviT_T9_T10_S3_lS5_S3_lS4_T11_S3_li.numbered_sgpr, 26
	.set _ZL29rocblas_internal_gemmt_kernelIiLi16ELi32ELi8ELc84ELc84ELc76ELb0ELb0EdPKdS1_PdEviT_T9_T10_S3_lS5_S3_lS4_T11_S3_li.num_named_barrier, 0
	.set _ZL29rocblas_internal_gemmt_kernelIiLi16ELi32ELi8ELc84ELc84ELc76ELb0ELb0EdPKdS1_PdEviT_T9_T10_S3_lS5_S3_lS4_T11_S3_li.private_seg_size, 0
	.set _ZL29rocblas_internal_gemmt_kernelIiLi16ELi32ELi8ELc84ELc84ELc76ELb0ELb0EdPKdS1_PdEviT_T9_T10_S3_lS5_S3_lS4_T11_S3_li.uses_vcc, 1
	.set _ZL29rocblas_internal_gemmt_kernelIiLi16ELi32ELi8ELc84ELc84ELc76ELb0ELb0EdPKdS1_PdEviT_T9_T10_S3_lS5_S3_lS4_T11_S3_li.uses_flat_scratch, 0
	.set _ZL29rocblas_internal_gemmt_kernelIiLi16ELi32ELi8ELc84ELc84ELc76ELb0ELb0EdPKdS1_PdEviT_T9_T10_S3_lS5_S3_lS4_T11_S3_li.has_dyn_sized_stack, 0
	.set _ZL29rocblas_internal_gemmt_kernelIiLi16ELi32ELi8ELc84ELc84ELc76ELb0ELb0EdPKdS1_PdEviT_T9_T10_S3_lS5_S3_lS4_T11_S3_li.has_recursion, 0
	.set _ZL29rocblas_internal_gemmt_kernelIiLi16ELi32ELi8ELc84ELc84ELc76ELb0ELb0EdPKdS1_PdEviT_T9_T10_S3_lS5_S3_lS4_T11_S3_li.has_indirect_call, 0
	.section	.AMDGPU.csdata,"",@progbits
; Kernel info:
; codeLenInByte = 1672
; TotalNumSgprs: 28
; NumVgprs: 44
; ScratchSize: 0
; MemoryBound: 0
; FloatMode: 240
; IeeeMode: 1
; LDSByteSize: 4096 bytes/workgroup (compile time only)
; SGPRBlocks: 0
; VGPRBlocks: 5
; NumSGPRsForWavesPerEU: 28
; NumVGPRsForWavesPerEU: 44
; Occupancy: 16
; WaveLimiterHint : 0
; COMPUTE_PGM_RSRC2:SCRATCH_EN: 0
; COMPUTE_PGM_RSRC2:USER_SGPR: 6
; COMPUTE_PGM_RSRC2:TRAP_HANDLER: 0
; COMPUTE_PGM_RSRC2:TGID_X_EN: 1
; COMPUTE_PGM_RSRC2:TGID_Y_EN: 1
; COMPUTE_PGM_RSRC2:TGID_Z_EN: 1
; COMPUTE_PGM_RSRC2:TIDIG_COMP_CNT: 1
	.section	.text._ZL29rocblas_internal_gemmt_kernelIiLi16ELi32ELi8ELc84ELc67ELc76ELb0ELb0EdPKdS1_PdEviT_T9_T10_S3_lS5_S3_lS4_T11_S3_li,"axG",@progbits,_ZL29rocblas_internal_gemmt_kernelIiLi16ELi32ELi8ELc84ELc67ELc76ELb0ELb0EdPKdS1_PdEviT_T9_T10_S3_lS5_S3_lS4_T11_S3_li,comdat
	.globl	_ZL29rocblas_internal_gemmt_kernelIiLi16ELi32ELi8ELc84ELc67ELc76ELb0ELb0EdPKdS1_PdEviT_T9_T10_S3_lS5_S3_lS4_T11_S3_li ; -- Begin function _ZL29rocblas_internal_gemmt_kernelIiLi16ELi32ELi8ELc84ELc67ELc76ELb0ELb0EdPKdS1_PdEviT_T9_T10_S3_lS5_S3_lS4_T11_S3_li
	.p2align	8
	.type	_ZL29rocblas_internal_gemmt_kernelIiLi16ELi32ELi8ELc84ELc67ELc76ELb0ELb0EdPKdS1_PdEviT_T9_T10_S3_lS5_S3_lS4_T11_S3_li,@function
_ZL29rocblas_internal_gemmt_kernelIiLi16ELi32ELi8ELc84ELc67ELc76ELb0ELb0EdPKdS1_PdEviT_T9_T10_S3_lS5_S3_lS4_T11_S3_li: ; @_ZL29rocblas_internal_gemmt_kernelIiLi16ELi32ELi8ELc84ELc67ELc76ELb0ELb0EdPKdS1_PdEviT_T9_T10_S3_lS5_S3_lS4_T11_S3_li
; %bb.0:
	s_load_dwordx4 s[12:15], s[4:5], 0x38
	s_waitcnt lgkmcnt(0)
	s_load_dwordx2 s[10:11], s[14:15], 0x0
	s_clause 0x1
	s_load_dwordx4 s[0:3], s[4:5], 0x8
	s_load_dwordx2 s[20:21], s[4:5], 0x0
	s_waitcnt lgkmcnt(0)
	s_load_dwordx2 s[14:15], s[0:1], 0x0
	v_cmp_neq_f64_e64 s9, s[10:11], 1.0
	s_and_b32 vcc_lo, exec_lo, s9
	s_cbranch_vccnz .LBB50_2
; %bb.1:
	s_waitcnt lgkmcnt(0)
	v_cmp_neq_f64_e64 s0, s[14:15], 0
	s_cmp_lg_u32 s21, 0
	s_cselect_b32 s1, -1, 0
	s_and_b32 s9, s1, s0
.LBB50_2:
	s_andn2_b32 vcc_lo, exec_lo, s9
	s_cbranch_vccnz .LBB50_26
; %bb.3:
	s_waitcnt lgkmcnt(0)
	v_cmp_eq_f64_e64 s0, s[14:15], 0
	s_load_dwordx2 s[22:23], s[4:5], 0x48
	s_lshl_b32 s6, s6, 5
	s_lshl_b32 s7, s7, 5
	s_cmp_lt_i32 s21, 1
	v_mov_b32_e32 v12, 0
	s_cselect_b32 s1, -1, 0
	v_mov_b32_e32 v6, 0
	v_mov_b32_e32 v4, 0
	;; [unrolled: 1-line block ×7, first 2 shown]
	s_mov_b32 s9, 0
	s_or_b32 s0, s0, s1
	s_and_b32 vcc_lo, exec_lo, s0
	s_cbranch_vccnz .LBB50_10
; %bb.4:
	s_load_dword s0, s[4:5], 0x18
	v_lshl_add_u32 v2, v1, 4, v0
	s_clause 0x1
	s_load_dwordx4 s[16:19], s[4:5], 0x20
	s_load_dword s24, s[4:5], 0x30
	v_and_b32_e32 v18, 7, v0
	v_mov_b32_e32 v12, 0
	v_lshlrev_b32_e32 v19, 3, v0
	v_and_b32_e32 v3, 31, v2
	v_lshrrev_b32_e32 v4, 3, v2
	v_lshlrev_b32_e32 v5, 3, v18
	v_lshrrev_b32_e32 v21, 5, v2
	v_lshl_add_u32 v20, v1, 6, 0x800
	v_add_nc_u32_e32 v7, s6, v3
	v_add_nc_u32_e32 v2, s7, v4
	v_lshl_or_b32 v8, v4, 6, v5
	v_or_b32_e32 v6, s6, v3
	v_lshlrev_b32_e32 v3, 3, v3
	v_lshlrev_b32_e32 v10, 3, v21
	v_mov_b32_e32 v13, 0
	v_add_nc_u32_e32 v23, 0x800, v8
	v_cmp_gt_i32_e32 vcc_lo, s20, v6
	s_waitcnt lgkmcnt(0)
	v_mad_i64_i32 v[4:5], null, s0, v7, 0
	s_mul_i32 s1, s17, s8
	s_mul_hi_u32 s17, s16, s8
	v_mad_i64_i32 v[6:7], null, s24, v18, 0
	s_mul_i32 s16, s16, s8
	s_add_i32 s17, s17, s1
	v_lshlrev_b64 v[4:5], 3, v[4:5]
	s_lshl_b64 s[16:17], s[16:17], 3
	v_lshl_or_b32 v22, v21, 8, v3
	v_ashrrev_i32_e32 v3, 31, v2
	v_cmp_gt_i32_e64 s0, s20, v2
	s_ashr_i32 s25, s24, 31
	v_add_co_u32 v8, s1, v4, s16
	v_add_co_ci_u32_e64 v9, null, s17, v5, s1
	s_mul_i32 s1, s13, s8
	s_mul_hi_u32 s13, s12, s8
	v_lshlrev_b64 v[4:5], 3, v[6:7]
	s_add_i32 s13, s13, s1
	s_mul_i32 s12, s12, s8
	v_add_co_u32 v6, s1, v8, v10
	s_lshl_b64 s[12:13], s[12:13], 3
	v_lshlrev_b64 v[2:3], 3, v[2:3]
	v_add_co_ci_u32_e64 v7, null, 0, v9, s1
	v_add_co_u32 v4, s1, s12, v4
	v_add_co_ci_u32_e64 v5, null, s13, v5, s1
	v_add_co_u32 v8, s1, s2, v6
	v_add_co_ci_u32_e64 v9, null, s3, v7, s1
	v_add_co_u32 v10, s1, v4, v2
	v_add_co_ci_u32_e64 v11, null, v5, v3, s1
	v_mov_b32_e32 v2, 0
	v_add_co_u32 v10, s1, s18, v10
	v_mov_b32_e32 v4, 0
	v_mov_b32_e32 v6, 0
	;; [unrolled: 1-line block ×5, first 2 shown]
	v_add_co_ci_u32_e64 v11, null, s19, v11, s1
	s_lshl_b64 s[2:3], s[24:25], 6
	s_branch .LBB50_6
.LBB50_5:                               ;   in Loop: Header=BB50_6 Depth=1
	s_or_b32 exec_lo, exec_lo, s1
	s_waitcnt vmcnt(0)
	ds_write_b64 v23, v[16:17]
	s_waitcnt lgkmcnt(0)
	s_barrier
	buffer_gl0_inv
	ds_read_b128 v[14:17], v20
	ds_read2_b64 v[24:27], v19 offset1:16
	ds_read_b128 v[28:31], v20 offset:1024
	ds_read_b128 v[32:35], v20 offset:16
	ds_read2_b64 v[36:39], v19 offset0:32 offset1:48
	ds_read_b128 v[40:43], v20 offset:1040
	v_add_co_u32 v8, s1, v8, 64
	v_add_co_ci_u32_e64 v9, null, 0, v9, s1
	v_add_co_u32 v10, s1, v10, s2
	v_add_co_ci_u32_e64 v11, null, s3, v11, s1
	s_add_i32 s9, s9, 8
	s_cmp_lt_i32 s9, s21
	s_waitcnt lgkmcnt(4)
	v_fma_f64 v[12:13], v[24:25], v[14:15], v[12:13]
	v_fma_f64 v[6:7], v[26:27], v[14:15], v[6:7]
	s_waitcnt lgkmcnt(3)
	v_fma_f64 v[14:15], v[24:25], v[28:29], v[4:5]
	v_fma_f64 v[24:25], v[26:27], v[28:29], v[2:3]
	ds_read2_b64 v[2:5], v19 offset0:64 offset1:80
	s_waitcnt lgkmcnt(2)
	v_fma_f64 v[26:27], v[36:37], v[16:17], v[12:13]
	v_fma_f64 v[6:7], v[38:39], v[16:17], v[6:7]
	;; [unrolled: 1-line block ×4, first 2 shown]
	ds_read2_b64 v[12:15], v19 offset0:96 offset1:112
	s_waitcnt lgkmcnt(1)
	v_fma_f64 v[28:29], v[2:3], v[32:33], v[26:27]
	v_fma_f64 v[6:7], v[4:5], v[32:33], v[6:7]
	;; [unrolled: 1-line block ×4, first 2 shown]
	ds_read_b128 v[2:5], v20 offset:32
	ds_read2_b64 v[24:27], v19 offset0:128 offset1:144
	s_waitcnt lgkmcnt(2)
	v_fma_f64 v[40:41], v[12:13], v[34:35], v[28:29]
	v_fma_f64 v[6:7], v[14:15], v[34:35], v[6:7]
	;; [unrolled: 1-line block ×4, first 2 shown]
	ds_read_b128 v[12:15], v20 offset:1056
	ds_read_b128 v[28:31], v20 offset:48
	ds_read2_b64 v[32:35], v19 offset0:160 offset1:176
	ds_read_b128 v[36:39], v20 offset:1072
	s_waitcnt lgkmcnt(4)
	v_fma_f64 v[40:41], v[24:25], v[2:3], v[40:41]
	v_fma_f64 v[2:3], v[26:27], v[2:3], v[6:7]
	s_waitcnt lgkmcnt(3)
	v_fma_f64 v[6:7], v[24:25], v[12:13], v[16:17]
	v_fma_f64 v[12:13], v[26:27], v[12:13], v[42:43]
	ds_read2_b64 v[24:27], v19 offset0:192 offset1:208
	s_waitcnt lgkmcnt(2)
	v_fma_f64 v[40:41], v[32:33], v[4:5], v[40:41]
	v_fma_f64 v[2:3], v[34:35], v[4:5], v[2:3]
	;; [unrolled: 1-line block ×4, first 2 shown]
	ds_read2_b64 v[14:17], v19 offset0:224 offset1:240
	s_waitcnt lgkmcnt(0)
	s_barrier
	buffer_gl0_inv
	v_fma_f64 v[12:13], v[24:25], v[28:29], v[40:41]
	v_fma_f64 v[2:3], v[26:27], v[28:29], v[2:3]
	;; [unrolled: 1-line block ×8, first 2 shown]
	s_cbranch_scc0 .LBB50_10
.LBB50_6:                               ; =>This Inner Loop Header: Depth=1
	v_add_nc_u32_e32 v14, s9, v21
	v_cmp_gt_i32_e64 s1, s21, v14
	v_mov_b32_e32 v14, 0
	v_mov_b32_e32 v15, 0
	s_and_b32 s12, vcc_lo, s1
	s_and_saveexec_b32 s1, s12
	s_cbranch_execz .LBB50_8
; %bb.7:                                ;   in Loop: Header=BB50_6 Depth=1
	global_load_dwordx2 v[14:15], v[8:9], off
.LBB50_8:                               ;   in Loop: Header=BB50_6 Depth=1
	s_or_b32 exec_lo, exec_lo, s1
	v_add_nc_u32_e32 v16, s9, v18
	s_waitcnt vmcnt(0)
	ds_write_b64 v22, v[14:15]
	v_cmp_gt_i32_e64 s1, s21, v16
	v_mov_b32_e32 v16, 0
	v_mov_b32_e32 v17, 0
	s_and_b32 s12, s1, s0
	s_and_saveexec_b32 s1, s12
	s_cbranch_execz .LBB50_5
; %bb.9:                                ;   in Loop: Header=BB50_6 Depth=1
	global_load_dwordx2 v[16:17], v[10:11], off
	s_branch .LBB50_5
.LBB50_10:
	s_clause 0x1
	s_load_dword s3, s[4:5], 0x50
	s_load_dwordx2 s[4:5], s[4:5], 0x58
	v_add_nc_u32_e32 v15, s7, v1
	v_add_nc_u32_e32 v0, s6, v0
	v_cmp_le_i32_e32 vcc_lo, v15, v0
	v_cmp_gt_i32_e64 s0, s20, v0
	v_ashrrev_i32_e32 v1, 31, v0
	s_waitcnt lgkmcnt(0)
	v_mad_i64_i32 v[8:9], null, v15, s3, 0
	s_mul_i32 s1, s5, s8
	s_mul_hi_u32 s2, s4, s8
	s_mul_i32 s4, s4, s8
	s_add_i32 s5, s2, s1
	v_cmp_neq_f64_e64 s2, s[10:11], 0
	s_lshl_b64 s[4:5], s[4:5], 3
	v_lshlrev_b64 v[8:9], 3, v[8:9]
	s_add_u32 s4, s22, s4
	s_addc_u32 s5, s23, s5
	s_and_b32 s6, vcc_lo, s0
	v_add_co_u32 v16, s1, s4, v8
	v_add_co_ci_u32_e64 v17, null, s5, v9, s1
	v_cndmask_b32_e64 v14, 0, 1, s2
	s_and_saveexec_b32 s1, s6
	s_cbranch_execz .LBB50_14
; %bb.11:
	v_mul_f64 v[8:9], s[14:15], v[12:13]
	v_lshlrev_b64 v[10:11], 3, v[0:1]
	v_add_co_u32 v10, vcc_lo, v16, v10
	v_add_co_ci_u32_e64 v11, null, v17, v11, vcc_lo
	s_andn2_b32 vcc_lo, exec_lo, s2
	s_cbranch_vccnz .LBB50_13
; %bb.12:
	global_load_dwordx2 v[12:13], v[10:11], off
	s_waitcnt vmcnt(0)
	v_fma_f64 v[8:9], s[10:11], v[12:13], v[8:9]
.LBB50_13:
	global_store_dwordx2 v[10:11], v[8:9], off
.LBB50_14:
	s_or_b32 exec_lo, exec_lo, s1
	v_add_nc_u32_e32 v8, 16, v0
	v_cmp_le_i32_e32 vcc_lo, v15, v8
	v_cmp_gt_i32_e64 s1, s20, v8
	v_ashrrev_i32_e32 v9, 31, v8
	s_and_b32 s2, vcc_lo, s1
	s_and_saveexec_b32 s6, s2
	s_cbranch_execz .LBB50_18
; %bb.15:
	v_mul_f64 v[6:7], s[14:15], v[6:7]
	v_lshlrev_b64 v[10:11], 3, v[8:9]
	v_cmp_ne_u32_e32 vcc_lo, 1, v14
	v_add_co_u32 v10, s2, v16, v10
	v_add_co_ci_u32_e64 v11, null, v17, v11, s2
	s_cbranch_vccnz .LBB50_17
; %bb.16:
	global_load_dwordx2 v[12:13], v[10:11], off
	s_waitcnt vmcnt(0)
	v_fma_f64 v[6:7], s[10:11], v[12:13], v[6:7]
.LBB50_17:
	global_store_dwordx2 v[10:11], v[6:7], off
.LBB50_18:
	s_or_b32 exec_lo, exec_lo, s6
	v_add_nc_u32_e32 v10, 16, v15
	v_mad_i64_i32 v[6:7], null, v10, s3, 0
	v_cmp_le_i32_e32 vcc_lo, v10, v0
	s_and_b32 s0, vcc_lo, s0
	v_lshlrev_b64 v[6:7], 3, v[6:7]
	v_add_co_u32 v6, s2, s4, v6
	v_add_co_ci_u32_e64 v7, null, s5, v7, s2
	s_and_saveexec_b32 s2, s0
	s_cbranch_execz .LBB50_22
; %bb.19:
	v_mul_f64 v[4:5], s[14:15], v[4:5]
	v_lshlrev_b64 v[0:1], 3, v[0:1]
	v_cmp_ne_u32_e32 vcc_lo, 1, v14
	v_add_co_u32 v0, s0, v6, v0
	v_add_co_ci_u32_e64 v1, null, v7, v1, s0
	s_cbranch_vccnz .LBB50_21
; %bb.20:
	global_load_dwordx2 v[11:12], v[0:1], off
	s_waitcnt vmcnt(0)
	v_fma_f64 v[4:5], s[10:11], v[11:12], v[4:5]
.LBB50_21:
	global_store_dwordx2 v[0:1], v[4:5], off
.LBB50_22:
	s_or_b32 exec_lo, exec_lo, s2
	v_cmp_le_i32_e32 vcc_lo, v10, v8
	s_and_b32 s0, vcc_lo, s1
	s_and_saveexec_b32 s1, s0
	s_cbranch_execz .LBB50_26
; %bb.23:
	v_mul_f64 v[0:1], s[14:15], v[2:3]
	v_lshlrev_b64 v[2:3], 3, v[8:9]
	v_cmp_ne_u32_e32 vcc_lo, 1, v14
	v_add_co_u32 v2, s0, v6, v2
	v_add_co_ci_u32_e64 v3, null, v7, v3, s0
	s_cbranch_vccnz .LBB50_25
; %bb.24:
	global_load_dwordx2 v[4:5], v[2:3], off
	s_waitcnt vmcnt(0)
	v_fma_f64 v[0:1], s[10:11], v[4:5], v[0:1]
.LBB50_25:
	global_store_dwordx2 v[2:3], v[0:1], off
.LBB50_26:
	s_endpgm
	.section	.rodata,"a",@progbits
	.p2align	6, 0x0
	.amdhsa_kernel _ZL29rocblas_internal_gemmt_kernelIiLi16ELi32ELi8ELc84ELc67ELc76ELb0ELb0EdPKdS1_PdEviT_T9_T10_S3_lS5_S3_lS4_T11_S3_li
		.amdhsa_group_segment_fixed_size 4096
		.amdhsa_private_segment_fixed_size 0
		.amdhsa_kernarg_size 100
		.amdhsa_user_sgpr_count 6
		.amdhsa_user_sgpr_private_segment_buffer 1
		.amdhsa_user_sgpr_dispatch_ptr 0
		.amdhsa_user_sgpr_queue_ptr 0
		.amdhsa_user_sgpr_kernarg_segment_ptr 1
		.amdhsa_user_sgpr_dispatch_id 0
		.amdhsa_user_sgpr_flat_scratch_init 0
		.amdhsa_user_sgpr_private_segment_size 0
		.amdhsa_wavefront_size32 1
		.amdhsa_uses_dynamic_stack 0
		.amdhsa_system_sgpr_private_segment_wavefront_offset 0
		.amdhsa_system_sgpr_workgroup_id_x 1
		.amdhsa_system_sgpr_workgroup_id_y 1
		.amdhsa_system_sgpr_workgroup_id_z 1
		.amdhsa_system_sgpr_workgroup_info 0
		.amdhsa_system_vgpr_workitem_id 1
		.amdhsa_next_free_vgpr 44
		.amdhsa_next_free_sgpr 26
		.amdhsa_reserve_vcc 1
		.amdhsa_reserve_flat_scratch 0
		.amdhsa_float_round_mode_32 0
		.amdhsa_float_round_mode_16_64 0
		.amdhsa_float_denorm_mode_32 3
		.amdhsa_float_denorm_mode_16_64 3
		.amdhsa_dx10_clamp 1
		.amdhsa_ieee_mode 1
		.amdhsa_fp16_overflow 0
		.amdhsa_workgroup_processor_mode 1
		.amdhsa_memory_ordered 1
		.amdhsa_forward_progress 1
		.amdhsa_shared_vgpr_count 0
		.amdhsa_exception_fp_ieee_invalid_op 0
		.amdhsa_exception_fp_denorm_src 0
		.amdhsa_exception_fp_ieee_div_zero 0
		.amdhsa_exception_fp_ieee_overflow 0
		.amdhsa_exception_fp_ieee_underflow 0
		.amdhsa_exception_fp_ieee_inexact 0
		.amdhsa_exception_int_div_zero 0
	.end_amdhsa_kernel
	.section	.text._ZL29rocblas_internal_gemmt_kernelIiLi16ELi32ELi8ELc84ELc67ELc76ELb0ELb0EdPKdS1_PdEviT_T9_T10_S3_lS5_S3_lS4_T11_S3_li,"axG",@progbits,_ZL29rocblas_internal_gemmt_kernelIiLi16ELi32ELi8ELc84ELc67ELc76ELb0ELb0EdPKdS1_PdEviT_T9_T10_S3_lS5_S3_lS4_T11_S3_li,comdat
.Lfunc_end50:
	.size	_ZL29rocblas_internal_gemmt_kernelIiLi16ELi32ELi8ELc84ELc67ELc76ELb0ELb0EdPKdS1_PdEviT_T9_T10_S3_lS5_S3_lS4_T11_S3_li, .Lfunc_end50-_ZL29rocblas_internal_gemmt_kernelIiLi16ELi32ELi8ELc84ELc67ELc76ELb0ELb0EdPKdS1_PdEviT_T9_T10_S3_lS5_S3_lS4_T11_S3_li
                                        ; -- End function
	.set _ZL29rocblas_internal_gemmt_kernelIiLi16ELi32ELi8ELc84ELc67ELc76ELb0ELb0EdPKdS1_PdEviT_T9_T10_S3_lS5_S3_lS4_T11_S3_li.num_vgpr, 44
	.set _ZL29rocblas_internal_gemmt_kernelIiLi16ELi32ELi8ELc84ELc67ELc76ELb0ELb0EdPKdS1_PdEviT_T9_T10_S3_lS5_S3_lS4_T11_S3_li.num_agpr, 0
	.set _ZL29rocblas_internal_gemmt_kernelIiLi16ELi32ELi8ELc84ELc67ELc76ELb0ELb0EdPKdS1_PdEviT_T9_T10_S3_lS5_S3_lS4_T11_S3_li.numbered_sgpr, 26
	.set _ZL29rocblas_internal_gemmt_kernelIiLi16ELi32ELi8ELc84ELc67ELc76ELb0ELb0EdPKdS1_PdEviT_T9_T10_S3_lS5_S3_lS4_T11_S3_li.num_named_barrier, 0
	.set _ZL29rocblas_internal_gemmt_kernelIiLi16ELi32ELi8ELc84ELc67ELc76ELb0ELb0EdPKdS1_PdEviT_T9_T10_S3_lS5_S3_lS4_T11_S3_li.private_seg_size, 0
	.set _ZL29rocblas_internal_gemmt_kernelIiLi16ELi32ELi8ELc84ELc67ELc76ELb0ELb0EdPKdS1_PdEviT_T9_T10_S3_lS5_S3_lS4_T11_S3_li.uses_vcc, 1
	.set _ZL29rocblas_internal_gemmt_kernelIiLi16ELi32ELi8ELc84ELc67ELc76ELb0ELb0EdPKdS1_PdEviT_T9_T10_S3_lS5_S3_lS4_T11_S3_li.uses_flat_scratch, 0
	.set _ZL29rocblas_internal_gemmt_kernelIiLi16ELi32ELi8ELc84ELc67ELc76ELb0ELb0EdPKdS1_PdEviT_T9_T10_S3_lS5_S3_lS4_T11_S3_li.has_dyn_sized_stack, 0
	.set _ZL29rocblas_internal_gemmt_kernelIiLi16ELi32ELi8ELc84ELc67ELc76ELb0ELb0EdPKdS1_PdEviT_T9_T10_S3_lS5_S3_lS4_T11_S3_li.has_recursion, 0
	.set _ZL29rocblas_internal_gemmt_kernelIiLi16ELi32ELi8ELc84ELc67ELc76ELb0ELb0EdPKdS1_PdEviT_T9_T10_S3_lS5_S3_lS4_T11_S3_li.has_indirect_call, 0
	.section	.AMDGPU.csdata,"",@progbits
; Kernel info:
; codeLenInByte = 1672
; TotalNumSgprs: 28
; NumVgprs: 44
; ScratchSize: 0
; MemoryBound: 0
; FloatMode: 240
; IeeeMode: 1
; LDSByteSize: 4096 bytes/workgroup (compile time only)
; SGPRBlocks: 0
; VGPRBlocks: 5
; NumSGPRsForWavesPerEU: 28
; NumVGPRsForWavesPerEU: 44
; Occupancy: 16
; WaveLimiterHint : 0
; COMPUTE_PGM_RSRC2:SCRATCH_EN: 0
; COMPUTE_PGM_RSRC2:USER_SGPR: 6
; COMPUTE_PGM_RSRC2:TRAP_HANDLER: 0
; COMPUTE_PGM_RSRC2:TGID_X_EN: 1
; COMPUTE_PGM_RSRC2:TGID_Y_EN: 1
; COMPUTE_PGM_RSRC2:TGID_Z_EN: 1
; COMPUTE_PGM_RSRC2:TIDIG_COMP_CNT: 1
	.section	.text._ZL29rocblas_internal_gemmt_kernelIiLi16ELi32ELi8ELc67ELc78ELc76ELb0ELb0EdPKdS1_PdEviT_T9_T10_S3_lS5_S3_lS4_T11_S3_li,"axG",@progbits,_ZL29rocblas_internal_gemmt_kernelIiLi16ELi32ELi8ELc67ELc78ELc76ELb0ELb0EdPKdS1_PdEviT_T9_T10_S3_lS5_S3_lS4_T11_S3_li,comdat
	.globl	_ZL29rocblas_internal_gemmt_kernelIiLi16ELi32ELi8ELc67ELc78ELc76ELb0ELb0EdPKdS1_PdEviT_T9_T10_S3_lS5_S3_lS4_T11_S3_li ; -- Begin function _ZL29rocblas_internal_gemmt_kernelIiLi16ELi32ELi8ELc67ELc78ELc76ELb0ELb0EdPKdS1_PdEviT_T9_T10_S3_lS5_S3_lS4_T11_S3_li
	.p2align	8
	.type	_ZL29rocblas_internal_gemmt_kernelIiLi16ELi32ELi8ELc67ELc78ELc76ELb0ELb0EdPKdS1_PdEviT_T9_T10_S3_lS5_S3_lS4_T11_S3_li,@function
_ZL29rocblas_internal_gemmt_kernelIiLi16ELi32ELi8ELc67ELc78ELc76ELb0ELb0EdPKdS1_PdEviT_T9_T10_S3_lS5_S3_lS4_T11_S3_li: ; @_ZL29rocblas_internal_gemmt_kernelIiLi16ELi32ELi8ELc67ELc78ELc76ELb0ELb0EdPKdS1_PdEviT_T9_T10_S3_lS5_S3_lS4_T11_S3_li
; %bb.0:
	s_load_dwordx4 s[12:15], s[4:5], 0x38
	s_waitcnt lgkmcnt(0)
	s_load_dwordx2 s[10:11], s[14:15], 0x0
	s_clause 0x1
	s_load_dwordx4 s[0:3], s[4:5], 0x8
	s_load_dwordx2 s[20:21], s[4:5], 0x0
	s_waitcnt lgkmcnt(0)
	s_load_dwordx2 s[14:15], s[0:1], 0x0
	v_cmp_neq_f64_e64 s9, s[10:11], 1.0
	s_and_b32 vcc_lo, exec_lo, s9
	s_cbranch_vccnz .LBB51_2
; %bb.1:
	s_waitcnt lgkmcnt(0)
	v_cmp_neq_f64_e64 s0, s[14:15], 0
	s_cmp_lg_u32 s21, 0
	s_cselect_b32 s1, -1, 0
	s_and_b32 s9, s1, s0
.LBB51_2:
	s_andn2_b32 vcc_lo, exec_lo, s9
	s_cbranch_vccnz .LBB51_26
; %bb.3:
	s_waitcnt lgkmcnt(0)
	v_cmp_eq_f64_e64 s0, s[14:15], 0
	s_load_dwordx2 s[22:23], s[4:5], 0x48
	s_lshl_b32 s6, s6, 5
	s_lshl_b32 s7, s7, 5
	s_cmp_lt_i32 s21, 1
	v_mov_b32_e32 v12, 0
	s_cselect_b32 s1, -1, 0
	v_mov_b32_e32 v6, 0
	v_mov_b32_e32 v4, 0
	;; [unrolled: 1-line block ×7, first 2 shown]
	s_mov_b32 s9, 0
	s_or_b32 s0, s0, s1
	s_and_b32 vcc_lo, exec_lo, s0
	s_cbranch_vccnz .LBB51_10
; %bb.4:
	s_load_dword s0, s[4:5], 0x18
	v_lshl_add_u32 v2, v1, 4, v0
	s_clause 0x1
	s_load_dwordx4 s[16:19], s[4:5], 0x20
	s_load_dword s1, s[4:5], 0x30
	v_and_b32_e32 v18, 7, v0
	v_mov_b32_e32 v12, 0
	v_lshlrev_b32_e32 v19, 3, v0
	v_and_b32_e32 v4, 31, v2
	v_lshrrev_b32_e32 v3, 3, v2
	v_lshrrev_b32_e32 v21, 5, v2
	v_lshlrev_b32_e32 v6, 3, v18
	v_lshl_add_u32 v20, v1, 6, 0x800
	v_add_nc_u32_e32 v2, s6, v4
	v_add_nc_u32_e32 v5, s7, v3
	v_or_b32_e32 v7, s6, v4
	v_lshl_or_b32 v8, v3, 6, v6
	v_lshlrev_b32_e32 v4, 3, v4
	v_lshlrev_b32_e32 v9, 3, v21
	v_mov_b32_e32 v13, 0
	v_cmp_gt_i32_e32 vcc_lo, s20, v7
	v_add_nc_u32_e32 v23, 0x800, v8
	s_waitcnt lgkmcnt(0)
	v_mad_i64_i32 v[2:3], null, s0, v2, 0
	v_lshl_or_b32 v22, v21, 8, v4
	v_cmp_gt_i32_e64 s0, s20, v5
	s_mul_i32 s17, s17, s8
	s_mul_hi_u32 s24, s16, s8
	v_mad_i64_i32 v[4:5], null, s1, v5, 0
	v_lshlrev_b64 v[2:3], 3, v[2:3]
	s_mul_i32 s16, s16, s8
	s_add_i32 s17, s24, s17
	s_lshl_b64 s[16:17], s[16:17], 3
	v_add_co_u32 v7, s1, v2, s16
	v_add_co_ci_u32_e64 v8, null, s17, v3, s1
	s_mul_i32 s1, s13, s8
	s_mul_hi_u32 s13, s12, s8
	v_lshlrev_b64 v[2:3], 3, v[4:5]
	s_add_i32 s13, s13, s1
	s_mul_i32 s12, s12, s8
	v_add_co_u32 v4, s1, v7, v9
	s_lshl_b64 s[12:13], s[12:13], 3
	v_add_co_ci_u32_e64 v5, null, 0, v8, s1
	v_add_co_u32 v2, s1, v2, s12
	v_add_co_ci_u32_e64 v3, null, s13, v3, s1
	v_add_co_u32 v8, s1, s2, v4
	;; [unrolled: 2-line block ×3, first 2 shown]
	v_add_co_ci_u32_e64 v11, null, 0, v3, s1
	v_mov_b32_e32 v2, 0
	v_add_co_u32 v10, s1, s18, v10
	v_mov_b32_e32 v4, 0
	v_mov_b32_e32 v6, 0
	;; [unrolled: 1-line block ×5, first 2 shown]
	v_add_co_ci_u32_e64 v11, null, s19, v11, s1
	s_branch .LBB51_6
.LBB51_5:                               ;   in Loop: Header=BB51_6 Depth=1
	s_or_b32 exec_lo, exec_lo, s1
	s_waitcnt vmcnt(0)
	ds_write_b64 v23, v[16:17]
	s_waitcnt lgkmcnt(0)
	s_barrier
	buffer_gl0_inv
	ds_read_b128 v[14:17], v20
	ds_read2_b64 v[24:27], v19 offset1:16
	ds_read_b128 v[28:31], v20 offset:1024
	ds_read_b128 v[32:35], v20 offset:16
	ds_read2_b64 v[36:39], v19 offset0:32 offset1:48
	ds_read_b128 v[40:43], v20 offset:1040
	v_add_co_u32 v8, s1, v8, 64
	v_add_co_ci_u32_e64 v9, null, 0, v9, s1
	v_add_co_u32 v10, s1, v10, 64
	v_add_co_ci_u32_e64 v11, null, 0, v11, s1
	s_add_i32 s9, s9, 8
	s_cmp_lt_i32 s9, s21
	s_waitcnt lgkmcnt(4)
	v_fma_f64 v[12:13], v[24:25], v[14:15], v[12:13]
	v_fma_f64 v[6:7], v[26:27], v[14:15], v[6:7]
	s_waitcnt lgkmcnt(3)
	v_fma_f64 v[14:15], v[24:25], v[28:29], v[4:5]
	v_fma_f64 v[24:25], v[26:27], v[28:29], v[2:3]
	ds_read2_b64 v[2:5], v19 offset0:64 offset1:80
	s_waitcnt lgkmcnt(2)
	v_fma_f64 v[26:27], v[36:37], v[16:17], v[12:13]
	v_fma_f64 v[6:7], v[38:39], v[16:17], v[6:7]
	;; [unrolled: 1-line block ×4, first 2 shown]
	ds_read2_b64 v[12:15], v19 offset0:96 offset1:112
	s_waitcnt lgkmcnt(1)
	v_fma_f64 v[28:29], v[2:3], v[32:33], v[26:27]
	v_fma_f64 v[6:7], v[4:5], v[32:33], v[6:7]
	;; [unrolled: 1-line block ×4, first 2 shown]
	ds_read_b128 v[2:5], v20 offset:32
	ds_read2_b64 v[24:27], v19 offset0:128 offset1:144
	s_waitcnt lgkmcnt(2)
	v_fma_f64 v[40:41], v[12:13], v[34:35], v[28:29]
	v_fma_f64 v[6:7], v[14:15], v[34:35], v[6:7]
	;; [unrolled: 1-line block ×4, first 2 shown]
	ds_read_b128 v[12:15], v20 offset:1056
	ds_read_b128 v[28:31], v20 offset:48
	ds_read2_b64 v[32:35], v19 offset0:160 offset1:176
	ds_read_b128 v[36:39], v20 offset:1072
	s_waitcnt lgkmcnt(4)
	v_fma_f64 v[40:41], v[24:25], v[2:3], v[40:41]
	v_fma_f64 v[2:3], v[26:27], v[2:3], v[6:7]
	s_waitcnt lgkmcnt(3)
	v_fma_f64 v[6:7], v[24:25], v[12:13], v[16:17]
	v_fma_f64 v[12:13], v[26:27], v[12:13], v[42:43]
	ds_read2_b64 v[24:27], v19 offset0:192 offset1:208
	s_waitcnt lgkmcnt(2)
	v_fma_f64 v[40:41], v[32:33], v[4:5], v[40:41]
	v_fma_f64 v[2:3], v[34:35], v[4:5], v[2:3]
	v_fma_f64 v[4:5], v[32:33], v[14:15], v[6:7]
	v_fma_f64 v[6:7], v[34:35], v[14:15], v[12:13]
	ds_read2_b64 v[14:17], v19 offset0:224 offset1:240
	s_waitcnt lgkmcnt(0)
	s_barrier
	buffer_gl0_inv
	v_fma_f64 v[12:13], v[24:25], v[28:29], v[40:41]
	v_fma_f64 v[2:3], v[26:27], v[28:29], v[2:3]
	;; [unrolled: 1-line block ×8, first 2 shown]
	s_cbranch_scc0 .LBB51_10
.LBB51_6:                               ; =>This Inner Loop Header: Depth=1
	v_add_nc_u32_e32 v14, s9, v21
	v_cmp_gt_i32_e64 s1, s21, v14
	v_mov_b32_e32 v14, 0
	v_mov_b32_e32 v15, 0
	s_and_b32 s2, vcc_lo, s1
	s_and_saveexec_b32 s1, s2
	s_cbranch_execz .LBB51_8
; %bb.7:                                ;   in Loop: Header=BB51_6 Depth=1
	global_load_dwordx2 v[14:15], v[8:9], off
.LBB51_8:                               ;   in Loop: Header=BB51_6 Depth=1
	s_or_b32 exec_lo, exec_lo, s1
	v_add_nc_u32_e32 v16, s9, v18
	s_waitcnt vmcnt(0)
	ds_write_b64 v22, v[14:15]
	v_cmp_gt_i32_e64 s1, s21, v16
	v_mov_b32_e32 v16, 0
	v_mov_b32_e32 v17, 0
	s_and_b32 s2, s1, s0
	s_and_saveexec_b32 s1, s2
	s_cbranch_execz .LBB51_5
; %bb.9:                                ;   in Loop: Header=BB51_6 Depth=1
	global_load_dwordx2 v[16:17], v[10:11], off
	s_branch .LBB51_5
.LBB51_10:
	s_clause 0x1
	s_load_dword s3, s[4:5], 0x50
	s_load_dwordx2 s[4:5], s[4:5], 0x58
	v_add_nc_u32_e32 v15, s7, v1
	v_add_nc_u32_e32 v0, s6, v0
	v_cmp_le_i32_e32 vcc_lo, v15, v0
	v_cmp_gt_i32_e64 s0, s20, v0
	v_ashrrev_i32_e32 v1, 31, v0
	s_waitcnt lgkmcnt(0)
	v_mad_i64_i32 v[8:9], null, v15, s3, 0
	s_mul_i32 s1, s5, s8
	s_mul_hi_u32 s2, s4, s8
	s_mul_i32 s4, s4, s8
	s_add_i32 s5, s2, s1
	v_cmp_neq_f64_e64 s2, s[10:11], 0
	s_lshl_b64 s[4:5], s[4:5], 3
	v_lshlrev_b64 v[8:9], 3, v[8:9]
	s_add_u32 s4, s22, s4
	s_addc_u32 s5, s23, s5
	s_and_b32 s6, vcc_lo, s0
	v_add_co_u32 v16, s1, s4, v8
	v_add_co_ci_u32_e64 v17, null, s5, v9, s1
	v_cndmask_b32_e64 v14, 0, 1, s2
	s_and_saveexec_b32 s1, s6
	s_cbranch_execz .LBB51_14
; %bb.11:
	v_mul_f64 v[8:9], s[14:15], v[12:13]
	v_lshlrev_b64 v[10:11], 3, v[0:1]
	v_add_co_u32 v10, vcc_lo, v16, v10
	v_add_co_ci_u32_e64 v11, null, v17, v11, vcc_lo
	s_andn2_b32 vcc_lo, exec_lo, s2
	s_cbranch_vccnz .LBB51_13
; %bb.12:
	global_load_dwordx2 v[12:13], v[10:11], off
	s_waitcnt vmcnt(0)
	v_fma_f64 v[8:9], s[10:11], v[12:13], v[8:9]
.LBB51_13:
	global_store_dwordx2 v[10:11], v[8:9], off
.LBB51_14:
	s_or_b32 exec_lo, exec_lo, s1
	v_add_nc_u32_e32 v8, 16, v0
	v_cmp_le_i32_e32 vcc_lo, v15, v8
	v_cmp_gt_i32_e64 s1, s20, v8
	v_ashrrev_i32_e32 v9, 31, v8
	s_and_b32 s2, vcc_lo, s1
	s_and_saveexec_b32 s6, s2
	s_cbranch_execz .LBB51_18
; %bb.15:
	v_mul_f64 v[6:7], s[14:15], v[6:7]
	v_lshlrev_b64 v[10:11], 3, v[8:9]
	v_cmp_ne_u32_e32 vcc_lo, 1, v14
	v_add_co_u32 v10, s2, v16, v10
	v_add_co_ci_u32_e64 v11, null, v17, v11, s2
	s_cbranch_vccnz .LBB51_17
; %bb.16:
	global_load_dwordx2 v[12:13], v[10:11], off
	s_waitcnt vmcnt(0)
	v_fma_f64 v[6:7], s[10:11], v[12:13], v[6:7]
.LBB51_17:
	global_store_dwordx2 v[10:11], v[6:7], off
.LBB51_18:
	s_or_b32 exec_lo, exec_lo, s6
	v_add_nc_u32_e32 v10, 16, v15
	v_mad_i64_i32 v[6:7], null, v10, s3, 0
	v_cmp_le_i32_e32 vcc_lo, v10, v0
	s_and_b32 s0, vcc_lo, s0
	v_lshlrev_b64 v[6:7], 3, v[6:7]
	v_add_co_u32 v6, s2, s4, v6
	v_add_co_ci_u32_e64 v7, null, s5, v7, s2
	s_and_saveexec_b32 s2, s0
	s_cbranch_execz .LBB51_22
; %bb.19:
	v_mul_f64 v[4:5], s[14:15], v[4:5]
	v_lshlrev_b64 v[0:1], 3, v[0:1]
	v_cmp_ne_u32_e32 vcc_lo, 1, v14
	v_add_co_u32 v0, s0, v6, v0
	v_add_co_ci_u32_e64 v1, null, v7, v1, s0
	s_cbranch_vccnz .LBB51_21
; %bb.20:
	global_load_dwordx2 v[11:12], v[0:1], off
	s_waitcnt vmcnt(0)
	v_fma_f64 v[4:5], s[10:11], v[11:12], v[4:5]
.LBB51_21:
	global_store_dwordx2 v[0:1], v[4:5], off
.LBB51_22:
	s_or_b32 exec_lo, exec_lo, s2
	v_cmp_le_i32_e32 vcc_lo, v10, v8
	s_and_b32 s0, vcc_lo, s1
	s_and_saveexec_b32 s1, s0
	s_cbranch_execz .LBB51_26
; %bb.23:
	v_mul_f64 v[0:1], s[14:15], v[2:3]
	v_lshlrev_b64 v[2:3], 3, v[8:9]
	v_cmp_ne_u32_e32 vcc_lo, 1, v14
	v_add_co_u32 v2, s0, v6, v2
	v_add_co_ci_u32_e64 v3, null, v7, v3, s0
	s_cbranch_vccnz .LBB51_25
; %bb.24:
	global_load_dwordx2 v[4:5], v[2:3], off
	s_waitcnt vmcnt(0)
	v_fma_f64 v[0:1], s[10:11], v[4:5], v[0:1]
.LBB51_25:
	global_store_dwordx2 v[2:3], v[0:1], off
.LBB51_26:
	s_endpgm
	.section	.rodata,"a",@progbits
	.p2align	6, 0x0
	.amdhsa_kernel _ZL29rocblas_internal_gemmt_kernelIiLi16ELi32ELi8ELc67ELc78ELc76ELb0ELb0EdPKdS1_PdEviT_T9_T10_S3_lS5_S3_lS4_T11_S3_li
		.amdhsa_group_segment_fixed_size 4096
		.amdhsa_private_segment_fixed_size 0
		.amdhsa_kernarg_size 100
		.amdhsa_user_sgpr_count 6
		.amdhsa_user_sgpr_private_segment_buffer 1
		.amdhsa_user_sgpr_dispatch_ptr 0
		.amdhsa_user_sgpr_queue_ptr 0
		.amdhsa_user_sgpr_kernarg_segment_ptr 1
		.amdhsa_user_sgpr_dispatch_id 0
		.amdhsa_user_sgpr_flat_scratch_init 0
		.amdhsa_user_sgpr_private_segment_size 0
		.amdhsa_wavefront_size32 1
		.amdhsa_uses_dynamic_stack 0
		.amdhsa_system_sgpr_private_segment_wavefront_offset 0
		.amdhsa_system_sgpr_workgroup_id_x 1
		.amdhsa_system_sgpr_workgroup_id_y 1
		.amdhsa_system_sgpr_workgroup_id_z 1
		.amdhsa_system_sgpr_workgroup_info 0
		.amdhsa_system_vgpr_workitem_id 1
		.amdhsa_next_free_vgpr 44
		.amdhsa_next_free_sgpr 25
		.amdhsa_reserve_vcc 1
		.amdhsa_reserve_flat_scratch 0
		.amdhsa_float_round_mode_32 0
		.amdhsa_float_round_mode_16_64 0
		.amdhsa_float_denorm_mode_32 3
		.amdhsa_float_denorm_mode_16_64 3
		.amdhsa_dx10_clamp 1
		.amdhsa_ieee_mode 1
		.amdhsa_fp16_overflow 0
		.amdhsa_workgroup_processor_mode 1
		.amdhsa_memory_ordered 1
		.amdhsa_forward_progress 1
		.amdhsa_shared_vgpr_count 0
		.amdhsa_exception_fp_ieee_invalid_op 0
		.amdhsa_exception_fp_denorm_src 0
		.amdhsa_exception_fp_ieee_div_zero 0
		.amdhsa_exception_fp_ieee_overflow 0
		.amdhsa_exception_fp_ieee_underflow 0
		.amdhsa_exception_fp_ieee_inexact 0
		.amdhsa_exception_int_div_zero 0
	.end_amdhsa_kernel
	.section	.text._ZL29rocblas_internal_gemmt_kernelIiLi16ELi32ELi8ELc67ELc78ELc76ELb0ELb0EdPKdS1_PdEviT_T9_T10_S3_lS5_S3_lS4_T11_S3_li,"axG",@progbits,_ZL29rocblas_internal_gemmt_kernelIiLi16ELi32ELi8ELc67ELc78ELc76ELb0ELb0EdPKdS1_PdEviT_T9_T10_S3_lS5_S3_lS4_T11_S3_li,comdat
.Lfunc_end51:
	.size	_ZL29rocblas_internal_gemmt_kernelIiLi16ELi32ELi8ELc67ELc78ELc76ELb0ELb0EdPKdS1_PdEviT_T9_T10_S3_lS5_S3_lS4_T11_S3_li, .Lfunc_end51-_ZL29rocblas_internal_gemmt_kernelIiLi16ELi32ELi8ELc67ELc78ELc76ELb0ELb0EdPKdS1_PdEviT_T9_T10_S3_lS5_S3_lS4_T11_S3_li
                                        ; -- End function
	.set _ZL29rocblas_internal_gemmt_kernelIiLi16ELi32ELi8ELc67ELc78ELc76ELb0ELb0EdPKdS1_PdEviT_T9_T10_S3_lS5_S3_lS4_T11_S3_li.num_vgpr, 44
	.set _ZL29rocblas_internal_gemmt_kernelIiLi16ELi32ELi8ELc67ELc78ELc76ELb0ELb0EdPKdS1_PdEviT_T9_T10_S3_lS5_S3_lS4_T11_S3_li.num_agpr, 0
	.set _ZL29rocblas_internal_gemmt_kernelIiLi16ELi32ELi8ELc67ELc78ELc76ELb0ELb0EdPKdS1_PdEviT_T9_T10_S3_lS5_S3_lS4_T11_S3_li.numbered_sgpr, 25
	.set _ZL29rocblas_internal_gemmt_kernelIiLi16ELi32ELi8ELc67ELc78ELc76ELb0ELb0EdPKdS1_PdEviT_T9_T10_S3_lS5_S3_lS4_T11_S3_li.num_named_barrier, 0
	.set _ZL29rocblas_internal_gemmt_kernelIiLi16ELi32ELi8ELc67ELc78ELc76ELb0ELb0EdPKdS1_PdEviT_T9_T10_S3_lS5_S3_lS4_T11_S3_li.private_seg_size, 0
	.set _ZL29rocblas_internal_gemmt_kernelIiLi16ELi32ELi8ELc67ELc78ELc76ELb0ELb0EdPKdS1_PdEviT_T9_T10_S3_lS5_S3_lS4_T11_S3_li.uses_vcc, 1
	.set _ZL29rocblas_internal_gemmt_kernelIiLi16ELi32ELi8ELc67ELc78ELc76ELb0ELb0EdPKdS1_PdEviT_T9_T10_S3_lS5_S3_lS4_T11_S3_li.uses_flat_scratch, 0
	.set _ZL29rocblas_internal_gemmt_kernelIiLi16ELi32ELi8ELc67ELc78ELc76ELb0ELb0EdPKdS1_PdEviT_T9_T10_S3_lS5_S3_lS4_T11_S3_li.has_dyn_sized_stack, 0
	.set _ZL29rocblas_internal_gemmt_kernelIiLi16ELi32ELi8ELc67ELc78ELc76ELb0ELb0EdPKdS1_PdEviT_T9_T10_S3_lS5_S3_lS4_T11_S3_li.has_recursion, 0
	.set _ZL29rocblas_internal_gemmt_kernelIiLi16ELi32ELi8ELc67ELc78ELc76ELb0ELb0EdPKdS1_PdEviT_T9_T10_S3_lS5_S3_lS4_T11_S3_li.has_indirect_call, 0
	.section	.AMDGPU.csdata,"",@progbits
; Kernel info:
; codeLenInByte = 1652
; TotalNumSgprs: 27
; NumVgprs: 44
; ScratchSize: 0
; MemoryBound: 0
; FloatMode: 240
; IeeeMode: 1
; LDSByteSize: 4096 bytes/workgroup (compile time only)
; SGPRBlocks: 0
; VGPRBlocks: 5
; NumSGPRsForWavesPerEU: 27
; NumVGPRsForWavesPerEU: 44
; Occupancy: 16
; WaveLimiterHint : 0
; COMPUTE_PGM_RSRC2:SCRATCH_EN: 0
; COMPUTE_PGM_RSRC2:USER_SGPR: 6
; COMPUTE_PGM_RSRC2:TRAP_HANDLER: 0
; COMPUTE_PGM_RSRC2:TGID_X_EN: 1
; COMPUTE_PGM_RSRC2:TGID_Y_EN: 1
; COMPUTE_PGM_RSRC2:TGID_Z_EN: 1
; COMPUTE_PGM_RSRC2:TIDIG_COMP_CNT: 1
	.section	.text._ZL29rocblas_internal_gemmt_kernelIiLi16ELi32ELi8ELc67ELc84ELc76ELb0ELb0EdPKdS1_PdEviT_T9_T10_S3_lS5_S3_lS4_T11_S3_li,"axG",@progbits,_ZL29rocblas_internal_gemmt_kernelIiLi16ELi32ELi8ELc67ELc84ELc76ELb0ELb0EdPKdS1_PdEviT_T9_T10_S3_lS5_S3_lS4_T11_S3_li,comdat
	.globl	_ZL29rocblas_internal_gemmt_kernelIiLi16ELi32ELi8ELc67ELc84ELc76ELb0ELb0EdPKdS1_PdEviT_T9_T10_S3_lS5_S3_lS4_T11_S3_li ; -- Begin function _ZL29rocblas_internal_gemmt_kernelIiLi16ELi32ELi8ELc67ELc84ELc76ELb0ELb0EdPKdS1_PdEviT_T9_T10_S3_lS5_S3_lS4_T11_S3_li
	.p2align	8
	.type	_ZL29rocblas_internal_gemmt_kernelIiLi16ELi32ELi8ELc67ELc84ELc76ELb0ELb0EdPKdS1_PdEviT_T9_T10_S3_lS5_S3_lS4_T11_S3_li,@function
_ZL29rocblas_internal_gemmt_kernelIiLi16ELi32ELi8ELc67ELc84ELc76ELb0ELb0EdPKdS1_PdEviT_T9_T10_S3_lS5_S3_lS4_T11_S3_li: ; @_ZL29rocblas_internal_gemmt_kernelIiLi16ELi32ELi8ELc67ELc84ELc76ELb0ELb0EdPKdS1_PdEviT_T9_T10_S3_lS5_S3_lS4_T11_S3_li
; %bb.0:
	s_load_dwordx4 s[12:15], s[4:5], 0x38
	s_waitcnt lgkmcnt(0)
	s_load_dwordx2 s[10:11], s[14:15], 0x0
	s_clause 0x1
	s_load_dwordx4 s[0:3], s[4:5], 0x8
	s_load_dwordx2 s[20:21], s[4:5], 0x0
	s_waitcnt lgkmcnt(0)
	s_load_dwordx2 s[14:15], s[0:1], 0x0
	v_cmp_neq_f64_e64 s9, s[10:11], 1.0
	s_and_b32 vcc_lo, exec_lo, s9
	s_cbranch_vccnz .LBB52_2
; %bb.1:
	s_waitcnt lgkmcnt(0)
	v_cmp_neq_f64_e64 s0, s[14:15], 0
	s_cmp_lg_u32 s21, 0
	s_cselect_b32 s1, -1, 0
	s_and_b32 s9, s1, s0
.LBB52_2:
	s_andn2_b32 vcc_lo, exec_lo, s9
	s_cbranch_vccnz .LBB52_26
; %bb.3:
	s_waitcnt lgkmcnt(0)
	v_cmp_eq_f64_e64 s0, s[14:15], 0
	s_load_dwordx2 s[22:23], s[4:5], 0x48
	s_lshl_b32 s6, s6, 5
	s_lshl_b32 s7, s7, 5
	s_cmp_lt_i32 s21, 1
	v_mov_b32_e32 v12, 0
	s_cselect_b32 s1, -1, 0
	v_mov_b32_e32 v6, 0
	v_mov_b32_e32 v4, 0
	v_mov_b32_e32 v2, 0
	v_mov_b32_e32 v13, 0
	v_mov_b32_e32 v7, 0
	v_mov_b32_e32 v5, 0
	v_mov_b32_e32 v3, 0
	s_mov_b32 s9, 0
	s_or_b32 s0, s0, s1
	s_and_b32 vcc_lo, exec_lo, s0
	s_cbranch_vccnz .LBB52_10
; %bb.4:
	s_load_dword s0, s[4:5], 0x18
	v_lshl_add_u32 v2, v1, 4, v0
	s_clause 0x1
	s_load_dwordx4 s[16:19], s[4:5], 0x20
	s_load_dword s24, s[4:5], 0x30
	v_and_b32_e32 v18, 7, v0
	v_mov_b32_e32 v12, 0
	v_lshlrev_b32_e32 v19, 3, v0
	v_and_b32_e32 v3, 31, v2
	v_lshrrev_b32_e32 v4, 3, v2
	v_lshlrev_b32_e32 v5, 3, v18
	v_lshrrev_b32_e32 v21, 5, v2
	v_lshl_add_u32 v20, v1, 6, 0x800
	v_add_nc_u32_e32 v7, s6, v3
	v_add_nc_u32_e32 v2, s7, v4
	v_lshl_or_b32 v8, v4, 6, v5
	v_or_b32_e32 v6, s6, v3
	v_lshlrev_b32_e32 v3, 3, v3
	v_lshlrev_b32_e32 v10, 3, v21
	v_mov_b32_e32 v13, 0
	v_add_nc_u32_e32 v23, 0x800, v8
	v_cmp_gt_i32_e32 vcc_lo, s20, v6
	s_waitcnt lgkmcnt(0)
	v_mad_i64_i32 v[4:5], null, s0, v7, 0
	s_mul_i32 s1, s17, s8
	s_mul_hi_u32 s17, s16, s8
	v_mad_i64_i32 v[6:7], null, s24, v18, 0
	s_mul_i32 s16, s16, s8
	s_add_i32 s17, s17, s1
	v_lshlrev_b64 v[4:5], 3, v[4:5]
	s_lshl_b64 s[16:17], s[16:17], 3
	v_lshl_or_b32 v22, v21, 8, v3
	v_ashrrev_i32_e32 v3, 31, v2
	v_cmp_gt_i32_e64 s0, s20, v2
	s_ashr_i32 s25, s24, 31
	v_add_co_u32 v8, s1, v4, s16
	v_add_co_ci_u32_e64 v9, null, s17, v5, s1
	s_mul_i32 s1, s13, s8
	s_mul_hi_u32 s13, s12, s8
	v_lshlrev_b64 v[4:5], 3, v[6:7]
	s_add_i32 s13, s13, s1
	s_mul_i32 s12, s12, s8
	v_add_co_u32 v6, s1, v8, v10
	s_lshl_b64 s[12:13], s[12:13], 3
	v_lshlrev_b64 v[2:3], 3, v[2:3]
	v_add_co_ci_u32_e64 v7, null, 0, v9, s1
	v_add_co_u32 v4, s1, s12, v4
	v_add_co_ci_u32_e64 v5, null, s13, v5, s1
	v_add_co_u32 v8, s1, s2, v6
	;; [unrolled: 2-line block ×3, first 2 shown]
	v_add_co_ci_u32_e64 v11, null, v5, v3, s1
	v_mov_b32_e32 v2, 0
	v_add_co_u32 v10, s1, s18, v10
	v_mov_b32_e32 v4, 0
	v_mov_b32_e32 v6, 0
	;; [unrolled: 1-line block ×5, first 2 shown]
	v_add_co_ci_u32_e64 v11, null, s19, v11, s1
	s_lshl_b64 s[2:3], s[24:25], 6
	s_branch .LBB52_6
.LBB52_5:                               ;   in Loop: Header=BB52_6 Depth=1
	s_or_b32 exec_lo, exec_lo, s1
	s_waitcnt vmcnt(0)
	ds_write_b64 v23, v[16:17]
	s_waitcnt lgkmcnt(0)
	s_barrier
	buffer_gl0_inv
	ds_read_b128 v[14:17], v20
	ds_read2_b64 v[24:27], v19 offset1:16
	ds_read_b128 v[28:31], v20 offset:1024
	ds_read_b128 v[32:35], v20 offset:16
	ds_read2_b64 v[36:39], v19 offset0:32 offset1:48
	ds_read_b128 v[40:43], v20 offset:1040
	v_add_co_u32 v8, s1, v8, 64
	v_add_co_ci_u32_e64 v9, null, 0, v9, s1
	v_add_co_u32 v10, s1, v10, s2
	v_add_co_ci_u32_e64 v11, null, s3, v11, s1
	s_add_i32 s9, s9, 8
	s_cmp_lt_i32 s9, s21
	s_waitcnt lgkmcnt(4)
	v_fma_f64 v[12:13], v[24:25], v[14:15], v[12:13]
	v_fma_f64 v[6:7], v[26:27], v[14:15], v[6:7]
	s_waitcnt lgkmcnt(3)
	v_fma_f64 v[14:15], v[24:25], v[28:29], v[4:5]
	v_fma_f64 v[24:25], v[26:27], v[28:29], v[2:3]
	ds_read2_b64 v[2:5], v19 offset0:64 offset1:80
	s_waitcnt lgkmcnt(2)
	v_fma_f64 v[26:27], v[36:37], v[16:17], v[12:13]
	v_fma_f64 v[6:7], v[38:39], v[16:17], v[6:7]
	v_fma_f64 v[16:17], v[36:37], v[30:31], v[14:15]
	v_fma_f64 v[24:25], v[38:39], v[30:31], v[24:25]
	ds_read2_b64 v[12:15], v19 offset0:96 offset1:112
	s_waitcnt lgkmcnt(1)
	v_fma_f64 v[28:29], v[2:3], v[32:33], v[26:27]
	v_fma_f64 v[6:7], v[4:5], v[32:33], v[6:7]
	v_fma_f64 v[16:17], v[2:3], v[40:41], v[16:17]
	v_fma_f64 v[30:31], v[4:5], v[40:41], v[24:25]
	ds_read_b128 v[2:5], v20 offset:32
	ds_read2_b64 v[24:27], v19 offset0:128 offset1:144
	s_waitcnt lgkmcnt(2)
	v_fma_f64 v[40:41], v[12:13], v[34:35], v[28:29]
	v_fma_f64 v[6:7], v[14:15], v[34:35], v[6:7]
	;; [unrolled: 1-line block ×4, first 2 shown]
	ds_read_b128 v[12:15], v20 offset:1056
	ds_read_b128 v[28:31], v20 offset:48
	ds_read2_b64 v[32:35], v19 offset0:160 offset1:176
	ds_read_b128 v[36:39], v20 offset:1072
	s_waitcnt lgkmcnt(4)
	v_fma_f64 v[40:41], v[24:25], v[2:3], v[40:41]
	v_fma_f64 v[2:3], v[26:27], v[2:3], v[6:7]
	s_waitcnt lgkmcnt(3)
	v_fma_f64 v[6:7], v[24:25], v[12:13], v[16:17]
	v_fma_f64 v[12:13], v[26:27], v[12:13], v[42:43]
	ds_read2_b64 v[24:27], v19 offset0:192 offset1:208
	s_waitcnt lgkmcnt(2)
	v_fma_f64 v[40:41], v[32:33], v[4:5], v[40:41]
	v_fma_f64 v[2:3], v[34:35], v[4:5], v[2:3]
	v_fma_f64 v[4:5], v[32:33], v[14:15], v[6:7]
	v_fma_f64 v[6:7], v[34:35], v[14:15], v[12:13]
	ds_read2_b64 v[14:17], v19 offset0:224 offset1:240
	s_waitcnt lgkmcnt(0)
	s_barrier
	buffer_gl0_inv
	v_fma_f64 v[12:13], v[24:25], v[28:29], v[40:41]
	v_fma_f64 v[2:3], v[26:27], v[28:29], v[2:3]
	v_fma_f64 v[4:5], v[24:25], v[36:37], v[4:5]
	v_fma_f64 v[24:25], v[26:27], v[36:37], v[6:7]
	v_fma_f64 v[12:13], v[14:15], v[30:31], v[12:13]
	v_fma_f64 v[6:7], v[16:17], v[30:31], v[2:3]
	v_fma_f64 v[4:5], v[14:15], v[38:39], v[4:5]
	v_fma_f64 v[2:3], v[16:17], v[38:39], v[24:25]
	s_cbranch_scc0 .LBB52_10
.LBB52_6:                               ; =>This Inner Loop Header: Depth=1
	v_add_nc_u32_e32 v14, s9, v21
	v_cmp_gt_i32_e64 s1, s21, v14
	v_mov_b32_e32 v14, 0
	v_mov_b32_e32 v15, 0
	s_and_b32 s12, vcc_lo, s1
	s_and_saveexec_b32 s1, s12
	s_cbranch_execz .LBB52_8
; %bb.7:                                ;   in Loop: Header=BB52_6 Depth=1
	global_load_dwordx2 v[14:15], v[8:9], off
.LBB52_8:                               ;   in Loop: Header=BB52_6 Depth=1
	s_or_b32 exec_lo, exec_lo, s1
	v_add_nc_u32_e32 v16, s9, v18
	s_waitcnt vmcnt(0)
	ds_write_b64 v22, v[14:15]
	v_cmp_gt_i32_e64 s1, s21, v16
	v_mov_b32_e32 v16, 0
	v_mov_b32_e32 v17, 0
	s_and_b32 s12, s1, s0
	s_and_saveexec_b32 s1, s12
	s_cbranch_execz .LBB52_5
; %bb.9:                                ;   in Loop: Header=BB52_6 Depth=1
	global_load_dwordx2 v[16:17], v[10:11], off
	s_branch .LBB52_5
.LBB52_10:
	s_clause 0x1
	s_load_dword s3, s[4:5], 0x50
	s_load_dwordx2 s[4:5], s[4:5], 0x58
	v_add_nc_u32_e32 v15, s7, v1
	v_add_nc_u32_e32 v0, s6, v0
	v_cmp_le_i32_e32 vcc_lo, v15, v0
	v_cmp_gt_i32_e64 s0, s20, v0
	v_ashrrev_i32_e32 v1, 31, v0
	s_waitcnt lgkmcnt(0)
	v_mad_i64_i32 v[8:9], null, v15, s3, 0
	s_mul_i32 s1, s5, s8
	s_mul_hi_u32 s2, s4, s8
	s_mul_i32 s4, s4, s8
	s_add_i32 s5, s2, s1
	v_cmp_neq_f64_e64 s2, s[10:11], 0
	s_lshl_b64 s[4:5], s[4:5], 3
	v_lshlrev_b64 v[8:9], 3, v[8:9]
	s_add_u32 s4, s22, s4
	s_addc_u32 s5, s23, s5
	s_and_b32 s6, vcc_lo, s0
	v_add_co_u32 v16, s1, s4, v8
	v_add_co_ci_u32_e64 v17, null, s5, v9, s1
	v_cndmask_b32_e64 v14, 0, 1, s2
	s_and_saveexec_b32 s1, s6
	s_cbranch_execz .LBB52_14
; %bb.11:
	v_mul_f64 v[8:9], s[14:15], v[12:13]
	v_lshlrev_b64 v[10:11], 3, v[0:1]
	v_add_co_u32 v10, vcc_lo, v16, v10
	v_add_co_ci_u32_e64 v11, null, v17, v11, vcc_lo
	s_andn2_b32 vcc_lo, exec_lo, s2
	s_cbranch_vccnz .LBB52_13
; %bb.12:
	global_load_dwordx2 v[12:13], v[10:11], off
	s_waitcnt vmcnt(0)
	v_fma_f64 v[8:9], s[10:11], v[12:13], v[8:9]
.LBB52_13:
	global_store_dwordx2 v[10:11], v[8:9], off
.LBB52_14:
	s_or_b32 exec_lo, exec_lo, s1
	v_add_nc_u32_e32 v8, 16, v0
	v_cmp_le_i32_e32 vcc_lo, v15, v8
	v_cmp_gt_i32_e64 s1, s20, v8
	v_ashrrev_i32_e32 v9, 31, v8
	s_and_b32 s2, vcc_lo, s1
	s_and_saveexec_b32 s6, s2
	s_cbranch_execz .LBB52_18
; %bb.15:
	v_mul_f64 v[6:7], s[14:15], v[6:7]
	v_lshlrev_b64 v[10:11], 3, v[8:9]
	v_cmp_ne_u32_e32 vcc_lo, 1, v14
	v_add_co_u32 v10, s2, v16, v10
	v_add_co_ci_u32_e64 v11, null, v17, v11, s2
	s_cbranch_vccnz .LBB52_17
; %bb.16:
	global_load_dwordx2 v[12:13], v[10:11], off
	s_waitcnt vmcnt(0)
	v_fma_f64 v[6:7], s[10:11], v[12:13], v[6:7]
.LBB52_17:
	global_store_dwordx2 v[10:11], v[6:7], off
.LBB52_18:
	s_or_b32 exec_lo, exec_lo, s6
	v_add_nc_u32_e32 v10, 16, v15
	v_mad_i64_i32 v[6:7], null, v10, s3, 0
	v_cmp_le_i32_e32 vcc_lo, v10, v0
	s_and_b32 s0, vcc_lo, s0
	v_lshlrev_b64 v[6:7], 3, v[6:7]
	v_add_co_u32 v6, s2, s4, v6
	v_add_co_ci_u32_e64 v7, null, s5, v7, s2
	s_and_saveexec_b32 s2, s0
	s_cbranch_execz .LBB52_22
; %bb.19:
	v_mul_f64 v[4:5], s[14:15], v[4:5]
	v_lshlrev_b64 v[0:1], 3, v[0:1]
	v_cmp_ne_u32_e32 vcc_lo, 1, v14
	v_add_co_u32 v0, s0, v6, v0
	v_add_co_ci_u32_e64 v1, null, v7, v1, s0
	s_cbranch_vccnz .LBB52_21
; %bb.20:
	global_load_dwordx2 v[11:12], v[0:1], off
	s_waitcnt vmcnt(0)
	v_fma_f64 v[4:5], s[10:11], v[11:12], v[4:5]
.LBB52_21:
	global_store_dwordx2 v[0:1], v[4:5], off
.LBB52_22:
	s_or_b32 exec_lo, exec_lo, s2
	v_cmp_le_i32_e32 vcc_lo, v10, v8
	s_and_b32 s0, vcc_lo, s1
	s_and_saveexec_b32 s1, s0
	s_cbranch_execz .LBB52_26
; %bb.23:
	v_mul_f64 v[0:1], s[14:15], v[2:3]
	v_lshlrev_b64 v[2:3], 3, v[8:9]
	v_cmp_ne_u32_e32 vcc_lo, 1, v14
	v_add_co_u32 v2, s0, v6, v2
	v_add_co_ci_u32_e64 v3, null, v7, v3, s0
	s_cbranch_vccnz .LBB52_25
; %bb.24:
	global_load_dwordx2 v[4:5], v[2:3], off
	s_waitcnt vmcnt(0)
	v_fma_f64 v[0:1], s[10:11], v[4:5], v[0:1]
.LBB52_25:
	global_store_dwordx2 v[2:3], v[0:1], off
.LBB52_26:
	s_endpgm
	.section	.rodata,"a",@progbits
	.p2align	6, 0x0
	.amdhsa_kernel _ZL29rocblas_internal_gemmt_kernelIiLi16ELi32ELi8ELc67ELc84ELc76ELb0ELb0EdPKdS1_PdEviT_T9_T10_S3_lS5_S3_lS4_T11_S3_li
		.amdhsa_group_segment_fixed_size 4096
		.amdhsa_private_segment_fixed_size 0
		.amdhsa_kernarg_size 100
		.amdhsa_user_sgpr_count 6
		.amdhsa_user_sgpr_private_segment_buffer 1
		.amdhsa_user_sgpr_dispatch_ptr 0
		.amdhsa_user_sgpr_queue_ptr 0
		.amdhsa_user_sgpr_kernarg_segment_ptr 1
		.amdhsa_user_sgpr_dispatch_id 0
		.amdhsa_user_sgpr_flat_scratch_init 0
		.amdhsa_user_sgpr_private_segment_size 0
		.amdhsa_wavefront_size32 1
		.amdhsa_uses_dynamic_stack 0
		.amdhsa_system_sgpr_private_segment_wavefront_offset 0
		.amdhsa_system_sgpr_workgroup_id_x 1
		.amdhsa_system_sgpr_workgroup_id_y 1
		.amdhsa_system_sgpr_workgroup_id_z 1
		.amdhsa_system_sgpr_workgroup_info 0
		.amdhsa_system_vgpr_workitem_id 1
		.amdhsa_next_free_vgpr 44
		.amdhsa_next_free_sgpr 26
		.amdhsa_reserve_vcc 1
		.amdhsa_reserve_flat_scratch 0
		.amdhsa_float_round_mode_32 0
		.amdhsa_float_round_mode_16_64 0
		.amdhsa_float_denorm_mode_32 3
		.amdhsa_float_denorm_mode_16_64 3
		.amdhsa_dx10_clamp 1
		.amdhsa_ieee_mode 1
		.amdhsa_fp16_overflow 0
		.amdhsa_workgroup_processor_mode 1
		.amdhsa_memory_ordered 1
		.amdhsa_forward_progress 1
		.amdhsa_shared_vgpr_count 0
		.amdhsa_exception_fp_ieee_invalid_op 0
		.amdhsa_exception_fp_denorm_src 0
		.amdhsa_exception_fp_ieee_div_zero 0
		.amdhsa_exception_fp_ieee_overflow 0
		.amdhsa_exception_fp_ieee_underflow 0
		.amdhsa_exception_fp_ieee_inexact 0
		.amdhsa_exception_int_div_zero 0
	.end_amdhsa_kernel
	.section	.text._ZL29rocblas_internal_gemmt_kernelIiLi16ELi32ELi8ELc67ELc84ELc76ELb0ELb0EdPKdS1_PdEviT_T9_T10_S3_lS5_S3_lS4_T11_S3_li,"axG",@progbits,_ZL29rocblas_internal_gemmt_kernelIiLi16ELi32ELi8ELc67ELc84ELc76ELb0ELb0EdPKdS1_PdEviT_T9_T10_S3_lS5_S3_lS4_T11_S3_li,comdat
.Lfunc_end52:
	.size	_ZL29rocblas_internal_gemmt_kernelIiLi16ELi32ELi8ELc67ELc84ELc76ELb0ELb0EdPKdS1_PdEviT_T9_T10_S3_lS5_S3_lS4_T11_S3_li, .Lfunc_end52-_ZL29rocblas_internal_gemmt_kernelIiLi16ELi32ELi8ELc67ELc84ELc76ELb0ELb0EdPKdS1_PdEviT_T9_T10_S3_lS5_S3_lS4_T11_S3_li
                                        ; -- End function
	.set _ZL29rocblas_internal_gemmt_kernelIiLi16ELi32ELi8ELc67ELc84ELc76ELb0ELb0EdPKdS1_PdEviT_T9_T10_S3_lS5_S3_lS4_T11_S3_li.num_vgpr, 44
	.set _ZL29rocblas_internal_gemmt_kernelIiLi16ELi32ELi8ELc67ELc84ELc76ELb0ELb0EdPKdS1_PdEviT_T9_T10_S3_lS5_S3_lS4_T11_S3_li.num_agpr, 0
	.set _ZL29rocblas_internal_gemmt_kernelIiLi16ELi32ELi8ELc67ELc84ELc76ELb0ELb0EdPKdS1_PdEviT_T9_T10_S3_lS5_S3_lS4_T11_S3_li.numbered_sgpr, 26
	.set _ZL29rocblas_internal_gemmt_kernelIiLi16ELi32ELi8ELc67ELc84ELc76ELb0ELb0EdPKdS1_PdEviT_T9_T10_S3_lS5_S3_lS4_T11_S3_li.num_named_barrier, 0
	.set _ZL29rocblas_internal_gemmt_kernelIiLi16ELi32ELi8ELc67ELc84ELc76ELb0ELb0EdPKdS1_PdEviT_T9_T10_S3_lS5_S3_lS4_T11_S3_li.private_seg_size, 0
	.set _ZL29rocblas_internal_gemmt_kernelIiLi16ELi32ELi8ELc67ELc84ELc76ELb0ELb0EdPKdS1_PdEviT_T9_T10_S3_lS5_S3_lS4_T11_S3_li.uses_vcc, 1
	.set _ZL29rocblas_internal_gemmt_kernelIiLi16ELi32ELi8ELc67ELc84ELc76ELb0ELb0EdPKdS1_PdEviT_T9_T10_S3_lS5_S3_lS4_T11_S3_li.uses_flat_scratch, 0
	.set _ZL29rocblas_internal_gemmt_kernelIiLi16ELi32ELi8ELc67ELc84ELc76ELb0ELb0EdPKdS1_PdEviT_T9_T10_S3_lS5_S3_lS4_T11_S3_li.has_dyn_sized_stack, 0
	.set _ZL29rocblas_internal_gemmt_kernelIiLi16ELi32ELi8ELc67ELc84ELc76ELb0ELb0EdPKdS1_PdEviT_T9_T10_S3_lS5_S3_lS4_T11_S3_li.has_recursion, 0
	.set _ZL29rocblas_internal_gemmt_kernelIiLi16ELi32ELi8ELc67ELc84ELc76ELb0ELb0EdPKdS1_PdEviT_T9_T10_S3_lS5_S3_lS4_T11_S3_li.has_indirect_call, 0
	.section	.AMDGPU.csdata,"",@progbits
; Kernel info:
; codeLenInByte = 1672
; TotalNumSgprs: 28
; NumVgprs: 44
; ScratchSize: 0
; MemoryBound: 0
; FloatMode: 240
; IeeeMode: 1
; LDSByteSize: 4096 bytes/workgroup (compile time only)
; SGPRBlocks: 0
; VGPRBlocks: 5
; NumSGPRsForWavesPerEU: 28
; NumVGPRsForWavesPerEU: 44
; Occupancy: 16
; WaveLimiterHint : 0
; COMPUTE_PGM_RSRC2:SCRATCH_EN: 0
; COMPUTE_PGM_RSRC2:USER_SGPR: 6
; COMPUTE_PGM_RSRC2:TRAP_HANDLER: 0
; COMPUTE_PGM_RSRC2:TGID_X_EN: 1
; COMPUTE_PGM_RSRC2:TGID_Y_EN: 1
; COMPUTE_PGM_RSRC2:TGID_Z_EN: 1
; COMPUTE_PGM_RSRC2:TIDIG_COMP_CNT: 1
	.section	.text._ZL29rocblas_internal_gemmt_kernelIiLi16ELi32ELi8ELc67ELc67ELc76ELb0ELb0EdPKdS1_PdEviT_T9_T10_S3_lS5_S3_lS4_T11_S3_li,"axG",@progbits,_ZL29rocblas_internal_gemmt_kernelIiLi16ELi32ELi8ELc67ELc67ELc76ELb0ELb0EdPKdS1_PdEviT_T9_T10_S3_lS5_S3_lS4_T11_S3_li,comdat
	.globl	_ZL29rocblas_internal_gemmt_kernelIiLi16ELi32ELi8ELc67ELc67ELc76ELb0ELb0EdPKdS1_PdEviT_T9_T10_S3_lS5_S3_lS4_T11_S3_li ; -- Begin function _ZL29rocblas_internal_gemmt_kernelIiLi16ELi32ELi8ELc67ELc67ELc76ELb0ELb0EdPKdS1_PdEviT_T9_T10_S3_lS5_S3_lS4_T11_S3_li
	.p2align	8
	.type	_ZL29rocblas_internal_gemmt_kernelIiLi16ELi32ELi8ELc67ELc67ELc76ELb0ELb0EdPKdS1_PdEviT_T9_T10_S3_lS5_S3_lS4_T11_S3_li,@function
_ZL29rocblas_internal_gemmt_kernelIiLi16ELi32ELi8ELc67ELc67ELc76ELb0ELb0EdPKdS1_PdEviT_T9_T10_S3_lS5_S3_lS4_T11_S3_li: ; @_ZL29rocblas_internal_gemmt_kernelIiLi16ELi32ELi8ELc67ELc67ELc76ELb0ELb0EdPKdS1_PdEviT_T9_T10_S3_lS5_S3_lS4_T11_S3_li
; %bb.0:
	s_load_dwordx4 s[12:15], s[4:5], 0x38
	s_waitcnt lgkmcnt(0)
	s_load_dwordx2 s[10:11], s[14:15], 0x0
	s_clause 0x1
	s_load_dwordx4 s[0:3], s[4:5], 0x8
	s_load_dwordx2 s[20:21], s[4:5], 0x0
	s_waitcnt lgkmcnt(0)
	s_load_dwordx2 s[14:15], s[0:1], 0x0
	v_cmp_neq_f64_e64 s9, s[10:11], 1.0
	s_and_b32 vcc_lo, exec_lo, s9
	s_cbranch_vccnz .LBB53_2
; %bb.1:
	s_waitcnt lgkmcnt(0)
	v_cmp_neq_f64_e64 s0, s[14:15], 0
	s_cmp_lg_u32 s21, 0
	s_cselect_b32 s1, -1, 0
	s_and_b32 s9, s1, s0
.LBB53_2:
	s_andn2_b32 vcc_lo, exec_lo, s9
	s_cbranch_vccnz .LBB53_26
; %bb.3:
	s_waitcnt lgkmcnt(0)
	v_cmp_eq_f64_e64 s0, s[14:15], 0
	s_load_dwordx2 s[22:23], s[4:5], 0x48
	s_lshl_b32 s6, s6, 5
	s_lshl_b32 s7, s7, 5
	s_cmp_lt_i32 s21, 1
	v_mov_b32_e32 v12, 0
	s_cselect_b32 s1, -1, 0
	v_mov_b32_e32 v6, 0
	v_mov_b32_e32 v4, 0
	;; [unrolled: 1-line block ×7, first 2 shown]
	s_mov_b32 s9, 0
	s_or_b32 s0, s0, s1
	s_and_b32 vcc_lo, exec_lo, s0
	s_cbranch_vccnz .LBB53_10
; %bb.4:
	s_load_dword s0, s[4:5], 0x18
	v_lshl_add_u32 v2, v1, 4, v0
	s_clause 0x1
	s_load_dwordx4 s[16:19], s[4:5], 0x20
	s_load_dword s24, s[4:5], 0x30
	v_and_b32_e32 v18, 7, v0
	v_mov_b32_e32 v12, 0
	v_lshlrev_b32_e32 v19, 3, v0
	v_and_b32_e32 v3, 31, v2
	v_lshrrev_b32_e32 v4, 3, v2
	v_lshlrev_b32_e32 v5, 3, v18
	v_lshrrev_b32_e32 v21, 5, v2
	v_lshl_add_u32 v20, v1, 6, 0x800
	v_add_nc_u32_e32 v7, s6, v3
	v_add_nc_u32_e32 v2, s7, v4
	v_lshl_or_b32 v8, v4, 6, v5
	v_or_b32_e32 v6, s6, v3
	v_lshlrev_b32_e32 v3, 3, v3
	v_lshlrev_b32_e32 v10, 3, v21
	v_mov_b32_e32 v13, 0
	v_add_nc_u32_e32 v23, 0x800, v8
	v_cmp_gt_i32_e32 vcc_lo, s20, v6
	s_waitcnt lgkmcnt(0)
	v_mad_i64_i32 v[4:5], null, s0, v7, 0
	s_mul_i32 s1, s17, s8
	s_mul_hi_u32 s17, s16, s8
	v_mad_i64_i32 v[6:7], null, s24, v18, 0
	s_mul_i32 s16, s16, s8
	s_add_i32 s17, s17, s1
	v_lshlrev_b64 v[4:5], 3, v[4:5]
	s_lshl_b64 s[16:17], s[16:17], 3
	v_lshl_or_b32 v22, v21, 8, v3
	v_ashrrev_i32_e32 v3, 31, v2
	v_cmp_gt_i32_e64 s0, s20, v2
	s_ashr_i32 s25, s24, 31
	v_add_co_u32 v8, s1, v4, s16
	v_add_co_ci_u32_e64 v9, null, s17, v5, s1
	s_mul_i32 s1, s13, s8
	s_mul_hi_u32 s13, s12, s8
	v_lshlrev_b64 v[4:5], 3, v[6:7]
	s_add_i32 s13, s13, s1
	s_mul_i32 s12, s12, s8
	v_add_co_u32 v6, s1, v8, v10
	s_lshl_b64 s[12:13], s[12:13], 3
	v_lshlrev_b64 v[2:3], 3, v[2:3]
	v_add_co_ci_u32_e64 v7, null, 0, v9, s1
	v_add_co_u32 v4, s1, s12, v4
	v_add_co_ci_u32_e64 v5, null, s13, v5, s1
	v_add_co_u32 v8, s1, s2, v6
	;; [unrolled: 2-line block ×3, first 2 shown]
	v_add_co_ci_u32_e64 v11, null, v5, v3, s1
	v_mov_b32_e32 v2, 0
	v_add_co_u32 v10, s1, s18, v10
	v_mov_b32_e32 v4, 0
	v_mov_b32_e32 v6, 0
	;; [unrolled: 1-line block ×5, first 2 shown]
	v_add_co_ci_u32_e64 v11, null, s19, v11, s1
	s_lshl_b64 s[2:3], s[24:25], 6
	s_branch .LBB53_6
.LBB53_5:                               ;   in Loop: Header=BB53_6 Depth=1
	s_or_b32 exec_lo, exec_lo, s1
	s_waitcnt vmcnt(0)
	ds_write_b64 v23, v[16:17]
	s_waitcnt lgkmcnt(0)
	s_barrier
	buffer_gl0_inv
	ds_read_b128 v[14:17], v20
	ds_read2_b64 v[24:27], v19 offset1:16
	ds_read_b128 v[28:31], v20 offset:1024
	ds_read_b128 v[32:35], v20 offset:16
	ds_read2_b64 v[36:39], v19 offset0:32 offset1:48
	ds_read_b128 v[40:43], v20 offset:1040
	v_add_co_u32 v8, s1, v8, 64
	v_add_co_ci_u32_e64 v9, null, 0, v9, s1
	v_add_co_u32 v10, s1, v10, s2
	v_add_co_ci_u32_e64 v11, null, s3, v11, s1
	s_add_i32 s9, s9, 8
	s_cmp_lt_i32 s9, s21
	s_waitcnt lgkmcnt(4)
	v_fma_f64 v[12:13], v[24:25], v[14:15], v[12:13]
	v_fma_f64 v[6:7], v[26:27], v[14:15], v[6:7]
	s_waitcnt lgkmcnt(3)
	v_fma_f64 v[14:15], v[24:25], v[28:29], v[4:5]
	v_fma_f64 v[24:25], v[26:27], v[28:29], v[2:3]
	ds_read2_b64 v[2:5], v19 offset0:64 offset1:80
	s_waitcnt lgkmcnt(2)
	v_fma_f64 v[26:27], v[36:37], v[16:17], v[12:13]
	v_fma_f64 v[6:7], v[38:39], v[16:17], v[6:7]
	v_fma_f64 v[16:17], v[36:37], v[30:31], v[14:15]
	v_fma_f64 v[24:25], v[38:39], v[30:31], v[24:25]
	ds_read2_b64 v[12:15], v19 offset0:96 offset1:112
	s_waitcnt lgkmcnt(1)
	v_fma_f64 v[28:29], v[2:3], v[32:33], v[26:27]
	v_fma_f64 v[6:7], v[4:5], v[32:33], v[6:7]
	;; [unrolled: 1-line block ×4, first 2 shown]
	ds_read_b128 v[2:5], v20 offset:32
	ds_read2_b64 v[24:27], v19 offset0:128 offset1:144
	s_waitcnt lgkmcnt(2)
	v_fma_f64 v[40:41], v[12:13], v[34:35], v[28:29]
	v_fma_f64 v[6:7], v[14:15], v[34:35], v[6:7]
	;; [unrolled: 1-line block ×4, first 2 shown]
	ds_read_b128 v[12:15], v20 offset:1056
	ds_read_b128 v[28:31], v20 offset:48
	ds_read2_b64 v[32:35], v19 offset0:160 offset1:176
	ds_read_b128 v[36:39], v20 offset:1072
	s_waitcnt lgkmcnt(4)
	v_fma_f64 v[40:41], v[24:25], v[2:3], v[40:41]
	v_fma_f64 v[2:3], v[26:27], v[2:3], v[6:7]
	s_waitcnt lgkmcnt(3)
	v_fma_f64 v[6:7], v[24:25], v[12:13], v[16:17]
	v_fma_f64 v[12:13], v[26:27], v[12:13], v[42:43]
	ds_read2_b64 v[24:27], v19 offset0:192 offset1:208
	s_waitcnt lgkmcnt(2)
	v_fma_f64 v[40:41], v[32:33], v[4:5], v[40:41]
	v_fma_f64 v[2:3], v[34:35], v[4:5], v[2:3]
	;; [unrolled: 1-line block ×4, first 2 shown]
	ds_read2_b64 v[14:17], v19 offset0:224 offset1:240
	s_waitcnt lgkmcnt(0)
	s_barrier
	buffer_gl0_inv
	v_fma_f64 v[12:13], v[24:25], v[28:29], v[40:41]
	v_fma_f64 v[2:3], v[26:27], v[28:29], v[2:3]
	;; [unrolled: 1-line block ×8, first 2 shown]
	s_cbranch_scc0 .LBB53_10
.LBB53_6:                               ; =>This Inner Loop Header: Depth=1
	v_add_nc_u32_e32 v14, s9, v21
	v_cmp_gt_i32_e64 s1, s21, v14
	v_mov_b32_e32 v14, 0
	v_mov_b32_e32 v15, 0
	s_and_b32 s12, vcc_lo, s1
	s_and_saveexec_b32 s1, s12
	s_cbranch_execz .LBB53_8
; %bb.7:                                ;   in Loop: Header=BB53_6 Depth=1
	global_load_dwordx2 v[14:15], v[8:9], off
.LBB53_8:                               ;   in Loop: Header=BB53_6 Depth=1
	s_or_b32 exec_lo, exec_lo, s1
	v_add_nc_u32_e32 v16, s9, v18
	s_waitcnt vmcnt(0)
	ds_write_b64 v22, v[14:15]
	v_cmp_gt_i32_e64 s1, s21, v16
	v_mov_b32_e32 v16, 0
	v_mov_b32_e32 v17, 0
	s_and_b32 s12, s1, s0
	s_and_saveexec_b32 s1, s12
	s_cbranch_execz .LBB53_5
; %bb.9:                                ;   in Loop: Header=BB53_6 Depth=1
	global_load_dwordx2 v[16:17], v[10:11], off
	s_branch .LBB53_5
.LBB53_10:
	s_clause 0x1
	s_load_dword s3, s[4:5], 0x50
	s_load_dwordx2 s[4:5], s[4:5], 0x58
	v_add_nc_u32_e32 v15, s7, v1
	v_add_nc_u32_e32 v0, s6, v0
	v_cmp_le_i32_e32 vcc_lo, v15, v0
	v_cmp_gt_i32_e64 s0, s20, v0
	v_ashrrev_i32_e32 v1, 31, v0
	s_waitcnt lgkmcnt(0)
	v_mad_i64_i32 v[8:9], null, v15, s3, 0
	s_mul_i32 s1, s5, s8
	s_mul_hi_u32 s2, s4, s8
	s_mul_i32 s4, s4, s8
	s_add_i32 s5, s2, s1
	v_cmp_neq_f64_e64 s2, s[10:11], 0
	s_lshl_b64 s[4:5], s[4:5], 3
	v_lshlrev_b64 v[8:9], 3, v[8:9]
	s_add_u32 s4, s22, s4
	s_addc_u32 s5, s23, s5
	s_and_b32 s6, vcc_lo, s0
	v_add_co_u32 v16, s1, s4, v8
	v_add_co_ci_u32_e64 v17, null, s5, v9, s1
	v_cndmask_b32_e64 v14, 0, 1, s2
	s_and_saveexec_b32 s1, s6
	s_cbranch_execz .LBB53_14
; %bb.11:
	v_mul_f64 v[8:9], s[14:15], v[12:13]
	v_lshlrev_b64 v[10:11], 3, v[0:1]
	v_add_co_u32 v10, vcc_lo, v16, v10
	v_add_co_ci_u32_e64 v11, null, v17, v11, vcc_lo
	s_andn2_b32 vcc_lo, exec_lo, s2
	s_cbranch_vccnz .LBB53_13
; %bb.12:
	global_load_dwordx2 v[12:13], v[10:11], off
	s_waitcnt vmcnt(0)
	v_fma_f64 v[8:9], s[10:11], v[12:13], v[8:9]
.LBB53_13:
	global_store_dwordx2 v[10:11], v[8:9], off
.LBB53_14:
	s_or_b32 exec_lo, exec_lo, s1
	v_add_nc_u32_e32 v8, 16, v0
	v_cmp_le_i32_e32 vcc_lo, v15, v8
	v_cmp_gt_i32_e64 s1, s20, v8
	v_ashrrev_i32_e32 v9, 31, v8
	s_and_b32 s2, vcc_lo, s1
	s_and_saveexec_b32 s6, s2
	s_cbranch_execz .LBB53_18
; %bb.15:
	v_mul_f64 v[6:7], s[14:15], v[6:7]
	v_lshlrev_b64 v[10:11], 3, v[8:9]
	v_cmp_ne_u32_e32 vcc_lo, 1, v14
	v_add_co_u32 v10, s2, v16, v10
	v_add_co_ci_u32_e64 v11, null, v17, v11, s2
	s_cbranch_vccnz .LBB53_17
; %bb.16:
	global_load_dwordx2 v[12:13], v[10:11], off
	s_waitcnt vmcnt(0)
	v_fma_f64 v[6:7], s[10:11], v[12:13], v[6:7]
.LBB53_17:
	global_store_dwordx2 v[10:11], v[6:7], off
.LBB53_18:
	s_or_b32 exec_lo, exec_lo, s6
	v_add_nc_u32_e32 v10, 16, v15
	v_mad_i64_i32 v[6:7], null, v10, s3, 0
	v_cmp_le_i32_e32 vcc_lo, v10, v0
	s_and_b32 s0, vcc_lo, s0
	v_lshlrev_b64 v[6:7], 3, v[6:7]
	v_add_co_u32 v6, s2, s4, v6
	v_add_co_ci_u32_e64 v7, null, s5, v7, s2
	s_and_saveexec_b32 s2, s0
	s_cbranch_execz .LBB53_22
; %bb.19:
	v_mul_f64 v[4:5], s[14:15], v[4:5]
	v_lshlrev_b64 v[0:1], 3, v[0:1]
	v_cmp_ne_u32_e32 vcc_lo, 1, v14
	v_add_co_u32 v0, s0, v6, v0
	v_add_co_ci_u32_e64 v1, null, v7, v1, s0
	s_cbranch_vccnz .LBB53_21
; %bb.20:
	global_load_dwordx2 v[11:12], v[0:1], off
	s_waitcnt vmcnt(0)
	v_fma_f64 v[4:5], s[10:11], v[11:12], v[4:5]
.LBB53_21:
	global_store_dwordx2 v[0:1], v[4:5], off
.LBB53_22:
	s_or_b32 exec_lo, exec_lo, s2
	v_cmp_le_i32_e32 vcc_lo, v10, v8
	s_and_b32 s0, vcc_lo, s1
	s_and_saveexec_b32 s1, s0
	s_cbranch_execz .LBB53_26
; %bb.23:
	v_mul_f64 v[0:1], s[14:15], v[2:3]
	v_lshlrev_b64 v[2:3], 3, v[8:9]
	v_cmp_ne_u32_e32 vcc_lo, 1, v14
	v_add_co_u32 v2, s0, v6, v2
	v_add_co_ci_u32_e64 v3, null, v7, v3, s0
	s_cbranch_vccnz .LBB53_25
; %bb.24:
	global_load_dwordx2 v[4:5], v[2:3], off
	s_waitcnt vmcnt(0)
	v_fma_f64 v[0:1], s[10:11], v[4:5], v[0:1]
.LBB53_25:
	global_store_dwordx2 v[2:3], v[0:1], off
.LBB53_26:
	s_endpgm
	.section	.rodata,"a",@progbits
	.p2align	6, 0x0
	.amdhsa_kernel _ZL29rocblas_internal_gemmt_kernelIiLi16ELi32ELi8ELc67ELc67ELc76ELb0ELb0EdPKdS1_PdEviT_T9_T10_S3_lS5_S3_lS4_T11_S3_li
		.amdhsa_group_segment_fixed_size 4096
		.amdhsa_private_segment_fixed_size 0
		.amdhsa_kernarg_size 100
		.amdhsa_user_sgpr_count 6
		.amdhsa_user_sgpr_private_segment_buffer 1
		.amdhsa_user_sgpr_dispatch_ptr 0
		.amdhsa_user_sgpr_queue_ptr 0
		.amdhsa_user_sgpr_kernarg_segment_ptr 1
		.amdhsa_user_sgpr_dispatch_id 0
		.amdhsa_user_sgpr_flat_scratch_init 0
		.amdhsa_user_sgpr_private_segment_size 0
		.amdhsa_wavefront_size32 1
		.amdhsa_uses_dynamic_stack 0
		.amdhsa_system_sgpr_private_segment_wavefront_offset 0
		.amdhsa_system_sgpr_workgroup_id_x 1
		.amdhsa_system_sgpr_workgroup_id_y 1
		.amdhsa_system_sgpr_workgroup_id_z 1
		.amdhsa_system_sgpr_workgroup_info 0
		.amdhsa_system_vgpr_workitem_id 1
		.amdhsa_next_free_vgpr 44
		.amdhsa_next_free_sgpr 26
		.amdhsa_reserve_vcc 1
		.amdhsa_reserve_flat_scratch 0
		.amdhsa_float_round_mode_32 0
		.amdhsa_float_round_mode_16_64 0
		.amdhsa_float_denorm_mode_32 3
		.amdhsa_float_denorm_mode_16_64 3
		.amdhsa_dx10_clamp 1
		.amdhsa_ieee_mode 1
		.amdhsa_fp16_overflow 0
		.amdhsa_workgroup_processor_mode 1
		.amdhsa_memory_ordered 1
		.amdhsa_forward_progress 1
		.amdhsa_shared_vgpr_count 0
		.amdhsa_exception_fp_ieee_invalid_op 0
		.amdhsa_exception_fp_denorm_src 0
		.amdhsa_exception_fp_ieee_div_zero 0
		.amdhsa_exception_fp_ieee_overflow 0
		.amdhsa_exception_fp_ieee_underflow 0
		.amdhsa_exception_fp_ieee_inexact 0
		.amdhsa_exception_int_div_zero 0
	.end_amdhsa_kernel
	.section	.text._ZL29rocblas_internal_gemmt_kernelIiLi16ELi32ELi8ELc67ELc67ELc76ELb0ELb0EdPKdS1_PdEviT_T9_T10_S3_lS5_S3_lS4_T11_S3_li,"axG",@progbits,_ZL29rocblas_internal_gemmt_kernelIiLi16ELi32ELi8ELc67ELc67ELc76ELb0ELb0EdPKdS1_PdEviT_T9_T10_S3_lS5_S3_lS4_T11_S3_li,comdat
.Lfunc_end53:
	.size	_ZL29rocblas_internal_gemmt_kernelIiLi16ELi32ELi8ELc67ELc67ELc76ELb0ELb0EdPKdS1_PdEviT_T9_T10_S3_lS5_S3_lS4_T11_S3_li, .Lfunc_end53-_ZL29rocblas_internal_gemmt_kernelIiLi16ELi32ELi8ELc67ELc67ELc76ELb0ELb0EdPKdS1_PdEviT_T9_T10_S3_lS5_S3_lS4_T11_S3_li
                                        ; -- End function
	.set _ZL29rocblas_internal_gemmt_kernelIiLi16ELi32ELi8ELc67ELc67ELc76ELb0ELb0EdPKdS1_PdEviT_T9_T10_S3_lS5_S3_lS4_T11_S3_li.num_vgpr, 44
	.set _ZL29rocblas_internal_gemmt_kernelIiLi16ELi32ELi8ELc67ELc67ELc76ELb0ELb0EdPKdS1_PdEviT_T9_T10_S3_lS5_S3_lS4_T11_S3_li.num_agpr, 0
	.set _ZL29rocblas_internal_gemmt_kernelIiLi16ELi32ELi8ELc67ELc67ELc76ELb0ELb0EdPKdS1_PdEviT_T9_T10_S3_lS5_S3_lS4_T11_S3_li.numbered_sgpr, 26
	.set _ZL29rocblas_internal_gemmt_kernelIiLi16ELi32ELi8ELc67ELc67ELc76ELb0ELb0EdPKdS1_PdEviT_T9_T10_S3_lS5_S3_lS4_T11_S3_li.num_named_barrier, 0
	.set _ZL29rocblas_internal_gemmt_kernelIiLi16ELi32ELi8ELc67ELc67ELc76ELb0ELb0EdPKdS1_PdEviT_T9_T10_S3_lS5_S3_lS4_T11_S3_li.private_seg_size, 0
	.set _ZL29rocblas_internal_gemmt_kernelIiLi16ELi32ELi8ELc67ELc67ELc76ELb0ELb0EdPKdS1_PdEviT_T9_T10_S3_lS5_S3_lS4_T11_S3_li.uses_vcc, 1
	.set _ZL29rocblas_internal_gemmt_kernelIiLi16ELi32ELi8ELc67ELc67ELc76ELb0ELb0EdPKdS1_PdEviT_T9_T10_S3_lS5_S3_lS4_T11_S3_li.uses_flat_scratch, 0
	.set _ZL29rocblas_internal_gemmt_kernelIiLi16ELi32ELi8ELc67ELc67ELc76ELb0ELb0EdPKdS1_PdEviT_T9_T10_S3_lS5_S3_lS4_T11_S3_li.has_dyn_sized_stack, 0
	.set _ZL29rocblas_internal_gemmt_kernelIiLi16ELi32ELi8ELc67ELc67ELc76ELb0ELb0EdPKdS1_PdEviT_T9_T10_S3_lS5_S3_lS4_T11_S3_li.has_recursion, 0
	.set _ZL29rocblas_internal_gemmt_kernelIiLi16ELi32ELi8ELc67ELc67ELc76ELb0ELb0EdPKdS1_PdEviT_T9_T10_S3_lS5_S3_lS4_T11_S3_li.has_indirect_call, 0
	.section	.AMDGPU.csdata,"",@progbits
; Kernel info:
; codeLenInByte = 1672
; TotalNumSgprs: 28
; NumVgprs: 44
; ScratchSize: 0
; MemoryBound: 0
; FloatMode: 240
; IeeeMode: 1
; LDSByteSize: 4096 bytes/workgroup (compile time only)
; SGPRBlocks: 0
; VGPRBlocks: 5
; NumSGPRsForWavesPerEU: 28
; NumVGPRsForWavesPerEU: 44
; Occupancy: 16
; WaveLimiterHint : 0
; COMPUTE_PGM_RSRC2:SCRATCH_EN: 0
; COMPUTE_PGM_RSRC2:USER_SGPR: 6
; COMPUTE_PGM_RSRC2:TRAP_HANDLER: 0
; COMPUTE_PGM_RSRC2:TGID_X_EN: 1
; COMPUTE_PGM_RSRC2:TGID_Y_EN: 1
; COMPUTE_PGM_RSRC2:TGID_Z_EN: 1
; COMPUTE_PGM_RSRC2:TIDIG_COMP_CNT: 1
	.section	.text._ZL29rocblas_internal_gemmt_kernelIiLi16ELi32ELi8ELc78ELc78ELc85ELb0ELb0EddPKdPdEviT_T9_T10_S3_lS5_S3_lS4_T11_S3_li,"axG",@progbits,_ZL29rocblas_internal_gemmt_kernelIiLi16ELi32ELi8ELc78ELc78ELc85ELb0ELb0EddPKdPdEviT_T9_T10_S3_lS5_S3_lS4_T11_S3_li,comdat
	.globl	_ZL29rocblas_internal_gemmt_kernelIiLi16ELi32ELi8ELc78ELc78ELc85ELb0ELb0EddPKdPdEviT_T9_T10_S3_lS5_S3_lS4_T11_S3_li ; -- Begin function _ZL29rocblas_internal_gemmt_kernelIiLi16ELi32ELi8ELc78ELc78ELc85ELb0ELb0EddPKdPdEviT_T9_T10_S3_lS5_S3_lS4_T11_S3_li
	.p2align	8
	.type	_ZL29rocblas_internal_gemmt_kernelIiLi16ELi32ELi8ELc78ELc78ELc85ELb0ELb0EddPKdPdEviT_T9_T10_S3_lS5_S3_lS4_T11_S3_li,@function
_ZL29rocblas_internal_gemmt_kernelIiLi16ELi32ELi8ELc78ELc78ELc85ELb0ELb0EddPKdPdEviT_T9_T10_S3_lS5_S3_lS4_T11_S3_li: ; @_ZL29rocblas_internal_gemmt_kernelIiLi16ELi32ELi8ELc78ELc78ELc85ELb0ELb0EddPKdPdEviT_T9_T10_S3_lS5_S3_lS4_T11_S3_li
; %bb.0:
	s_clause 0x2
	s_load_dwordx4 s[12:15], s[4:5], 0x38
	s_load_dwordx2 s[2:3], s[4:5], 0x0
	s_load_dwordx4 s[16:19], s[4:5], 0x8
	s_waitcnt lgkmcnt(0)
	v_cmp_neq_f64_e64 s0, s[14:15], 1.0
	s_and_b32 vcc_lo, exec_lo, s0
	s_cbranch_vccnz .LBB54_2
; %bb.1:
	v_cmp_neq_f64_e64 s0, s[16:17], 0
	s_cmp_lg_u32 s3, 0
	s_cselect_b32 s1, -1, 0
	s_and_b32 s0, s1, s0
.LBB54_2:
	s_andn2_b32 vcc_lo, exec_lo, s0
	s_cbranch_vccnz .LBB54_26
; %bb.3:
	v_cmp_eq_f64_e64 s0, s[16:17], 0
	s_load_dwordx2 s[10:11], s[4:5], 0x48
	s_lshl_b32 s9, s6, 5
	s_lshl_b32 s24, s7, 5
	s_cmp_lt_i32 s3, 1
	v_mov_b32_e32 v12, 0
	s_cselect_b32 s1, -1, 0
	v_mov_b32_e32 v6, 0
	v_mov_b32_e32 v4, 0
	;; [unrolled: 1-line block ×7, first 2 shown]
	s_mov_b32 s25, 0
	s_or_b32 s0, s0, s1
	s_and_b32 vcc_lo, exec_lo, s0
	s_cbranch_vccnz .LBB54_10
; %bb.4:
	s_load_dword s6, s[4:5], 0x18
	v_lshl_add_u32 v2, v1, 4, v0
	s_clause 0x1
	s_load_dwordx4 s[20:23], s[4:5], 0x20
	s_load_dword s1, s[4:5], 0x30
	v_and_b32_e32 v18, 7, v0
	v_mov_b32_e32 v12, 0
	v_lshlrev_b32_e32 v19, 3, v0
	v_and_b32_e32 v3, 31, v2
	v_lshrrev_b32_e32 v4, 3, v2
	v_lshlrev_b32_e32 v10, 3, v18
	v_lshrrev_b32_e32 v21, 5, v2
	v_lshl_add_u32 v20, v1, 6, 0x800
	v_or_b32_e32 v5, s9, v3
	v_add_nc_u32_e32 v6, s24, v4
	v_lshl_or_b32 v8, v4, 6, v10
	v_lshlrev_b32_e32 v7, 3, v3
	v_add_nc_u32_e32 v2, s9, v3
	v_cmp_gt_i32_e32 vcc_lo, s2, v5
	v_cmp_gt_i32_e64 s0, s2, v6
	v_add_nc_u32_e32 v23, 0x800, v8
	v_lshl_or_b32 v22, v21, 8, v7
	s_waitcnt lgkmcnt(0)
	v_mad_i64_i32 v[4:5], null, v21, s6, 0
	s_mul_i32 s7, s21, s8
	s_mul_hi_u32 s21, s20, s8
	v_mad_i64_i32 v[6:7], null, s1, v6, 0
	v_ashrrev_i32_e32 v3, 31, v2
	s_mul_i32 s20, s20, s8
	v_lshlrev_b64 v[4:5], 3, v[4:5]
	s_add_i32 s21, s21, s7
	s_mul_hi_u32 s7, s12, s8
	s_lshl_b64 s[20:21], s[20:21], 3
	v_lshlrev_b64 v[2:3], 3, v[2:3]
	s_mul_i32 s12, s12, s8
	v_add_co_u32 v8, s1, v4, s20
	v_add_co_ci_u32_e64 v9, null, s21, v5, s1
	s_mul_i32 s1, s13, s8
	v_lshlrev_b64 v[4:5], 3, v[6:7]
	s_add_i32 s13, s7, s1
	v_add_co_u32 v2, s1, v8, v2
	s_lshl_b64 s[12:13], s[12:13], 3
	v_add_co_ci_u32_e64 v3, null, v9, v3, s1
	v_add_co_u32 v4, s1, v4, s12
	v_add_co_ci_u32_e64 v5, null, s13, v5, s1
	v_add_co_u32 v8, s1, s18, v2
	;; [unrolled: 2-line block ×3, first 2 shown]
	v_add_co_ci_u32_e64 v11, null, 0, v5, s1
	v_mov_b32_e32 v2, 0
	v_add_co_u32 v10, s1, s22, v10
	v_mov_b32_e32 v4, 0
	v_mov_b32_e32 v6, 0
	v_mov_b32_e32 v3, 0
	v_mov_b32_e32 v5, 0
	v_mov_b32_e32 v7, 0
	v_mov_b32_e32 v13, 0
	v_add_co_ci_u32_e64 v11, null, s23, v11, s1
	s_ashr_i32 s7, s6, 31
	s_lshl_b64 s[6:7], s[6:7], 6
	s_branch .LBB54_6
.LBB54_5:                               ;   in Loop: Header=BB54_6 Depth=1
	s_or_b32 exec_lo, exec_lo, s1
	s_waitcnt vmcnt(0)
	ds_write_b64 v23, v[16:17]
	s_waitcnt lgkmcnt(0)
	s_barrier
	buffer_gl0_inv
	ds_read_b128 v[14:17], v20
	ds_read2_b64 v[24:27], v19 offset1:16
	ds_read_b128 v[28:31], v20 offset:1024
	ds_read_b128 v[32:35], v20 offset:16
	ds_read2_b64 v[36:39], v19 offset0:32 offset1:48
	ds_read_b128 v[40:43], v20 offset:1040
	v_add_co_u32 v8, s1, v8, s6
	v_add_co_ci_u32_e64 v9, null, s7, v9, s1
	v_add_co_u32 v10, s1, v10, 64
	v_add_co_ci_u32_e64 v11, null, 0, v11, s1
	s_add_i32 s25, s25, 8
	s_cmp_lt_i32 s25, s3
	s_waitcnt lgkmcnt(4)
	v_fma_f64 v[12:13], v[24:25], v[14:15], v[12:13]
	v_fma_f64 v[6:7], v[26:27], v[14:15], v[6:7]
	s_waitcnt lgkmcnt(3)
	v_fma_f64 v[14:15], v[24:25], v[28:29], v[4:5]
	v_fma_f64 v[24:25], v[26:27], v[28:29], v[2:3]
	ds_read2_b64 v[2:5], v19 offset0:64 offset1:80
	s_waitcnt lgkmcnt(2)
	v_fma_f64 v[26:27], v[36:37], v[16:17], v[12:13]
	v_fma_f64 v[6:7], v[38:39], v[16:17], v[6:7]
	v_fma_f64 v[16:17], v[36:37], v[30:31], v[14:15]
	v_fma_f64 v[24:25], v[38:39], v[30:31], v[24:25]
	ds_read2_b64 v[12:15], v19 offset0:96 offset1:112
	s_waitcnt lgkmcnt(1)
	v_fma_f64 v[28:29], v[2:3], v[32:33], v[26:27]
	v_fma_f64 v[6:7], v[4:5], v[32:33], v[6:7]
	;; [unrolled: 1-line block ×4, first 2 shown]
	ds_read_b128 v[2:5], v20 offset:32
	ds_read2_b64 v[24:27], v19 offset0:128 offset1:144
	s_waitcnt lgkmcnt(2)
	v_fma_f64 v[40:41], v[12:13], v[34:35], v[28:29]
	v_fma_f64 v[6:7], v[14:15], v[34:35], v[6:7]
	v_fma_f64 v[16:17], v[12:13], v[42:43], v[16:17]
	v_fma_f64 v[42:43], v[14:15], v[42:43], v[30:31]
	ds_read_b128 v[12:15], v20 offset:1056
	ds_read_b128 v[28:31], v20 offset:48
	ds_read2_b64 v[32:35], v19 offset0:160 offset1:176
	ds_read_b128 v[36:39], v20 offset:1072
	s_waitcnt lgkmcnt(4)
	v_fma_f64 v[40:41], v[24:25], v[2:3], v[40:41]
	v_fma_f64 v[2:3], v[26:27], v[2:3], v[6:7]
	s_waitcnt lgkmcnt(3)
	v_fma_f64 v[6:7], v[24:25], v[12:13], v[16:17]
	v_fma_f64 v[12:13], v[26:27], v[12:13], v[42:43]
	ds_read2_b64 v[24:27], v19 offset0:192 offset1:208
	s_waitcnt lgkmcnt(2)
	v_fma_f64 v[40:41], v[32:33], v[4:5], v[40:41]
	v_fma_f64 v[2:3], v[34:35], v[4:5], v[2:3]
	;; [unrolled: 1-line block ×4, first 2 shown]
	ds_read2_b64 v[14:17], v19 offset0:224 offset1:240
	s_waitcnt lgkmcnt(0)
	s_barrier
	buffer_gl0_inv
	v_fma_f64 v[12:13], v[24:25], v[28:29], v[40:41]
	v_fma_f64 v[2:3], v[26:27], v[28:29], v[2:3]
	;; [unrolled: 1-line block ×8, first 2 shown]
	s_cbranch_scc0 .LBB54_10
.LBB54_6:                               ; =>This Inner Loop Header: Depth=1
	v_add_nc_u32_e32 v14, s25, v21
	v_cmp_gt_i32_e64 s1, s3, v14
	v_mov_b32_e32 v14, 0
	v_mov_b32_e32 v15, 0
	s_and_b32 s12, vcc_lo, s1
	s_and_saveexec_b32 s1, s12
	s_cbranch_execz .LBB54_8
; %bb.7:                                ;   in Loop: Header=BB54_6 Depth=1
	global_load_dwordx2 v[14:15], v[8:9], off
.LBB54_8:                               ;   in Loop: Header=BB54_6 Depth=1
	s_or_b32 exec_lo, exec_lo, s1
	v_add_nc_u32_e32 v16, s25, v18
	s_waitcnt vmcnt(0)
	ds_write_b64 v22, v[14:15]
	v_cmp_gt_i32_e64 s1, s3, v16
	v_mov_b32_e32 v16, 0
	v_mov_b32_e32 v17, 0
	s_and_b32 s12, s1, s0
	s_and_saveexec_b32 s1, s12
	s_cbranch_execz .LBB54_5
; %bb.9:                                ;   in Loop: Header=BB54_6 Depth=1
	global_load_dwordx2 v[16:17], v[10:11], off
	s_branch .LBB54_5
.LBB54_10:
	s_clause 0x1
	s_load_dword s3, s[4:5], 0x50
	s_load_dwordx2 s[4:5], s[4:5], 0x58
	v_cmp_neq_f64_e64 s6, s[14:15], 0
	v_add_nc_u32_e32 v15, s24, v1
	v_add_nc_u32_e32 v0, s9, v0
	v_cmp_gt_i32_e64 s0, s2, v15
	v_cmp_le_i32_e32 vcc_lo, v0, v15
	v_ashrrev_i32_e32 v1, 31, v0
	s_waitcnt lgkmcnt(0)
	v_mad_i64_i32 v[8:9], null, v15, s3, 0
	s_mul_i32 s1, s5, s8
	s_mul_hi_u32 s5, s4, s8
	s_mul_i32 s4, s4, s8
	s_add_i32 s5, s5, s1
	v_cndmask_b32_e64 v14, 0, 1, s6
	s_lshl_b64 s[4:5], s[4:5], 3
	v_lshlrev_b64 v[8:9], 3, v[8:9]
	s_add_u32 s4, s10, s4
	s_addc_u32 s5, s11, s5
	s_and_b32 s7, s0, vcc_lo
	v_add_co_u32 v16, s1, s4, v8
	v_add_co_ci_u32_e64 v17, null, s5, v9, s1
	s_and_saveexec_b32 s1, s7
	s_cbranch_execz .LBB54_14
; %bb.11:
	v_mul_f64 v[8:9], s[16:17], v[12:13]
	v_lshlrev_b64 v[10:11], 3, v[0:1]
	v_add_co_u32 v10, vcc_lo, v16, v10
	v_add_co_ci_u32_e64 v11, null, v17, v11, vcc_lo
	s_andn2_b32 vcc_lo, exec_lo, s6
	s_cbranch_vccnz .LBB54_13
; %bb.12:
	global_load_dwordx2 v[12:13], v[10:11], off
	s_waitcnt vmcnt(0)
	v_fma_f64 v[8:9], s[14:15], v[12:13], v[8:9]
.LBB54_13:
	global_store_dwordx2 v[10:11], v[8:9], off
.LBB54_14:
	s_or_b32 exec_lo, exec_lo, s1
	v_add_nc_u32_e32 v8, 16, v0
	v_cmp_le_i32_e32 vcc_lo, v8, v15
	v_ashrrev_i32_e32 v9, 31, v8
	s_and_b32 s0, s0, vcc_lo
	s_and_saveexec_b32 s1, s0
	s_cbranch_execz .LBB54_18
; %bb.15:
	v_mul_f64 v[6:7], s[16:17], v[6:7]
	v_lshlrev_b64 v[10:11], 3, v[8:9]
	v_cmp_ne_u32_e32 vcc_lo, 1, v14
	v_add_co_u32 v10, s0, v16, v10
	v_add_co_ci_u32_e64 v11, null, v17, v11, s0
	s_cbranch_vccnz .LBB54_17
; %bb.16:
	global_load_dwordx2 v[12:13], v[10:11], off
	s_waitcnt vmcnt(0)
	v_fma_f64 v[6:7], s[14:15], v[12:13], v[6:7]
.LBB54_17:
	global_store_dwordx2 v[10:11], v[6:7], off
.LBB54_18:
	s_or_b32 exec_lo, exec_lo, s1
	v_add_nc_u32_e32 v10, 16, v15
	v_mad_i64_i32 v[6:7], null, v10, s3, 0
	v_cmp_gt_i32_e64 s0, s2, v10
	v_cmp_le_i32_e32 vcc_lo, v0, v10
	v_lshlrev_b64 v[6:7], 3, v[6:7]
	v_add_co_u32 v6, s1, s4, v6
	v_add_co_ci_u32_e64 v7, null, s5, v7, s1
	s_and_b32 s1, s0, vcc_lo
	s_and_saveexec_b32 s2, s1
	s_cbranch_execz .LBB54_22
; %bb.19:
	v_mul_f64 v[4:5], s[16:17], v[4:5]
	v_lshlrev_b64 v[0:1], 3, v[0:1]
	v_cmp_ne_u32_e32 vcc_lo, 1, v14
	v_add_co_u32 v0, s1, v6, v0
	v_add_co_ci_u32_e64 v1, null, v7, v1, s1
	s_cbranch_vccnz .LBB54_21
; %bb.20:
	global_load_dwordx2 v[11:12], v[0:1], off
	s_waitcnt vmcnt(0)
	v_fma_f64 v[4:5], s[14:15], v[11:12], v[4:5]
.LBB54_21:
	global_store_dwordx2 v[0:1], v[4:5], off
.LBB54_22:
	s_or_b32 exec_lo, exec_lo, s2
	v_cmp_le_i32_e32 vcc_lo, v8, v10
	s_and_b32 s0, s0, vcc_lo
	s_and_saveexec_b32 s1, s0
	s_cbranch_execz .LBB54_26
; %bb.23:
	v_mul_f64 v[0:1], s[16:17], v[2:3]
	v_lshlrev_b64 v[2:3], 3, v[8:9]
	v_cmp_ne_u32_e32 vcc_lo, 1, v14
	v_add_co_u32 v2, s0, v6, v2
	v_add_co_ci_u32_e64 v3, null, v7, v3, s0
	s_cbranch_vccnz .LBB54_25
; %bb.24:
	global_load_dwordx2 v[4:5], v[2:3], off
	s_waitcnt vmcnt(0)
	v_fma_f64 v[0:1], s[14:15], v[4:5], v[0:1]
.LBB54_25:
	global_store_dwordx2 v[2:3], v[0:1], off
.LBB54_26:
	s_endpgm
	.section	.rodata,"a",@progbits
	.p2align	6, 0x0
	.amdhsa_kernel _ZL29rocblas_internal_gemmt_kernelIiLi16ELi32ELi8ELc78ELc78ELc85ELb0ELb0EddPKdPdEviT_T9_T10_S3_lS5_S3_lS4_T11_S3_li
		.amdhsa_group_segment_fixed_size 4096
		.amdhsa_private_segment_fixed_size 0
		.amdhsa_kernarg_size 100
		.amdhsa_user_sgpr_count 6
		.amdhsa_user_sgpr_private_segment_buffer 1
		.amdhsa_user_sgpr_dispatch_ptr 0
		.amdhsa_user_sgpr_queue_ptr 0
		.amdhsa_user_sgpr_kernarg_segment_ptr 1
		.amdhsa_user_sgpr_dispatch_id 0
		.amdhsa_user_sgpr_flat_scratch_init 0
		.amdhsa_user_sgpr_private_segment_size 0
		.amdhsa_wavefront_size32 1
		.amdhsa_uses_dynamic_stack 0
		.amdhsa_system_sgpr_private_segment_wavefront_offset 0
		.amdhsa_system_sgpr_workgroup_id_x 1
		.amdhsa_system_sgpr_workgroup_id_y 1
		.amdhsa_system_sgpr_workgroup_id_z 1
		.amdhsa_system_sgpr_workgroup_info 0
		.amdhsa_system_vgpr_workitem_id 1
		.amdhsa_next_free_vgpr 44
		.amdhsa_next_free_sgpr 26
		.amdhsa_reserve_vcc 1
		.amdhsa_reserve_flat_scratch 0
		.amdhsa_float_round_mode_32 0
		.amdhsa_float_round_mode_16_64 0
		.amdhsa_float_denorm_mode_32 3
		.amdhsa_float_denorm_mode_16_64 3
		.amdhsa_dx10_clamp 1
		.amdhsa_ieee_mode 1
		.amdhsa_fp16_overflow 0
		.amdhsa_workgroup_processor_mode 1
		.amdhsa_memory_ordered 1
		.amdhsa_forward_progress 1
		.amdhsa_shared_vgpr_count 0
		.amdhsa_exception_fp_ieee_invalid_op 0
		.amdhsa_exception_fp_denorm_src 0
		.amdhsa_exception_fp_ieee_div_zero 0
		.amdhsa_exception_fp_ieee_overflow 0
		.amdhsa_exception_fp_ieee_underflow 0
		.amdhsa_exception_fp_ieee_inexact 0
		.amdhsa_exception_int_div_zero 0
	.end_amdhsa_kernel
	.section	.text._ZL29rocblas_internal_gemmt_kernelIiLi16ELi32ELi8ELc78ELc78ELc85ELb0ELb0EddPKdPdEviT_T9_T10_S3_lS5_S3_lS4_T11_S3_li,"axG",@progbits,_ZL29rocblas_internal_gemmt_kernelIiLi16ELi32ELi8ELc78ELc78ELc85ELb0ELb0EddPKdPdEviT_T9_T10_S3_lS5_S3_lS4_T11_S3_li,comdat
.Lfunc_end54:
	.size	_ZL29rocblas_internal_gemmt_kernelIiLi16ELi32ELi8ELc78ELc78ELc85ELb0ELb0EddPKdPdEviT_T9_T10_S3_lS5_S3_lS4_T11_S3_li, .Lfunc_end54-_ZL29rocblas_internal_gemmt_kernelIiLi16ELi32ELi8ELc78ELc78ELc85ELb0ELb0EddPKdPdEviT_T9_T10_S3_lS5_S3_lS4_T11_S3_li
                                        ; -- End function
	.set _ZL29rocblas_internal_gemmt_kernelIiLi16ELi32ELi8ELc78ELc78ELc85ELb0ELb0EddPKdPdEviT_T9_T10_S3_lS5_S3_lS4_T11_S3_li.num_vgpr, 44
	.set _ZL29rocblas_internal_gemmt_kernelIiLi16ELi32ELi8ELc78ELc78ELc85ELb0ELb0EddPKdPdEviT_T9_T10_S3_lS5_S3_lS4_T11_S3_li.num_agpr, 0
	.set _ZL29rocblas_internal_gemmt_kernelIiLi16ELi32ELi8ELc78ELc78ELc85ELb0ELb0EddPKdPdEviT_T9_T10_S3_lS5_S3_lS4_T11_S3_li.numbered_sgpr, 26
	.set _ZL29rocblas_internal_gemmt_kernelIiLi16ELi32ELi8ELc78ELc78ELc85ELb0ELb0EddPKdPdEviT_T9_T10_S3_lS5_S3_lS4_T11_S3_li.num_named_barrier, 0
	.set _ZL29rocblas_internal_gemmt_kernelIiLi16ELi32ELi8ELc78ELc78ELc85ELb0ELb0EddPKdPdEviT_T9_T10_S3_lS5_S3_lS4_T11_S3_li.private_seg_size, 0
	.set _ZL29rocblas_internal_gemmt_kernelIiLi16ELi32ELi8ELc78ELc78ELc85ELb0ELb0EddPKdPdEviT_T9_T10_S3_lS5_S3_lS4_T11_S3_li.uses_vcc, 1
	.set _ZL29rocblas_internal_gemmt_kernelIiLi16ELi32ELi8ELc78ELc78ELc85ELb0ELb0EddPKdPdEviT_T9_T10_S3_lS5_S3_lS4_T11_S3_li.uses_flat_scratch, 0
	.set _ZL29rocblas_internal_gemmt_kernelIiLi16ELi32ELi8ELc78ELc78ELc85ELb0ELb0EddPKdPdEviT_T9_T10_S3_lS5_S3_lS4_T11_S3_li.has_dyn_sized_stack, 0
	.set _ZL29rocblas_internal_gemmt_kernelIiLi16ELi32ELi8ELc78ELc78ELc85ELb0ELb0EddPKdPdEviT_T9_T10_S3_lS5_S3_lS4_T11_S3_li.has_recursion, 0
	.set _ZL29rocblas_internal_gemmt_kernelIiLi16ELi32ELi8ELc78ELc78ELc85ELb0ELb0EddPKdPdEviT_T9_T10_S3_lS5_S3_lS4_T11_S3_li.has_indirect_call, 0
	.section	.AMDGPU.csdata,"",@progbits
; Kernel info:
; codeLenInByte = 1640
; TotalNumSgprs: 28
; NumVgprs: 44
; ScratchSize: 0
; MemoryBound: 0
; FloatMode: 240
; IeeeMode: 1
; LDSByteSize: 4096 bytes/workgroup (compile time only)
; SGPRBlocks: 0
; VGPRBlocks: 5
; NumSGPRsForWavesPerEU: 28
; NumVGPRsForWavesPerEU: 44
; Occupancy: 16
; WaveLimiterHint : 0
; COMPUTE_PGM_RSRC2:SCRATCH_EN: 0
; COMPUTE_PGM_RSRC2:USER_SGPR: 6
; COMPUTE_PGM_RSRC2:TRAP_HANDLER: 0
; COMPUTE_PGM_RSRC2:TGID_X_EN: 1
; COMPUTE_PGM_RSRC2:TGID_Y_EN: 1
; COMPUTE_PGM_RSRC2:TGID_Z_EN: 1
; COMPUTE_PGM_RSRC2:TIDIG_COMP_CNT: 1
	.section	.text._ZL29rocblas_internal_gemmt_kernelIiLi16ELi32ELi8ELc78ELc84ELc85ELb0ELb0EddPKdPdEviT_T9_T10_S3_lS5_S3_lS4_T11_S3_li,"axG",@progbits,_ZL29rocblas_internal_gemmt_kernelIiLi16ELi32ELi8ELc78ELc84ELc85ELb0ELb0EddPKdPdEviT_T9_T10_S3_lS5_S3_lS4_T11_S3_li,comdat
	.globl	_ZL29rocblas_internal_gemmt_kernelIiLi16ELi32ELi8ELc78ELc84ELc85ELb0ELb0EddPKdPdEviT_T9_T10_S3_lS5_S3_lS4_T11_S3_li ; -- Begin function _ZL29rocblas_internal_gemmt_kernelIiLi16ELi32ELi8ELc78ELc84ELc85ELb0ELb0EddPKdPdEviT_T9_T10_S3_lS5_S3_lS4_T11_S3_li
	.p2align	8
	.type	_ZL29rocblas_internal_gemmt_kernelIiLi16ELi32ELi8ELc78ELc84ELc85ELb0ELb0EddPKdPdEviT_T9_T10_S3_lS5_S3_lS4_T11_S3_li,@function
_ZL29rocblas_internal_gemmt_kernelIiLi16ELi32ELi8ELc78ELc84ELc85ELb0ELb0EddPKdPdEviT_T9_T10_S3_lS5_S3_lS4_T11_S3_li: ; @_ZL29rocblas_internal_gemmt_kernelIiLi16ELi32ELi8ELc78ELc84ELc85ELb0ELb0EddPKdPdEviT_T9_T10_S3_lS5_S3_lS4_T11_S3_li
; %bb.0:
	s_clause 0x2
	s_load_dwordx4 s[12:15], s[4:5], 0x38
	s_load_dwordx2 s[2:3], s[4:5], 0x0
	s_load_dwordx4 s[16:19], s[4:5], 0x8
	s_waitcnt lgkmcnt(0)
	v_cmp_neq_f64_e64 s0, s[14:15], 1.0
	s_and_b32 vcc_lo, exec_lo, s0
	s_cbranch_vccnz .LBB55_2
; %bb.1:
	v_cmp_neq_f64_e64 s0, s[16:17], 0
	s_cmp_lg_u32 s3, 0
	s_cselect_b32 s1, -1, 0
	s_and_b32 s0, s1, s0
.LBB55_2:
	s_andn2_b32 vcc_lo, exec_lo, s0
	s_cbranch_vccnz .LBB55_26
; %bb.3:
	v_cmp_eq_f64_e64 s0, s[16:17], 0
	s_load_dwordx2 s[10:11], s[4:5], 0x48
	s_lshl_b32 s9, s6, 5
	s_lshl_b32 s24, s7, 5
	s_cmp_lt_i32 s3, 1
	v_mov_b32_e32 v12, 0
	s_cselect_b32 s1, -1, 0
	v_mov_b32_e32 v6, 0
	v_mov_b32_e32 v4, 0
	;; [unrolled: 1-line block ×7, first 2 shown]
	s_mov_b32 s25, 0
	s_or_b32 s0, s0, s1
	s_and_b32 vcc_lo, exec_lo, s0
	s_cbranch_vccnz .LBB55_10
; %bb.4:
	s_clause 0x2
	s_load_dword s6, s[4:5], 0x18
	s_load_dwordx4 s[20:23], s[4:5], 0x20
	s_load_dword s26, s[4:5], 0x30
	v_lshl_add_u32 v2, v1, 4, v0
	v_and_b32_e32 v18, 7, v0
	s_mul_i32 s13, s13, s8
	s_mul_hi_u32 s27, s12, s8
	s_mul_i32 s12, s12, s8
	v_and_b32_e32 v6, 31, v2
	v_lshrrev_b32_e32 v3, 3, v2
	v_lshlrev_b32_e32 v4, 3, v18
	v_lshrrev_b32_e32 v19, 5, v2
	s_add_i32 s13, s27, s13
	v_or_b32_e32 v5, s9, v6
	v_add_nc_u32_e32 v2, s24, v3
	v_lshl_or_b32 v3, v3, 6, v4
	v_lshlrev_b32_e32 v7, 3, v6
	v_add_nc_u32_e32 v6, s9, v6
	v_cmp_gt_i32_e32 vcc_lo, s2, v5
	s_lshl_b64 s[12:13], s[12:13], 3
	s_waitcnt lgkmcnt(0)
	v_mad_i64_i32 v[4:5], null, v19, s6, 0
	s_mul_i32 s1, s21, s8
	s_mul_hi_u32 s21, s20, s8
	v_mad_i64_i32 v[8:9], null, s26, v18, 0
	v_lshl_or_b32 v20, v19, 8, v7
	v_ashrrev_i32_e32 v7, 31, v6
	v_lshlrev_b64 v[4:5], 3, v[4:5]
	s_add_i32 s21, s21, s1
	s_mul_i32 s20, s20, s8
	v_add_nc_u32_e32 v21, 0x800, v3
	s_lshl_b64 s[20:21], s[20:21], 3
	v_lshlrev_b64 v[6:7], 3, v[6:7]
	v_add_co_u32 v10, s1, v4, s20
	v_ashrrev_i32_e32 v3, 31, v2
	v_add_co_ci_u32_e64 v11, null, s21, v5, s1
	v_lshlrev_b64 v[4:5], 3, v[8:9]
	v_add_co_u32 v6, s1, v10, v6
	v_cmp_gt_i32_e64 s0, s2, v2
	v_lshlrev_b64 v[2:3], 3, v[2:3]
	v_add_co_ci_u32_e64 v7, null, v11, v7, s1
	v_add_co_u32 v4, s1, s12, v4
	v_add_co_ci_u32_e64 v5, null, s13, v5, s1
	v_add_co_u32 v8, s1, s18, v6
	;; [unrolled: 2-line block ×3, first 2 shown]
	v_add_co_ci_u32_e64 v11, null, v5, v3, s1
	v_mov_b32_e32 v2, 0
	v_add_co_u32 v10, s1, s22, v10
	v_mov_b32_e32 v4, 0
	v_mov_b32_e32 v6, 0
	v_mov_b32_e32 v12, 0
	v_lshlrev_b32_e32 v22, 3, v0
	v_lshl_add_u32 v23, v1, 6, 0x800
	v_mov_b32_e32 v3, 0
	v_mov_b32_e32 v5, 0
	;; [unrolled: 1-line block ×4, first 2 shown]
	v_add_co_ci_u32_e64 v11, null, s23, v11, s1
	s_ashr_i32 s7, s6, 31
	s_ashr_i32 s27, s26, 31
	s_lshl_b64 s[6:7], s[6:7], 6
	s_lshl_b64 s[12:13], s[26:27], 6
	s_branch .LBB55_6
.LBB55_5:                               ;   in Loop: Header=BB55_6 Depth=1
	s_or_b32 exec_lo, exec_lo, s1
	s_waitcnt vmcnt(0)
	ds_write_b64 v21, v[16:17]
	s_waitcnt lgkmcnt(0)
	s_barrier
	buffer_gl0_inv
	ds_read_b128 v[14:17], v23
	ds_read2_b64 v[24:27], v22 offset1:16
	ds_read_b128 v[28:31], v23 offset:1024
	ds_read_b128 v[32:35], v23 offset:16
	ds_read2_b64 v[36:39], v22 offset0:32 offset1:48
	ds_read_b128 v[40:43], v23 offset:1040
	v_add_co_u32 v8, s1, v8, s6
	v_add_co_ci_u32_e64 v9, null, s7, v9, s1
	v_add_co_u32 v10, s1, v10, s12
	v_add_co_ci_u32_e64 v11, null, s13, v11, s1
	s_add_i32 s25, s25, 8
	s_cmp_lt_i32 s25, s3
	s_waitcnt lgkmcnt(4)
	v_fma_f64 v[12:13], v[24:25], v[14:15], v[12:13]
	v_fma_f64 v[6:7], v[26:27], v[14:15], v[6:7]
	s_waitcnt lgkmcnt(3)
	v_fma_f64 v[14:15], v[24:25], v[28:29], v[4:5]
	v_fma_f64 v[24:25], v[26:27], v[28:29], v[2:3]
	ds_read2_b64 v[2:5], v22 offset0:64 offset1:80
	s_waitcnt lgkmcnt(2)
	v_fma_f64 v[26:27], v[36:37], v[16:17], v[12:13]
	v_fma_f64 v[6:7], v[38:39], v[16:17], v[6:7]
	;; [unrolled: 1-line block ×4, first 2 shown]
	ds_read2_b64 v[12:15], v22 offset0:96 offset1:112
	s_waitcnt lgkmcnt(1)
	v_fma_f64 v[28:29], v[2:3], v[32:33], v[26:27]
	v_fma_f64 v[6:7], v[4:5], v[32:33], v[6:7]
	;; [unrolled: 1-line block ×4, first 2 shown]
	ds_read_b128 v[2:5], v23 offset:32
	ds_read2_b64 v[24:27], v22 offset0:128 offset1:144
	s_waitcnt lgkmcnt(2)
	v_fma_f64 v[40:41], v[12:13], v[34:35], v[28:29]
	v_fma_f64 v[6:7], v[14:15], v[34:35], v[6:7]
	;; [unrolled: 1-line block ×4, first 2 shown]
	ds_read_b128 v[12:15], v23 offset:1056
	ds_read_b128 v[28:31], v23 offset:48
	ds_read2_b64 v[32:35], v22 offset0:160 offset1:176
	ds_read_b128 v[36:39], v23 offset:1072
	s_waitcnt lgkmcnt(4)
	v_fma_f64 v[40:41], v[24:25], v[2:3], v[40:41]
	v_fma_f64 v[2:3], v[26:27], v[2:3], v[6:7]
	s_waitcnt lgkmcnt(3)
	v_fma_f64 v[6:7], v[24:25], v[12:13], v[16:17]
	v_fma_f64 v[12:13], v[26:27], v[12:13], v[42:43]
	ds_read2_b64 v[24:27], v22 offset0:192 offset1:208
	s_waitcnt lgkmcnt(2)
	v_fma_f64 v[40:41], v[32:33], v[4:5], v[40:41]
	v_fma_f64 v[2:3], v[34:35], v[4:5], v[2:3]
	;; [unrolled: 1-line block ×4, first 2 shown]
	ds_read2_b64 v[14:17], v22 offset0:224 offset1:240
	s_waitcnt lgkmcnt(0)
	s_barrier
	buffer_gl0_inv
	v_fma_f64 v[12:13], v[24:25], v[28:29], v[40:41]
	v_fma_f64 v[2:3], v[26:27], v[28:29], v[2:3]
	;; [unrolled: 1-line block ×8, first 2 shown]
	s_cbranch_scc0 .LBB55_10
.LBB55_6:                               ; =>This Inner Loop Header: Depth=1
	v_add_nc_u32_e32 v14, s25, v19
	v_cmp_gt_i32_e64 s1, s3, v14
	v_mov_b32_e32 v14, 0
	v_mov_b32_e32 v15, 0
	s_and_b32 s18, vcc_lo, s1
	s_and_saveexec_b32 s1, s18
	s_cbranch_execz .LBB55_8
; %bb.7:                                ;   in Loop: Header=BB55_6 Depth=1
	global_load_dwordx2 v[14:15], v[8:9], off
.LBB55_8:                               ;   in Loop: Header=BB55_6 Depth=1
	s_or_b32 exec_lo, exec_lo, s1
	v_add_nc_u32_e32 v16, s25, v18
	s_waitcnt vmcnt(0)
	ds_write_b64 v20, v[14:15]
	v_cmp_gt_i32_e64 s1, s3, v16
	v_mov_b32_e32 v16, 0
	v_mov_b32_e32 v17, 0
	s_and_b32 s18, s1, s0
	s_and_saveexec_b32 s1, s18
	s_cbranch_execz .LBB55_5
; %bb.9:                                ;   in Loop: Header=BB55_6 Depth=1
	global_load_dwordx2 v[16:17], v[10:11], off
	s_branch .LBB55_5
.LBB55_10:
	s_clause 0x1
	s_load_dword s3, s[4:5], 0x50
	s_load_dwordx2 s[4:5], s[4:5], 0x58
	v_cmp_neq_f64_e64 s6, s[14:15], 0
	v_add_nc_u32_e32 v15, s24, v1
	v_add_nc_u32_e32 v0, s9, v0
	v_cmp_gt_i32_e64 s0, s2, v15
	v_cmp_le_i32_e32 vcc_lo, v0, v15
	v_ashrrev_i32_e32 v1, 31, v0
	s_waitcnt lgkmcnt(0)
	v_mad_i64_i32 v[8:9], null, v15, s3, 0
	s_mul_i32 s1, s5, s8
	s_mul_hi_u32 s5, s4, s8
	s_mul_i32 s4, s4, s8
	s_add_i32 s5, s5, s1
	v_cndmask_b32_e64 v14, 0, 1, s6
	s_lshl_b64 s[4:5], s[4:5], 3
	v_lshlrev_b64 v[8:9], 3, v[8:9]
	s_add_u32 s4, s10, s4
	s_addc_u32 s5, s11, s5
	s_and_b32 s7, s0, vcc_lo
	v_add_co_u32 v16, s1, s4, v8
	v_add_co_ci_u32_e64 v17, null, s5, v9, s1
	s_and_saveexec_b32 s1, s7
	s_cbranch_execz .LBB55_14
; %bb.11:
	v_mul_f64 v[8:9], s[16:17], v[12:13]
	v_lshlrev_b64 v[10:11], 3, v[0:1]
	v_add_co_u32 v10, vcc_lo, v16, v10
	v_add_co_ci_u32_e64 v11, null, v17, v11, vcc_lo
	s_andn2_b32 vcc_lo, exec_lo, s6
	s_cbranch_vccnz .LBB55_13
; %bb.12:
	global_load_dwordx2 v[12:13], v[10:11], off
	s_waitcnt vmcnt(0)
	v_fma_f64 v[8:9], s[14:15], v[12:13], v[8:9]
.LBB55_13:
	global_store_dwordx2 v[10:11], v[8:9], off
.LBB55_14:
	s_or_b32 exec_lo, exec_lo, s1
	v_add_nc_u32_e32 v8, 16, v0
	v_cmp_le_i32_e32 vcc_lo, v8, v15
	v_ashrrev_i32_e32 v9, 31, v8
	s_and_b32 s0, s0, vcc_lo
	s_and_saveexec_b32 s1, s0
	s_cbranch_execz .LBB55_18
; %bb.15:
	v_mul_f64 v[6:7], s[16:17], v[6:7]
	v_lshlrev_b64 v[10:11], 3, v[8:9]
	v_cmp_ne_u32_e32 vcc_lo, 1, v14
	v_add_co_u32 v10, s0, v16, v10
	v_add_co_ci_u32_e64 v11, null, v17, v11, s0
	s_cbranch_vccnz .LBB55_17
; %bb.16:
	global_load_dwordx2 v[12:13], v[10:11], off
	s_waitcnt vmcnt(0)
	v_fma_f64 v[6:7], s[14:15], v[12:13], v[6:7]
.LBB55_17:
	global_store_dwordx2 v[10:11], v[6:7], off
.LBB55_18:
	s_or_b32 exec_lo, exec_lo, s1
	v_add_nc_u32_e32 v10, 16, v15
	v_mad_i64_i32 v[6:7], null, v10, s3, 0
	v_cmp_gt_i32_e64 s0, s2, v10
	v_cmp_le_i32_e32 vcc_lo, v0, v10
	v_lshlrev_b64 v[6:7], 3, v[6:7]
	v_add_co_u32 v6, s1, s4, v6
	v_add_co_ci_u32_e64 v7, null, s5, v7, s1
	s_and_b32 s1, s0, vcc_lo
	s_and_saveexec_b32 s2, s1
	s_cbranch_execz .LBB55_22
; %bb.19:
	v_mul_f64 v[4:5], s[16:17], v[4:5]
	v_lshlrev_b64 v[0:1], 3, v[0:1]
	v_cmp_ne_u32_e32 vcc_lo, 1, v14
	v_add_co_u32 v0, s1, v6, v0
	v_add_co_ci_u32_e64 v1, null, v7, v1, s1
	s_cbranch_vccnz .LBB55_21
; %bb.20:
	global_load_dwordx2 v[11:12], v[0:1], off
	s_waitcnt vmcnt(0)
	v_fma_f64 v[4:5], s[14:15], v[11:12], v[4:5]
.LBB55_21:
	global_store_dwordx2 v[0:1], v[4:5], off
.LBB55_22:
	s_or_b32 exec_lo, exec_lo, s2
	v_cmp_le_i32_e32 vcc_lo, v8, v10
	s_and_b32 s0, s0, vcc_lo
	s_and_saveexec_b32 s1, s0
	s_cbranch_execz .LBB55_26
; %bb.23:
	v_mul_f64 v[0:1], s[16:17], v[2:3]
	v_lshlrev_b64 v[2:3], 3, v[8:9]
	v_cmp_ne_u32_e32 vcc_lo, 1, v14
	v_add_co_u32 v2, s0, v6, v2
	v_add_co_ci_u32_e64 v3, null, v7, v3, s0
	s_cbranch_vccnz .LBB55_25
; %bb.24:
	global_load_dwordx2 v[4:5], v[2:3], off
	s_waitcnt vmcnt(0)
	v_fma_f64 v[0:1], s[14:15], v[4:5], v[0:1]
.LBB55_25:
	global_store_dwordx2 v[2:3], v[0:1], off
.LBB55_26:
	s_endpgm
	.section	.rodata,"a",@progbits
	.p2align	6, 0x0
	.amdhsa_kernel _ZL29rocblas_internal_gemmt_kernelIiLi16ELi32ELi8ELc78ELc84ELc85ELb0ELb0EddPKdPdEviT_T9_T10_S3_lS5_S3_lS4_T11_S3_li
		.amdhsa_group_segment_fixed_size 4096
		.amdhsa_private_segment_fixed_size 0
		.amdhsa_kernarg_size 100
		.amdhsa_user_sgpr_count 6
		.amdhsa_user_sgpr_private_segment_buffer 1
		.amdhsa_user_sgpr_dispatch_ptr 0
		.amdhsa_user_sgpr_queue_ptr 0
		.amdhsa_user_sgpr_kernarg_segment_ptr 1
		.amdhsa_user_sgpr_dispatch_id 0
		.amdhsa_user_sgpr_flat_scratch_init 0
		.amdhsa_user_sgpr_private_segment_size 0
		.amdhsa_wavefront_size32 1
		.amdhsa_uses_dynamic_stack 0
		.amdhsa_system_sgpr_private_segment_wavefront_offset 0
		.amdhsa_system_sgpr_workgroup_id_x 1
		.amdhsa_system_sgpr_workgroup_id_y 1
		.amdhsa_system_sgpr_workgroup_id_z 1
		.amdhsa_system_sgpr_workgroup_info 0
		.amdhsa_system_vgpr_workitem_id 1
		.amdhsa_next_free_vgpr 44
		.amdhsa_next_free_sgpr 28
		.amdhsa_reserve_vcc 1
		.amdhsa_reserve_flat_scratch 0
		.amdhsa_float_round_mode_32 0
		.amdhsa_float_round_mode_16_64 0
		.amdhsa_float_denorm_mode_32 3
		.amdhsa_float_denorm_mode_16_64 3
		.amdhsa_dx10_clamp 1
		.amdhsa_ieee_mode 1
		.amdhsa_fp16_overflow 0
		.amdhsa_workgroup_processor_mode 1
		.amdhsa_memory_ordered 1
		.amdhsa_forward_progress 1
		.amdhsa_shared_vgpr_count 0
		.amdhsa_exception_fp_ieee_invalid_op 0
		.amdhsa_exception_fp_denorm_src 0
		.amdhsa_exception_fp_ieee_div_zero 0
		.amdhsa_exception_fp_ieee_overflow 0
		.amdhsa_exception_fp_ieee_underflow 0
		.amdhsa_exception_fp_ieee_inexact 0
		.amdhsa_exception_int_div_zero 0
	.end_amdhsa_kernel
	.section	.text._ZL29rocblas_internal_gemmt_kernelIiLi16ELi32ELi8ELc78ELc84ELc85ELb0ELb0EddPKdPdEviT_T9_T10_S3_lS5_S3_lS4_T11_S3_li,"axG",@progbits,_ZL29rocblas_internal_gemmt_kernelIiLi16ELi32ELi8ELc78ELc84ELc85ELb0ELb0EddPKdPdEviT_T9_T10_S3_lS5_S3_lS4_T11_S3_li,comdat
.Lfunc_end55:
	.size	_ZL29rocblas_internal_gemmt_kernelIiLi16ELi32ELi8ELc78ELc84ELc85ELb0ELb0EddPKdPdEviT_T9_T10_S3_lS5_S3_lS4_T11_S3_li, .Lfunc_end55-_ZL29rocblas_internal_gemmt_kernelIiLi16ELi32ELi8ELc78ELc84ELc85ELb0ELb0EddPKdPdEviT_T9_T10_S3_lS5_S3_lS4_T11_S3_li
                                        ; -- End function
	.set _ZL29rocblas_internal_gemmt_kernelIiLi16ELi32ELi8ELc78ELc84ELc85ELb0ELb0EddPKdPdEviT_T9_T10_S3_lS5_S3_lS4_T11_S3_li.num_vgpr, 44
	.set _ZL29rocblas_internal_gemmt_kernelIiLi16ELi32ELi8ELc78ELc84ELc85ELb0ELb0EddPKdPdEviT_T9_T10_S3_lS5_S3_lS4_T11_S3_li.num_agpr, 0
	.set _ZL29rocblas_internal_gemmt_kernelIiLi16ELi32ELi8ELc78ELc84ELc85ELb0ELb0EddPKdPdEviT_T9_T10_S3_lS5_S3_lS4_T11_S3_li.numbered_sgpr, 28
	.set _ZL29rocblas_internal_gemmt_kernelIiLi16ELi32ELi8ELc78ELc84ELc85ELb0ELb0EddPKdPdEviT_T9_T10_S3_lS5_S3_lS4_T11_S3_li.num_named_barrier, 0
	.set _ZL29rocblas_internal_gemmt_kernelIiLi16ELi32ELi8ELc78ELc84ELc85ELb0ELb0EddPKdPdEviT_T9_T10_S3_lS5_S3_lS4_T11_S3_li.private_seg_size, 0
	.set _ZL29rocblas_internal_gemmt_kernelIiLi16ELi32ELi8ELc78ELc84ELc85ELb0ELb0EddPKdPdEviT_T9_T10_S3_lS5_S3_lS4_T11_S3_li.uses_vcc, 1
	.set _ZL29rocblas_internal_gemmt_kernelIiLi16ELi32ELi8ELc78ELc84ELc85ELb0ELb0EddPKdPdEviT_T9_T10_S3_lS5_S3_lS4_T11_S3_li.uses_flat_scratch, 0
	.set _ZL29rocblas_internal_gemmt_kernelIiLi16ELi32ELi8ELc78ELc84ELc85ELb0ELb0EddPKdPdEviT_T9_T10_S3_lS5_S3_lS4_T11_S3_li.has_dyn_sized_stack, 0
	.set _ZL29rocblas_internal_gemmt_kernelIiLi16ELi32ELi8ELc78ELc84ELc85ELb0ELb0EddPKdPdEviT_T9_T10_S3_lS5_S3_lS4_T11_S3_li.has_recursion, 0
	.set _ZL29rocblas_internal_gemmt_kernelIiLi16ELi32ELi8ELc78ELc84ELc85ELb0ELb0EddPKdPdEviT_T9_T10_S3_lS5_S3_lS4_T11_S3_li.has_indirect_call, 0
	.section	.AMDGPU.csdata,"",@progbits
; Kernel info:
; codeLenInByte = 1660
; TotalNumSgprs: 30
; NumVgprs: 44
; ScratchSize: 0
; MemoryBound: 0
; FloatMode: 240
; IeeeMode: 1
; LDSByteSize: 4096 bytes/workgroup (compile time only)
; SGPRBlocks: 0
; VGPRBlocks: 5
; NumSGPRsForWavesPerEU: 30
; NumVGPRsForWavesPerEU: 44
; Occupancy: 16
; WaveLimiterHint : 0
; COMPUTE_PGM_RSRC2:SCRATCH_EN: 0
; COMPUTE_PGM_RSRC2:USER_SGPR: 6
; COMPUTE_PGM_RSRC2:TRAP_HANDLER: 0
; COMPUTE_PGM_RSRC2:TGID_X_EN: 1
; COMPUTE_PGM_RSRC2:TGID_Y_EN: 1
; COMPUTE_PGM_RSRC2:TGID_Z_EN: 1
; COMPUTE_PGM_RSRC2:TIDIG_COMP_CNT: 1
	.section	.text._ZL29rocblas_internal_gemmt_kernelIiLi16ELi32ELi8ELc78ELc67ELc85ELb0ELb0EddPKdPdEviT_T9_T10_S3_lS5_S3_lS4_T11_S3_li,"axG",@progbits,_ZL29rocblas_internal_gemmt_kernelIiLi16ELi32ELi8ELc78ELc67ELc85ELb0ELb0EddPKdPdEviT_T9_T10_S3_lS5_S3_lS4_T11_S3_li,comdat
	.globl	_ZL29rocblas_internal_gemmt_kernelIiLi16ELi32ELi8ELc78ELc67ELc85ELb0ELb0EddPKdPdEviT_T9_T10_S3_lS5_S3_lS4_T11_S3_li ; -- Begin function _ZL29rocblas_internal_gemmt_kernelIiLi16ELi32ELi8ELc78ELc67ELc85ELb0ELb0EddPKdPdEviT_T9_T10_S3_lS5_S3_lS4_T11_S3_li
	.p2align	8
	.type	_ZL29rocblas_internal_gemmt_kernelIiLi16ELi32ELi8ELc78ELc67ELc85ELb0ELb0EddPKdPdEviT_T9_T10_S3_lS5_S3_lS4_T11_S3_li,@function
_ZL29rocblas_internal_gemmt_kernelIiLi16ELi32ELi8ELc78ELc67ELc85ELb0ELb0EddPKdPdEviT_T9_T10_S3_lS5_S3_lS4_T11_S3_li: ; @_ZL29rocblas_internal_gemmt_kernelIiLi16ELi32ELi8ELc78ELc67ELc85ELb0ELb0EddPKdPdEviT_T9_T10_S3_lS5_S3_lS4_T11_S3_li
; %bb.0:
	s_clause 0x2
	s_load_dwordx4 s[12:15], s[4:5], 0x38
	s_load_dwordx2 s[2:3], s[4:5], 0x0
	s_load_dwordx4 s[16:19], s[4:5], 0x8
	s_waitcnt lgkmcnt(0)
	v_cmp_neq_f64_e64 s0, s[14:15], 1.0
	s_and_b32 vcc_lo, exec_lo, s0
	s_cbranch_vccnz .LBB56_2
; %bb.1:
	v_cmp_neq_f64_e64 s0, s[16:17], 0
	s_cmp_lg_u32 s3, 0
	s_cselect_b32 s1, -1, 0
	s_and_b32 s0, s1, s0
.LBB56_2:
	s_andn2_b32 vcc_lo, exec_lo, s0
	s_cbranch_vccnz .LBB56_26
; %bb.3:
	v_cmp_eq_f64_e64 s0, s[16:17], 0
	s_load_dwordx2 s[10:11], s[4:5], 0x48
	s_lshl_b32 s9, s6, 5
	s_lshl_b32 s24, s7, 5
	s_cmp_lt_i32 s3, 1
	v_mov_b32_e32 v12, 0
	s_cselect_b32 s1, -1, 0
	v_mov_b32_e32 v6, 0
	v_mov_b32_e32 v4, 0
	;; [unrolled: 1-line block ×7, first 2 shown]
	s_mov_b32 s25, 0
	s_or_b32 s0, s0, s1
	s_and_b32 vcc_lo, exec_lo, s0
	s_cbranch_vccnz .LBB56_10
; %bb.4:
	s_clause 0x2
	s_load_dword s6, s[4:5], 0x18
	s_load_dwordx4 s[20:23], s[4:5], 0x20
	s_load_dword s26, s[4:5], 0x30
	v_lshl_add_u32 v2, v1, 4, v0
	v_and_b32_e32 v18, 7, v0
	s_mul_i32 s13, s13, s8
	s_mul_hi_u32 s27, s12, s8
	s_mul_i32 s12, s12, s8
	v_and_b32_e32 v6, 31, v2
	v_lshrrev_b32_e32 v3, 3, v2
	v_lshlrev_b32_e32 v4, 3, v18
	v_lshrrev_b32_e32 v19, 5, v2
	s_add_i32 s13, s27, s13
	v_or_b32_e32 v5, s9, v6
	v_add_nc_u32_e32 v2, s24, v3
	v_lshl_or_b32 v3, v3, 6, v4
	v_lshlrev_b32_e32 v7, 3, v6
	v_add_nc_u32_e32 v6, s9, v6
	v_cmp_gt_i32_e32 vcc_lo, s2, v5
	s_lshl_b64 s[12:13], s[12:13], 3
	s_waitcnt lgkmcnt(0)
	v_mad_i64_i32 v[4:5], null, v19, s6, 0
	s_mul_i32 s1, s21, s8
	s_mul_hi_u32 s21, s20, s8
	v_mad_i64_i32 v[8:9], null, s26, v18, 0
	v_lshl_or_b32 v20, v19, 8, v7
	v_ashrrev_i32_e32 v7, 31, v6
	v_lshlrev_b64 v[4:5], 3, v[4:5]
	s_add_i32 s21, s21, s1
	s_mul_i32 s20, s20, s8
	v_add_nc_u32_e32 v21, 0x800, v3
	s_lshl_b64 s[20:21], s[20:21], 3
	v_lshlrev_b64 v[6:7], 3, v[6:7]
	v_add_co_u32 v10, s1, v4, s20
	v_ashrrev_i32_e32 v3, 31, v2
	v_add_co_ci_u32_e64 v11, null, s21, v5, s1
	v_lshlrev_b64 v[4:5], 3, v[8:9]
	v_add_co_u32 v6, s1, v10, v6
	v_cmp_gt_i32_e64 s0, s2, v2
	v_lshlrev_b64 v[2:3], 3, v[2:3]
	v_add_co_ci_u32_e64 v7, null, v11, v7, s1
	v_add_co_u32 v4, s1, s12, v4
	v_add_co_ci_u32_e64 v5, null, s13, v5, s1
	v_add_co_u32 v8, s1, s18, v6
	v_add_co_ci_u32_e64 v9, null, s19, v7, s1
	v_add_co_u32 v10, s1, v4, v2
	v_add_co_ci_u32_e64 v11, null, v5, v3, s1
	v_mov_b32_e32 v2, 0
	v_add_co_u32 v10, s1, s22, v10
	v_mov_b32_e32 v4, 0
	v_mov_b32_e32 v6, 0
	v_mov_b32_e32 v12, 0
	v_lshlrev_b32_e32 v22, 3, v0
	v_lshl_add_u32 v23, v1, 6, 0x800
	v_mov_b32_e32 v3, 0
	v_mov_b32_e32 v5, 0
	;; [unrolled: 1-line block ×4, first 2 shown]
	v_add_co_ci_u32_e64 v11, null, s23, v11, s1
	s_ashr_i32 s7, s6, 31
	s_ashr_i32 s27, s26, 31
	s_lshl_b64 s[6:7], s[6:7], 6
	s_lshl_b64 s[12:13], s[26:27], 6
	s_branch .LBB56_6
.LBB56_5:                               ;   in Loop: Header=BB56_6 Depth=1
	s_or_b32 exec_lo, exec_lo, s1
	s_waitcnt vmcnt(0)
	ds_write_b64 v21, v[16:17]
	s_waitcnt lgkmcnt(0)
	s_barrier
	buffer_gl0_inv
	ds_read_b128 v[14:17], v23
	ds_read2_b64 v[24:27], v22 offset1:16
	ds_read_b128 v[28:31], v23 offset:1024
	ds_read_b128 v[32:35], v23 offset:16
	ds_read2_b64 v[36:39], v22 offset0:32 offset1:48
	ds_read_b128 v[40:43], v23 offset:1040
	v_add_co_u32 v8, s1, v8, s6
	v_add_co_ci_u32_e64 v9, null, s7, v9, s1
	v_add_co_u32 v10, s1, v10, s12
	v_add_co_ci_u32_e64 v11, null, s13, v11, s1
	s_add_i32 s25, s25, 8
	s_cmp_lt_i32 s25, s3
	s_waitcnt lgkmcnt(4)
	v_fma_f64 v[12:13], v[24:25], v[14:15], v[12:13]
	v_fma_f64 v[6:7], v[26:27], v[14:15], v[6:7]
	s_waitcnt lgkmcnt(3)
	v_fma_f64 v[14:15], v[24:25], v[28:29], v[4:5]
	v_fma_f64 v[24:25], v[26:27], v[28:29], v[2:3]
	ds_read2_b64 v[2:5], v22 offset0:64 offset1:80
	s_waitcnt lgkmcnt(2)
	v_fma_f64 v[26:27], v[36:37], v[16:17], v[12:13]
	v_fma_f64 v[6:7], v[38:39], v[16:17], v[6:7]
	;; [unrolled: 1-line block ×4, first 2 shown]
	ds_read2_b64 v[12:15], v22 offset0:96 offset1:112
	s_waitcnt lgkmcnt(1)
	v_fma_f64 v[28:29], v[2:3], v[32:33], v[26:27]
	v_fma_f64 v[6:7], v[4:5], v[32:33], v[6:7]
	;; [unrolled: 1-line block ×4, first 2 shown]
	ds_read_b128 v[2:5], v23 offset:32
	ds_read2_b64 v[24:27], v22 offset0:128 offset1:144
	s_waitcnt lgkmcnt(2)
	v_fma_f64 v[40:41], v[12:13], v[34:35], v[28:29]
	v_fma_f64 v[6:7], v[14:15], v[34:35], v[6:7]
	;; [unrolled: 1-line block ×4, first 2 shown]
	ds_read_b128 v[12:15], v23 offset:1056
	ds_read_b128 v[28:31], v23 offset:48
	ds_read2_b64 v[32:35], v22 offset0:160 offset1:176
	ds_read_b128 v[36:39], v23 offset:1072
	s_waitcnt lgkmcnt(4)
	v_fma_f64 v[40:41], v[24:25], v[2:3], v[40:41]
	v_fma_f64 v[2:3], v[26:27], v[2:3], v[6:7]
	s_waitcnt lgkmcnt(3)
	v_fma_f64 v[6:7], v[24:25], v[12:13], v[16:17]
	v_fma_f64 v[12:13], v[26:27], v[12:13], v[42:43]
	ds_read2_b64 v[24:27], v22 offset0:192 offset1:208
	s_waitcnt lgkmcnt(2)
	v_fma_f64 v[40:41], v[32:33], v[4:5], v[40:41]
	v_fma_f64 v[2:3], v[34:35], v[4:5], v[2:3]
	;; [unrolled: 1-line block ×4, first 2 shown]
	ds_read2_b64 v[14:17], v22 offset0:224 offset1:240
	s_waitcnt lgkmcnt(0)
	s_barrier
	buffer_gl0_inv
	v_fma_f64 v[12:13], v[24:25], v[28:29], v[40:41]
	v_fma_f64 v[2:3], v[26:27], v[28:29], v[2:3]
	;; [unrolled: 1-line block ×8, first 2 shown]
	s_cbranch_scc0 .LBB56_10
.LBB56_6:                               ; =>This Inner Loop Header: Depth=1
	v_add_nc_u32_e32 v14, s25, v19
	v_cmp_gt_i32_e64 s1, s3, v14
	v_mov_b32_e32 v14, 0
	v_mov_b32_e32 v15, 0
	s_and_b32 s18, vcc_lo, s1
	s_and_saveexec_b32 s1, s18
	s_cbranch_execz .LBB56_8
; %bb.7:                                ;   in Loop: Header=BB56_6 Depth=1
	global_load_dwordx2 v[14:15], v[8:9], off
.LBB56_8:                               ;   in Loop: Header=BB56_6 Depth=1
	s_or_b32 exec_lo, exec_lo, s1
	v_add_nc_u32_e32 v16, s25, v18
	s_waitcnt vmcnt(0)
	ds_write_b64 v20, v[14:15]
	v_cmp_gt_i32_e64 s1, s3, v16
	v_mov_b32_e32 v16, 0
	v_mov_b32_e32 v17, 0
	s_and_b32 s18, s1, s0
	s_and_saveexec_b32 s1, s18
	s_cbranch_execz .LBB56_5
; %bb.9:                                ;   in Loop: Header=BB56_6 Depth=1
	global_load_dwordx2 v[16:17], v[10:11], off
	s_branch .LBB56_5
.LBB56_10:
	s_clause 0x1
	s_load_dword s3, s[4:5], 0x50
	s_load_dwordx2 s[4:5], s[4:5], 0x58
	v_cmp_neq_f64_e64 s6, s[14:15], 0
	v_add_nc_u32_e32 v15, s24, v1
	v_add_nc_u32_e32 v0, s9, v0
	v_cmp_gt_i32_e64 s0, s2, v15
	v_cmp_le_i32_e32 vcc_lo, v0, v15
	v_ashrrev_i32_e32 v1, 31, v0
	s_waitcnt lgkmcnt(0)
	v_mad_i64_i32 v[8:9], null, v15, s3, 0
	s_mul_i32 s1, s5, s8
	s_mul_hi_u32 s5, s4, s8
	s_mul_i32 s4, s4, s8
	s_add_i32 s5, s5, s1
	v_cndmask_b32_e64 v14, 0, 1, s6
	s_lshl_b64 s[4:5], s[4:5], 3
	v_lshlrev_b64 v[8:9], 3, v[8:9]
	s_add_u32 s4, s10, s4
	s_addc_u32 s5, s11, s5
	s_and_b32 s7, s0, vcc_lo
	v_add_co_u32 v16, s1, s4, v8
	v_add_co_ci_u32_e64 v17, null, s5, v9, s1
	s_and_saveexec_b32 s1, s7
	s_cbranch_execz .LBB56_14
; %bb.11:
	v_mul_f64 v[8:9], s[16:17], v[12:13]
	v_lshlrev_b64 v[10:11], 3, v[0:1]
	v_add_co_u32 v10, vcc_lo, v16, v10
	v_add_co_ci_u32_e64 v11, null, v17, v11, vcc_lo
	s_andn2_b32 vcc_lo, exec_lo, s6
	s_cbranch_vccnz .LBB56_13
; %bb.12:
	global_load_dwordx2 v[12:13], v[10:11], off
	s_waitcnt vmcnt(0)
	v_fma_f64 v[8:9], s[14:15], v[12:13], v[8:9]
.LBB56_13:
	global_store_dwordx2 v[10:11], v[8:9], off
.LBB56_14:
	s_or_b32 exec_lo, exec_lo, s1
	v_add_nc_u32_e32 v8, 16, v0
	v_cmp_le_i32_e32 vcc_lo, v8, v15
	v_ashrrev_i32_e32 v9, 31, v8
	s_and_b32 s0, s0, vcc_lo
	s_and_saveexec_b32 s1, s0
	s_cbranch_execz .LBB56_18
; %bb.15:
	v_mul_f64 v[6:7], s[16:17], v[6:7]
	v_lshlrev_b64 v[10:11], 3, v[8:9]
	v_cmp_ne_u32_e32 vcc_lo, 1, v14
	v_add_co_u32 v10, s0, v16, v10
	v_add_co_ci_u32_e64 v11, null, v17, v11, s0
	s_cbranch_vccnz .LBB56_17
; %bb.16:
	global_load_dwordx2 v[12:13], v[10:11], off
	s_waitcnt vmcnt(0)
	v_fma_f64 v[6:7], s[14:15], v[12:13], v[6:7]
.LBB56_17:
	global_store_dwordx2 v[10:11], v[6:7], off
.LBB56_18:
	s_or_b32 exec_lo, exec_lo, s1
	v_add_nc_u32_e32 v10, 16, v15
	v_mad_i64_i32 v[6:7], null, v10, s3, 0
	v_cmp_gt_i32_e64 s0, s2, v10
	v_cmp_le_i32_e32 vcc_lo, v0, v10
	v_lshlrev_b64 v[6:7], 3, v[6:7]
	v_add_co_u32 v6, s1, s4, v6
	v_add_co_ci_u32_e64 v7, null, s5, v7, s1
	s_and_b32 s1, s0, vcc_lo
	s_and_saveexec_b32 s2, s1
	s_cbranch_execz .LBB56_22
; %bb.19:
	v_mul_f64 v[4:5], s[16:17], v[4:5]
	v_lshlrev_b64 v[0:1], 3, v[0:1]
	v_cmp_ne_u32_e32 vcc_lo, 1, v14
	v_add_co_u32 v0, s1, v6, v0
	v_add_co_ci_u32_e64 v1, null, v7, v1, s1
	s_cbranch_vccnz .LBB56_21
; %bb.20:
	global_load_dwordx2 v[11:12], v[0:1], off
	s_waitcnt vmcnt(0)
	v_fma_f64 v[4:5], s[14:15], v[11:12], v[4:5]
.LBB56_21:
	global_store_dwordx2 v[0:1], v[4:5], off
.LBB56_22:
	s_or_b32 exec_lo, exec_lo, s2
	v_cmp_le_i32_e32 vcc_lo, v8, v10
	s_and_b32 s0, s0, vcc_lo
	s_and_saveexec_b32 s1, s0
	s_cbranch_execz .LBB56_26
; %bb.23:
	v_mul_f64 v[0:1], s[16:17], v[2:3]
	v_lshlrev_b64 v[2:3], 3, v[8:9]
	v_cmp_ne_u32_e32 vcc_lo, 1, v14
	v_add_co_u32 v2, s0, v6, v2
	v_add_co_ci_u32_e64 v3, null, v7, v3, s0
	s_cbranch_vccnz .LBB56_25
; %bb.24:
	global_load_dwordx2 v[4:5], v[2:3], off
	s_waitcnt vmcnt(0)
	v_fma_f64 v[0:1], s[14:15], v[4:5], v[0:1]
.LBB56_25:
	global_store_dwordx2 v[2:3], v[0:1], off
.LBB56_26:
	s_endpgm
	.section	.rodata,"a",@progbits
	.p2align	6, 0x0
	.amdhsa_kernel _ZL29rocblas_internal_gemmt_kernelIiLi16ELi32ELi8ELc78ELc67ELc85ELb0ELb0EddPKdPdEviT_T9_T10_S3_lS5_S3_lS4_T11_S3_li
		.amdhsa_group_segment_fixed_size 4096
		.amdhsa_private_segment_fixed_size 0
		.amdhsa_kernarg_size 100
		.amdhsa_user_sgpr_count 6
		.amdhsa_user_sgpr_private_segment_buffer 1
		.amdhsa_user_sgpr_dispatch_ptr 0
		.amdhsa_user_sgpr_queue_ptr 0
		.amdhsa_user_sgpr_kernarg_segment_ptr 1
		.amdhsa_user_sgpr_dispatch_id 0
		.amdhsa_user_sgpr_flat_scratch_init 0
		.amdhsa_user_sgpr_private_segment_size 0
		.amdhsa_wavefront_size32 1
		.amdhsa_uses_dynamic_stack 0
		.amdhsa_system_sgpr_private_segment_wavefront_offset 0
		.amdhsa_system_sgpr_workgroup_id_x 1
		.amdhsa_system_sgpr_workgroup_id_y 1
		.amdhsa_system_sgpr_workgroup_id_z 1
		.amdhsa_system_sgpr_workgroup_info 0
		.amdhsa_system_vgpr_workitem_id 1
		.amdhsa_next_free_vgpr 44
		.amdhsa_next_free_sgpr 28
		.amdhsa_reserve_vcc 1
		.amdhsa_reserve_flat_scratch 0
		.amdhsa_float_round_mode_32 0
		.amdhsa_float_round_mode_16_64 0
		.amdhsa_float_denorm_mode_32 3
		.amdhsa_float_denorm_mode_16_64 3
		.amdhsa_dx10_clamp 1
		.amdhsa_ieee_mode 1
		.amdhsa_fp16_overflow 0
		.amdhsa_workgroup_processor_mode 1
		.amdhsa_memory_ordered 1
		.amdhsa_forward_progress 1
		.amdhsa_shared_vgpr_count 0
		.amdhsa_exception_fp_ieee_invalid_op 0
		.amdhsa_exception_fp_denorm_src 0
		.amdhsa_exception_fp_ieee_div_zero 0
		.amdhsa_exception_fp_ieee_overflow 0
		.amdhsa_exception_fp_ieee_underflow 0
		.amdhsa_exception_fp_ieee_inexact 0
		.amdhsa_exception_int_div_zero 0
	.end_amdhsa_kernel
	.section	.text._ZL29rocblas_internal_gemmt_kernelIiLi16ELi32ELi8ELc78ELc67ELc85ELb0ELb0EddPKdPdEviT_T9_T10_S3_lS5_S3_lS4_T11_S3_li,"axG",@progbits,_ZL29rocblas_internal_gemmt_kernelIiLi16ELi32ELi8ELc78ELc67ELc85ELb0ELb0EddPKdPdEviT_T9_T10_S3_lS5_S3_lS4_T11_S3_li,comdat
.Lfunc_end56:
	.size	_ZL29rocblas_internal_gemmt_kernelIiLi16ELi32ELi8ELc78ELc67ELc85ELb0ELb0EddPKdPdEviT_T9_T10_S3_lS5_S3_lS4_T11_S3_li, .Lfunc_end56-_ZL29rocblas_internal_gemmt_kernelIiLi16ELi32ELi8ELc78ELc67ELc85ELb0ELb0EddPKdPdEviT_T9_T10_S3_lS5_S3_lS4_T11_S3_li
                                        ; -- End function
	.set _ZL29rocblas_internal_gemmt_kernelIiLi16ELi32ELi8ELc78ELc67ELc85ELb0ELb0EddPKdPdEviT_T9_T10_S3_lS5_S3_lS4_T11_S3_li.num_vgpr, 44
	.set _ZL29rocblas_internal_gemmt_kernelIiLi16ELi32ELi8ELc78ELc67ELc85ELb0ELb0EddPKdPdEviT_T9_T10_S3_lS5_S3_lS4_T11_S3_li.num_agpr, 0
	.set _ZL29rocblas_internal_gemmt_kernelIiLi16ELi32ELi8ELc78ELc67ELc85ELb0ELb0EddPKdPdEviT_T9_T10_S3_lS5_S3_lS4_T11_S3_li.numbered_sgpr, 28
	.set _ZL29rocblas_internal_gemmt_kernelIiLi16ELi32ELi8ELc78ELc67ELc85ELb0ELb0EddPKdPdEviT_T9_T10_S3_lS5_S3_lS4_T11_S3_li.num_named_barrier, 0
	.set _ZL29rocblas_internal_gemmt_kernelIiLi16ELi32ELi8ELc78ELc67ELc85ELb0ELb0EddPKdPdEviT_T9_T10_S3_lS5_S3_lS4_T11_S3_li.private_seg_size, 0
	.set _ZL29rocblas_internal_gemmt_kernelIiLi16ELi32ELi8ELc78ELc67ELc85ELb0ELb0EddPKdPdEviT_T9_T10_S3_lS5_S3_lS4_T11_S3_li.uses_vcc, 1
	.set _ZL29rocblas_internal_gemmt_kernelIiLi16ELi32ELi8ELc78ELc67ELc85ELb0ELb0EddPKdPdEviT_T9_T10_S3_lS5_S3_lS4_T11_S3_li.uses_flat_scratch, 0
	.set _ZL29rocblas_internal_gemmt_kernelIiLi16ELi32ELi8ELc78ELc67ELc85ELb0ELb0EddPKdPdEviT_T9_T10_S3_lS5_S3_lS4_T11_S3_li.has_dyn_sized_stack, 0
	.set _ZL29rocblas_internal_gemmt_kernelIiLi16ELi32ELi8ELc78ELc67ELc85ELb0ELb0EddPKdPdEviT_T9_T10_S3_lS5_S3_lS4_T11_S3_li.has_recursion, 0
	.set _ZL29rocblas_internal_gemmt_kernelIiLi16ELi32ELi8ELc78ELc67ELc85ELb0ELb0EddPKdPdEviT_T9_T10_S3_lS5_S3_lS4_T11_S3_li.has_indirect_call, 0
	.section	.AMDGPU.csdata,"",@progbits
; Kernel info:
; codeLenInByte = 1660
; TotalNumSgprs: 30
; NumVgprs: 44
; ScratchSize: 0
; MemoryBound: 0
; FloatMode: 240
; IeeeMode: 1
; LDSByteSize: 4096 bytes/workgroup (compile time only)
; SGPRBlocks: 0
; VGPRBlocks: 5
; NumSGPRsForWavesPerEU: 30
; NumVGPRsForWavesPerEU: 44
; Occupancy: 16
; WaveLimiterHint : 0
; COMPUTE_PGM_RSRC2:SCRATCH_EN: 0
; COMPUTE_PGM_RSRC2:USER_SGPR: 6
; COMPUTE_PGM_RSRC2:TRAP_HANDLER: 0
; COMPUTE_PGM_RSRC2:TGID_X_EN: 1
; COMPUTE_PGM_RSRC2:TGID_Y_EN: 1
; COMPUTE_PGM_RSRC2:TGID_Z_EN: 1
; COMPUTE_PGM_RSRC2:TIDIG_COMP_CNT: 1
	.section	.text._ZL29rocblas_internal_gemmt_kernelIiLi16ELi32ELi8ELc84ELc78ELc85ELb0ELb0EddPKdPdEviT_T9_T10_S3_lS5_S3_lS4_T11_S3_li,"axG",@progbits,_ZL29rocblas_internal_gemmt_kernelIiLi16ELi32ELi8ELc84ELc78ELc85ELb0ELb0EddPKdPdEviT_T9_T10_S3_lS5_S3_lS4_T11_S3_li,comdat
	.globl	_ZL29rocblas_internal_gemmt_kernelIiLi16ELi32ELi8ELc84ELc78ELc85ELb0ELb0EddPKdPdEviT_T9_T10_S3_lS5_S3_lS4_T11_S3_li ; -- Begin function _ZL29rocblas_internal_gemmt_kernelIiLi16ELi32ELi8ELc84ELc78ELc85ELb0ELb0EddPKdPdEviT_T9_T10_S3_lS5_S3_lS4_T11_S3_li
	.p2align	8
	.type	_ZL29rocblas_internal_gemmt_kernelIiLi16ELi32ELi8ELc84ELc78ELc85ELb0ELb0EddPKdPdEviT_T9_T10_S3_lS5_S3_lS4_T11_S3_li,@function
_ZL29rocblas_internal_gemmt_kernelIiLi16ELi32ELi8ELc84ELc78ELc85ELb0ELb0EddPKdPdEviT_T9_T10_S3_lS5_S3_lS4_T11_S3_li: ; @_ZL29rocblas_internal_gemmt_kernelIiLi16ELi32ELi8ELc84ELc78ELc85ELb0ELb0EddPKdPdEviT_T9_T10_S3_lS5_S3_lS4_T11_S3_li
; %bb.0:
	s_clause 0x2
	s_load_dwordx4 s[12:15], s[4:5], 0x38
	s_load_dwordx2 s[2:3], s[4:5], 0x0
	s_load_dwordx4 s[16:19], s[4:5], 0x8
	s_waitcnt lgkmcnt(0)
	v_cmp_neq_f64_e64 s0, s[14:15], 1.0
	s_and_b32 vcc_lo, exec_lo, s0
	s_cbranch_vccnz .LBB57_2
; %bb.1:
	v_cmp_neq_f64_e64 s0, s[16:17], 0
	s_cmp_lg_u32 s3, 0
	s_cselect_b32 s1, -1, 0
	s_and_b32 s0, s1, s0
.LBB57_2:
	s_andn2_b32 vcc_lo, exec_lo, s0
	s_cbranch_vccnz .LBB57_26
; %bb.3:
	v_cmp_eq_f64_e64 s0, s[16:17], 0
	s_load_dwordx2 s[10:11], s[4:5], 0x48
	s_lshl_b32 s6, s6, 5
	s_lshl_b32 s7, s7, 5
	s_cmp_lt_i32 s3, 1
	v_mov_b32_e32 v12, 0
	s_cselect_b32 s1, -1, 0
	v_mov_b32_e32 v6, 0
	v_mov_b32_e32 v4, 0
	;; [unrolled: 1-line block ×7, first 2 shown]
	s_mov_b32 s9, 0
	s_or_b32 s0, s0, s1
	s_and_b32 vcc_lo, exec_lo, s0
	s_cbranch_vccnz .LBB57_10
; %bb.4:
	s_load_dword s0, s[4:5], 0x18
	v_lshl_add_u32 v2, v1, 4, v0
	s_clause 0x1
	s_load_dwordx4 s[20:23], s[4:5], 0x20
	s_load_dword s1, s[4:5], 0x30
	v_and_b32_e32 v18, 7, v0
	v_mov_b32_e32 v12, 0
	v_lshlrev_b32_e32 v19, 3, v0
	v_and_b32_e32 v4, 31, v2
	v_lshrrev_b32_e32 v3, 3, v2
	v_lshrrev_b32_e32 v21, 5, v2
	v_lshlrev_b32_e32 v6, 3, v18
	v_lshl_add_u32 v20, v1, 6, 0x800
	v_add_nc_u32_e32 v2, s6, v4
	v_add_nc_u32_e32 v5, s7, v3
	v_or_b32_e32 v7, s6, v4
	v_lshl_or_b32 v8, v3, 6, v6
	v_lshlrev_b32_e32 v4, 3, v4
	v_lshlrev_b32_e32 v9, 3, v21
	v_mov_b32_e32 v13, 0
	v_cmp_gt_i32_e32 vcc_lo, s2, v7
	v_add_nc_u32_e32 v23, 0x800, v8
	s_waitcnt lgkmcnt(0)
	v_mad_i64_i32 v[2:3], null, s0, v2, 0
	v_lshl_or_b32 v22, v21, 8, v4
	v_cmp_gt_i32_e64 s0, s2, v5
	s_mul_i32 s21, s21, s8
	s_mul_hi_u32 s24, s20, s8
	v_mad_i64_i32 v[4:5], null, s1, v5, 0
	v_lshlrev_b64 v[2:3], 3, v[2:3]
	s_mul_i32 s20, s20, s8
	s_add_i32 s21, s24, s21
	s_lshl_b64 s[20:21], s[20:21], 3
	v_add_co_u32 v7, s1, v2, s20
	v_add_co_ci_u32_e64 v8, null, s21, v3, s1
	s_mul_i32 s1, s13, s8
	s_mul_hi_u32 s13, s12, s8
	v_lshlrev_b64 v[2:3], 3, v[4:5]
	s_add_i32 s13, s13, s1
	s_mul_i32 s12, s12, s8
	v_add_co_u32 v4, s1, v7, v9
	s_lshl_b64 s[12:13], s[12:13], 3
	v_add_co_ci_u32_e64 v5, null, 0, v8, s1
	v_add_co_u32 v2, s1, v2, s12
	v_add_co_ci_u32_e64 v3, null, s13, v3, s1
	v_add_co_u32 v8, s1, s18, v4
	;; [unrolled: 2-line block ×3, first 2 shown]
	v_add_co_ci_u32_e64 v11, null, 0, v3, s1
	v_mov_b32_e32 v2, 0
	v_add_co_u32 v10, s1, s22, v10
	v_mov_b32_e32 v4, 0
	v_mov_b32_e32 v6, 0
	v_mov_b32_e32 v3, 0
	v_mov_b32_e32 v5, 0
	v_mov_b32_e32 v7, 0
	v_add_co_ci_u32_e64 v11, null, s23, v11, s1
	s_branch .LBB57_6
.LBB57_5:                               ;   in Loop: Header=BB57_6 Depth=1
	s_or_b32 exec_lo, exec_lo, s1
	s_waitcnt vmcnt(0)
	ds_write_b64 v23, v[16:17]
	s_waitcnt lgkmcnt(0)
	s_barrier
	buffer_gl0_inv
	ds_read_b128 v[14:17], v20
	ds_read2_b64 v[24:27], v19 offset1:16
	ds_read_b128 v[28:31], v20 offset:1024
	ds_read_b128 v[32:35], v20 offset:16
	ds_read2_b64 v[36:39], v19 offset0:32 offset1:48
	ds_read_b128 v[40:43], v20 offset:1040
	v_add_co_u32 v8, s1, v8, 64
	v_add_co_ci_u32_e64 v9, null, 0, v9, s1
	v_add_co_u32 v10, s1, v10, 64
	v_add_co_ci_u32_e64 v11, null, 0, v11, s1
	s_add_i32 s9, s9, 8
	s_cmp_lt_i32 s9, s3
	s_waitcnt lgkmcnt(4)
	v_fma_f64 v[12:13], v[24:25], v[14:15], v[12:13]
	v_fma_f64 v[6:7], v[26:27], v[14:15], v[6:7]
	s_waitcnt lgkmcnt(3)
	v_fma_f64 v[14:15], v[24:25], v[28:29], v[4:5]
	v_fma_f64 v[24:25], v[26:27], v[28:29], v[2:3]
	ds_read2_b64 v[2:5], v19 offset0:64 offset1:80
	s_waitcnt lgkmcnt(2)
	v_fma_f64 v[26:27], v[36:37], v[16:17], v[12:13]
	v_fma_f64 v[6:7], v[38:39], v[16:17], v[6:7]
	;; [unrolled: 1-line block ×4, first 2 shown]
	ds_read2_b64 v[12:15], v19 offset0:96 offset1:112
	s_waitcnt lgkmcnt(1)
	v_fma_f64 v[28:29], v[2:3], v[32:33], v[26:27]
	v_fma_f64 v[6:7], v[4:5], v[32:33], v[6:7]
	;; [unrolled: 1-line block ×4, first 2 shown]
	ds_read_b128 v[2:5], v20 offset:32
	ds_read2_b64 v[24:27], v19 offset0:128 offset1:144
	s_waitcnt lgkmcnt(2)
	v_fma_f64 v[40:41], v[12:13], v[34:35], v[28:29]
	v_fma_f64 v[6:7], v[14:15], v[34:35], v[6:7]
	v_fma_f64 v[16:17], v[12:13], v[42:43], v[16:17]
	v_fma_f64 v[42:43], v[14:15], v[42:43], v[30:31]
	ds_read_b128 v[12:15], v20 offset:1056
	ds_read_b128 v[28:31], v20 offset:48
	ds_read2_b64 v[32:35], v19 offset0:160 offset1:176
	ds_read_b128 v[36:39], v20 offset:1072
	s_waitcnt lgkmcnt(4)
	v_fma_f64 v[40:41], v[24:25], v[2:3], v[40:41]
	v_fma_f64 v[2:3], v[26:27], v[2:3], v[6:7]
	s_waitcnt lgkmcnt(3)
	v_fma_f64 v[6:7], v[24:25], v[12:13], v[16:17]
	v_fma_f64 v[12:13], v[26:27], v[12:13], v[42:43]
	ds_read2_b64 v[24:27], v19 offset0:192 offset1:208
	s_waitcnt lgkmcnt(2)
	v_fma_f64 v[40:41], v[32:33], v[4:5], v[40:41]
	v_fma_f64 v[2:3], v[34:35], v[4:5], v[2:3]
	;; [unrolled: 1-line block ×4, first 2 shown]
	ds_read2_b64 v[14:17], v19 offset0:224 offset1:240
	s_waitcnt lgkmcnt(0)
	s_barrier
	buffer_gl0_inv
	v_fma_f64 v[12:13], v[24:25], v[28:29], v[40:41]
	v_fma_f64 v[2:3], v[26:27], v[28:29], v[2:3]
	;; [unrolled: 1-line block ×8, first 2 shown]
	s_cbranch_scc0 .LBB57_10
.LBB57_6:                               ; =>This Inner Loop Header: Depth=1
	v_add_nc_u32_e32 v14, s9, v21
	v_cmp_gt_i32_e64 s1, s3, v14
	v_mov_b32_e32 v14, 0
	v_mov_b32_e32 v15, 0
	s_and_b32 s12, vcc_lo, s1
	s_and_saveexec_b32 s1, s12
	s_cbranch_execz .LBB57_8
; %bb.7:                                ;   in Loop: Header=BB57_6 Depth=1
	global_load_dwordx2 v[14:15], v[8:9], off
.LBB57_8:                               ;   in Loop: Header=BB57_6 Depth=1
	s_or_b32 exec_lo, exec_lo, s1
	v_add_nc_u32_e32 v16, s9, v18
	s_waitcnt vmcnt(0)
	ds_write_b64 v22, v[14:15]
	v_cmp_gt_i32_e64 s1, s3, v16
	v_mov_b32_e32 v16, 0
	v_mov_b32_e32 v17, 0
	s_and_b32 s12, s1, s0
	s_and_saveexec_b32 s1, s12
	s_cbranch_execz .LBB57_5
; %bb.9:                                ;   in Loop: Header=BB57_6 Depth=1
	global_load_dwordx2 v[16:17], v[10:11], off
	s_branch .LBB57_5
.LBB57_10:
	s_clause 0x1
	s_load_dword s3, s[4:5], 0x50
	s_load_dwordx2 s[4:5], s[4:5], 0x58
	v_add_nc_u32_e32 v0, s6, v0
	v_cmp_neq_f64_e64 s6, s[14:15], 0
	v_add_nc_u32_e32 v15, s7, v1
	v_ashrrev_i32_e32 v1, 31, v0
	v_cmp_gt_i32_e64 s0, s2, v15
	v_cmp_le_i32_e32 vcc_lo, v0, v15
	s_waitcnt lgkmcnt(0)
	v_mad_i64_i32 v[8:9], null, v15, s3, 0
	s_mul_i32 s1, s5, s8
	s_mul_hi_u32 s5, s4, s8
	s_mul_i32 s4, s4, s8
	s_add_i32 s5, s5, s1
	v_cndmask_b32_e64 v14, 0, 1, s6
	s_lshl_b64 s[4:5], s[4:5], 3
	v_lshlrev_b64 v[8:9], 3, v[8:9]
	s_add_u32 s4, s10, s4
	s_addc_u32 s5, s11, s5
	s_and_b32 s7, s0, vcc_lo
	v_add_co_u32 v16, s1, s4, v8
	v_add_co_ci_u32_e64 v17, null, s5, v9, s1
	s_and_saveexec_b32 s1, s7
	s_cbranch_execz .LBB57_14
; %bb.11:
	v_mul_f64 v[8:9], s[16:17], v[12:13]
	v_lshlrev_b64 v[10:11], 3, v[0:1]
	v_add_co_u32 v10, vcc_lo, v16, v10
	v_add_co_ci_u32_e64 v11, null, v17, v11, vcc_lo
	s_andn2_b32 vcc_lo, exec_lo, s6
	s_cbranch_vccnz .LBB57_13
; %bb.12:
	global_load_dwordx2 v[12:13], v[10:11], off
	s_waitcnt vmcnt(0)
	v_fma_f64 v[8:9], s[14:15], v[12:13], v[8:9]
.LBB57_13:
	global_store_dwordx2 v[10:11], v[8:9], off
.LBB57_14:
	s_or_b32 exec_lo, exec_lo, s1
	v_add_nc_u32_e32 v8, 16, v0
	v_cmp_le_i32_e32 vcc_lo, v8, v15
	v_ashrrev_i32_e32 v9, 31, v8
	s_and_b32 s0, s0, vcc_lo
	s_and_saveexec_b32 s1, s0
	s_cbranch_execz .LBB57_18
; %bb.15:
	v_mul_f64 v[6:7], s[16:17], v[6:7]
	v_lshlrev_b64 v[10:11], 3, v[8:9]
	v_cmp_ne_u32_e32 vcc_lo, 1, v14
	v_add_co_u32 v10, s0, v16, v10
	v_add_co_ci_u32_e64 v11, null, v17, v11, s0
	s_cbranch_vccnz .LBB57_17
; %bb.16:
	global_load_dwordx2 v[12:13], v[10:11], off
	s_waitcnt vmcnt(0)
	v_fma_f64 v[6:7], s[14:15], v[12:13], v[6:7]
.LBB57_17:
	global_store_dwordx2 v[10:11], v[6:7], off
.LBB57_18:
	s_or_b32 exec_lo, exec_lo, s1
	v_add_nc_u32_e32 v10, 16, v15
	v_mad_i64_i32 v[6:7], null, v10, s3, 0
	v_cmp_gt_i32_e64 s0, s2, v10
	v_cmp_le_i32_e32 vcc_lo, v0, v10
	v_lshlrev_b64 v[6:7], 3, v[6:7]
	v_add_co_u32 v6, s1, s4, v6
	v_add_co_ci_u32_e64 v7, null, s5, v7, s1
	s_and_b32 s1, s0, vcc_lo
	s_and_saveexec_b32 s2, s1
	s_cbranch_execz .LBB57_22
; %bb.19:
	v_mul_f64 v[4:5], s[16:17], v[4:5]
	v_lshlrev_b64 v[0:1], 3, v[0:1]
	v_cmp_ne_u32_e32 vcc_lo, 1, v14
	v_add_co_u32 v0, s1, v6, v0
	v_add_co_ci_u32_e64 v1, null, v7, v1, s1
	s_cbranch_vccnz .LBB57_21
; %bb.20:
	global_load_dwordx2 v[11:12], v[0:1], off
	s_waitcnt vmcnt(0)
	v_fma_f64 v[4:5], s[14:15], v[11:12], v[4:5]
.LBB57_21:
	global_store_dwordx2 v[0:1], v[4:5], off
.LBB57_22:
	s_or_b32 exec_lo, exec_lo, s2
	v_cmp_le_i32_e32 vcc_lo, v8, v10
	s_and_b32 s0, s0, vcc_lo
	s_and_saveexec_b32 s1, s0
	s_cbranch_execz .LBB57_26
; %bb.23:
	v_mul_f64 v[0:1], s[16:17], v[2:3]
	v_lshlrev_b64 v[2:3], 3, v[8:9]
	v_cmp_ne_u32_e32 vcc_lo, 1, v14
	v_add_co_u32 v2, s0, v6, v2
	v_add_co_ci_u32_e64 v3, null, v7, v3, s0
	s_cbranch_vccnz .LBB57_25
; %bb.24:
	global_load_dwordx2 v[4:5], v[2:3], off
	s_waitcnt vmcnt(0)
	v_fma_f64 v[0:1], s[14:15], v[4:5], v[0:1]
.LBB57_25:
	global_store_dwordx2 v[2:3], v[0:1], off
.LBB57_26:
	s_endpgm
	.section	.rodata,"a",@progbits
	.p2align	6, 0x0
	.amdhsa_kernel _ZL29rocblas_internal_gemmt_kernelIiLi16ELi32ELi8ELc84ELc78ELc85ELb0ELb0EddPKdPdEviT_T9_T10_S3_lS5_S3_lS4_T11_S3_li
		.amdhsa_group_segment_fixed_size 4096
		.amdhsa_private_segment_fixed_size 0
		.amdhsa_kernarg_size 100
		.amdhsa_user_sgpr_count 6
		.amdhsa_user_sgpr_private_segment_buffer 1
		.amdhsa_user_sgpr_dispatch_ptr 0
		.amdhsa_user_sgpr_queue_ptr 0
		.amdhsa_user_sgpr_kernarg_segment_ptr 1
		.amdhsa_user_sgpr_dispatch_id 0
		.amdhsa_user_sgpr_flat_scratch_init 0
		.amdhsa_user_sgpr_private_segment_size 0
		.amdhsa_wavefront_size32 1
		.amdhsa_uses_dynamic_stack 0
		.amdhsa_system_sgpr_private_segment_wavefront_offset 0
		.amdhsa_system_sgpr_workgroup_id_x 1
		.amdhsa_system_sgpr_workgroup_id_y 1
		.amdhsa_system_sgpr_workgroup_id_z 1
		.amdhsa_system_sgpr_workgroup_info 0
		.amdhsa_system_vgpr_workitem_id 1
		.amdhsa_next_free_vgpr 44
		.amdhsa_next_free_sgpr 25
		.amdhsa_reserve_vcc 1
		.amdhsa_reserve_flat_scratch 0
		.amdhsa_float_round_mode_32 0
		.amdhsa_float_round_mode_16_64 0
		.amdhsa_float_denorm_mode_32 3
		.amdhsa_float_denorm_mode_16_64 3
		.amdhsa_dx10_clamp 1
		.amdhsa_ieee_mode 1
		.amdhsa_fp16_overflow 0
		.amdhsa_workgroup_processor_mode 1
		.amdhsa_memory_ordered 1
		.amdhsa_forward_progress 1
		.amdhsa_shared_vgpr_count 0
		.amdhsa_exception_fp_ieee_invalid_op 0
		.amdhsa_exception_fp_denorm_src 0
		.amdhsa_exception_fp_ieee_div_zero 0
		.amdhsa_exception_fp_ieee_overflow 0
		.amdhsa_exception_fp_ieee_underflow 0
		.amdhsa_exception_fp_ieee_inexact 0
		.amdhsa_exception_int_div_zero 0
	.end_amdhsa_kernel
	.section	.text._ZL29rocblas_internal_gemmt_kernelIiLi16ELi32ELi8ELc84ELc78ELc85ELb0ELb0EddPKdPdEviT_T9_T10_S3_lS5_S3_lS4_T11_S3_li,"axG",@progbits,_ZL29rocblas_internal_gemmt_kernelIiLi16ELi32ELi8ELc84ELc78ELc85ELb0ELb0EddPKdPdEviT_T9_T10_S3_lS5_S3_lS4_T11_S3_li,comdat
.Lfunc_end57:
	.size	_ZL29rocblas_internal_gemmt_kernelIiLi16ELi32ELi8ELc84ELc78ELc85ELb0ELb0EddPKdPdEviT_T9_T10_S3_lS5_S3_lS4_T11_S3_li, .Lfunc_end57-_ZL29rocblas_internal_gemmt_kernelIiLi16ELi32ELi8ELc84ELc78ELc85ELb0ELb0EddPKdPdEviT_T9_T10_S3_lS5_S3_lS4_T11_S3_li
                                        ; -- End function
	.set _ZL29rocblas_internal_gemmt_kernelIiLi16ELi32ELi8ELc84ELc78ELc85ELb0ELb0EddPKdPdEviT_T9_T10_S3_lS5_S3_lS4_T11_S3_li.num_vgpr, 44
	.set _ZL29rocblas_internal_gemmt_kernelIiLi16ELi32ELi8ELc84ELc78ELc85ELb0ELb0EddPKdPdEviT_T9_T10_S3_lS5_S3_lS4_T11_S3_li.num_agpr, 0
	.set _ZL29rocblas_internal_gemmt_kernelIiLi16ELi32ELi8ELc84ELc78ELc85ELb0ELb0EddPKdPdEviT_T9_T10_S3_lS5_S3_lS4_T11_S3_li.numbered_sgpr, 25
	.set _ZL29rocblas_internal_gemmt_kernelIiLi16ELi32ELi8ELc84ELc78ELc85ELb0ELb0EddPKdPdEviT_T9_T10_S3_lS5_S3_lS4_T11_S3_li.num_named_barrier, 0
	.set _ZL29rocblas_internal_gemmt_kernelIiLi16ELi32ELi8ELc84ELc78ELc85ELb0ELb0EddPKdPdEviT_T9_T10_S3_lS5_S3_lS4_T11_S3_li.private_seg_size, 0
	.set _ZL29rocblas_internal_gemmt_kernelIiLi16ELi32ELi8ELc84ELc78ELc85ELb0ELb0EddPKdPdEviT_T9_T10_S3_lS5_S3_lS4_T11_S3_li.uses_vcc, 1
	.set _ZL29rocblas_internal_gemmt_kernelIiLi16ELi32ELi8ELc84ELc78ELc85ELb0ELb0EddPKdPdEviT_T9_T10_S3_lS5_S3_lS4_T11_S3_li.uses_flat_scratch, 0
	.set _ZL29rocblas_internal_gemmt_kernelIiLi16ELi32ELi8ELc84ELc78ELc85ELb0ELb0EddPKdPdEviT_T9_T10_S3_lS5_S3_lS4_T11_S3_li.has_dyn_sized_stack, 0
	.set _ZL29rocblas_internal_gemmt_kernelIiLi16ELi32ELi8ELc84ELc78ELc85ELb0ELb0EddPKdPdEviT_T9_T10_S3_lS5_S3_lS4_T11_S3_li.has_recursion, 0
	.set _ZL29rocblas_internal_gemmt_kernelIiLi16ELi32ELi8ELc84ELc78ELc85ELb0ELb0EddPKdPdEviT_T9_T10_S3_lS5_S3_lS4_T11_S3_li.has_indirect_call, 0
	.section	.AMDGPU.csdata,"",@progbits
; Kernel info:
; codeLenInByte = 1624
; TotalNumSgprs: 27
; NumVgprs: 44
; ScratchSize: 0
; MemoryBound: 0
; FloatMode: 240
; IeeeMode: 1
; LDSByteSize: 4096 bytes/workgroup (compile time only)
; SGPRBlocks: 0
; VGPRBlocks: 5
; NumSGPRsForWavesPerEU: 27
; NumVGPRsForWavesPerEU: 44
; Occupancy: 16
; WaveLimiterHint : 0
; COMPUTE_PGM_RSRC2:SCRATCH_EN: 0
; COMPUTE_PGM_RSRC2:USER_SGPR: 6
; COMPUTE_PGM_RSRC2:TRAP_HANDLER: 0
; COMPUTE_PGM_RSRC2:TGID_X_EN: 1
; COMPUTE_PGM_RSRC2:TGID_Y_EN: 1
; COMPUTE_PGM_RSRC2:TGID_Z_EN: 1
; COMPUTE_PGM_RSRC2:TIDIG_COMP_CNT: 1
	.section	.text._ZL29rocblas_internal_gemmt_kernelIiLi16ELi32ELi8ELc84ELc84ELc85ELb0ELb0EddPKdPdEviT_T9_T10_S3_lS5_S3_lS4_T11_S3_li,"axG",@progbits,_ZL29rocblas_internal_gemmt_kernelIiLi16ELi32ELi8ELc84ELc84ELc85ELb0ELb0EddPKdPdEviT_T9_T10_S3_lS5_S3_lS4_T11_S3_li,comdat
	.globl	_ZL29rocblas_internal_gemmt_kernelIiLi16ELi32ELi8ELc84ELc84ELc85ELb0ELb0EddPKdPdEviT_T9_T10_S3_lS5_S3_lS4_T11_S3_li ; -- Begin function _ZL29rocblas_internal_gemmt_kernelIiLi16ELi32ELi8ELc84ELc84ELc85ELb0ELb0EddPKdPdEviT_T9_T10_S3_lS5_S3_lS4_T11_S3_li
	.p2align	8
	.type	_ZL29rocblas_internal_gemmt_kernelIiLi16ELi32ELi8ELc84ELc84ELc85ELb0ELb0EddPKdPdEviT_T9_T10_S3_lS5_S3_lS4_T11_S3_li,@function
_ZL29rocblas_internal_gemmt_kernelIiLi16ELi32ELi8ELc84ELc84ELc85ELb0ELb0EddPKdPdEviT_T9_T10_S3_lS5_S3_lS4_T11_S3_li: ; @_ZL29rocblas_internal_gemmt_kernelIiLi16ELi32ELi8ELc84ELc84ELc85ELb0ELb0EddPKdPdEviT_T9_T10_S3_lS5_S3_lS4_T11_S3_li
; %bb.0:
	s_clause 0x2
	s_load_dwordx4 s[12:15], s[4:5], 0x38
	s_load_dwordx2 s[2:3], s[4:5], 0x0
	s_load_dwordx4 s[16:19], s[4:5], 0x8
	s_waitcnt lgkmcnt(0)
	v_cmp_neq_f64_e64 s0, s[14:15], 1.0
	s_and_b32 vcc_lo, exec_lo, s0
	s_cbranch_vccnz .LBB58_2
; %bb.1:
	v_cmp_neq_f64_e64 s0, s[16:17], 0
	s_cmp_lg_u32 s3, 0
	s_cselect_b32 s1, -1, 0
	s_and_b32 s0, s1, s0
.LBB58_2:
	s_andn2_b32 vcc_lo, exec_lo, s0
	s_cbranch_vccnz .LBB58_26
; %bb.3:
	v_cmp_eq_f64_e64 s0, s[16:17], 0
	s_load_dwordx2 s[10:11], s[4:5], 0x48
	s_lshl_b32 s9, s6, 5
	s_lshl_b32 s24, s7, 5
	s_cmp_lt_i32 s3, 1
	v_mov_b32_e32 v12, 0
	s_cselect_b32 s1, -1, 0
	v_mov_b32_e32 v6, 0
	v_mov_b32_e32 v4, 0
	v_mov_b32_e32 v2, 0
	v_mov_b32_e32 v13, 0
	v_mov_b32_e32 v7, 0
	v_mov_b32_e32 v5, 0
	v_mov_b32_e32 v3, 0
	s_mov_b32 s25, 0
	s_or_b32 s0, s0, s1
	s_and_b32 vcc_lo, exec_lo, s0
	s_cbranch_vccnz .LBB58_10
; %bb.4:
	s_load_dword s0, s[4:5], 0x18
	v_lshl_add_u32 v2, v1, 4, v0
	s_clause 0x1
	s_load_dwordx4 s[20:23], s[4:5], 0x20
	s_load_dword s6, s[4:5], 0x30
	v_and_b32_e32 v18, 7, v0
	v_mov_b32_e32 v12, 0
	v_lshlrev_b32_e32 v19, 3, v0
	v_and_b32_e32 v3, 31, v2
	v_lshrrev_b32_e32 v4, 3, v2
	v_lshlrev_b32_e32 v5, 3, v18
	v_lshrrev_b32_e32 v21, 5, v2
	v_lshl_add_u32 v20, v1, 6, 0x800
	v_add_nc_u32_e32 v7, s9, v3
	v_add_nc_u32_e32 v2, s24, v4
	v_lshl_or_b32 v8, v4, 6, v5
	v_or_b32_e32 v6, s9, v3
	v_lshlrev_b32_e32 v3, 3, v3
	v_lshlrev_b32_e32 v10, 3, v21
	v_mov_b32_e32 v13, 0
	v_add_nc_u32_e32 v23, 0x800, v8
	v_cmp_gt_i32_e32 vcc_lo, s2, v6
	s_waitcnt lgkmcnt(0)
	v_mad_i64_i32 v[4:5], null, s0, v7, 0
	s_mul_i32 s1, s21, s8
	s_mul_hi_u32 s7, s20, s8
	v_mad_i64_i32 v[6:7], null, s6, v18, 0
	s_mul_i32 s20, s20, s8
	s_add_i32 s21, s7, s1
	v_lshlrev_b64 v[4:5], 3, v[4:5]
	s_lshl_b64 s[20:21], s[20:21], 3
	v_lshl_or_b32 v22, v21, 8, v3
	v_ashrrev_i32_e32 v3, 31, v2
	s_mul_hi_u32 s7, s12, s8
	s_mul_i32 s12, s12, s8
	v_add_co_u32 v8, s1, v4, s20
	v_add_co_ci_u32_e64 v9, null, s21, v5, s1
	s_mul_i32 s1, s13, s8
	v_lshlrev_b64 v[4:5], 3, v[6:7]
	s_add_i32 s13, s7, s1
	v_add_co_u32 v6, s1, v8, v10
	s_lshl_b64 s[12:13], s[12:13], 3
	v_cmp_gt_i32_e64 s0, s2, v2
	v_lshlrev_b64 v[2:3], 3, v[2:3]
	v_add_co_ci_u32_e64 v7, null, 0, v9, s1
	v_add_co_u32 v4, s1, s12, v4
	v_add_co_ci_u32_e64 v5, null, s13, v5, s1
	v_add_co_u32 v8, s1, s18, v6
	;; [unrolled: 2-line block ×3, first 2 shown]
	v_add_co_ci_u32_e64 v11, null, v5, v3, s1
	v_mov_b32_e32 v2, 0
	v_add_co_u32 v10, s1, s22, v10
	v_mov_b32_e32 v4, 0
	v_mov_b32_e32 v6, 0
	;; [unrolled: 1-line block ×5, first 2 shown]
	v_add_co_ci_u32_e64 v11, null, s23, v11, s1
	s_ashr_i32 s7, s6, 31
	s_lshl_b64 s[6:7], s[6:7], 6
	s_branch .LBB58_6
.LBB58_5:                               ;   in Loop: Header=BB58_6 Depth=1
	s_or_b32 exec_lo, exec_lo, s1
	s_waitcnt vmcnt(0)
	ds_write_b64 v23, v[16:17]
	s_waitcnt lgkmcnt(0)
	s_barrier
	buffer_gl0_inv
	ds_read_b128 v[14:17], v20
	ds_read2_b64 v[24:27], v19 offset1:16
	ds_read_b128 v[28:31], v20 offset:1024
	ds_read_b128 v[32:35], v20 offset:16
	ds_read2_b64 v[36:39], v19 offset0:32 offset1:48
	ds_read_b128 v[40:43], v20 offset:1040
	v_add_co_u32 v8, s1, v8, 64
	v_add_co_ci_u32_e64 v9, null, 0, v9, s1
	v_add_co_u32 v10, s1, v10, s6
	v_add_co_ci_u32_e64 v11, null, s7, v11, s1
	s_add_i32 s25, s25, 8
	s_cmp_lt_i32 s25, s3
	s_waitcnt lgkmcnt(4)
	v_fma_f64 v[12:13], v[24:25], v[14:15], v[12:13]
	v_fma_f64 v[6:7], v[26:27], v[14:15], v[6:7]
	s_waitcnt lgkmcnt(3)
	v_fma_f64 v[14:15], v[24:25], v[28:29], v[4:5]
	v_fma_f64 v[24:25], v[26:27], v[28:29], v[2:3]
	ds_read2_b64 v[2:5], v19 offset0:64 offset1:80
	s_waitcnt lgkmcnt(2)
	v_fma_f64 v[26:27], v[36:37], v[16:17], v[12:13]
	v_fma_f64 v[6:7], v[38:39], v[16:17], v[6:7]
	;; [unrolled: 1-line block ×4, first 2 shown]
	ds_read2_b64 v[12:15], v19 offset0:96 offset1:112
	s_waitcnt lgkmcnt(1)
	v_fma_f64 v[28:29], v[2:3], v[32:33], v[26:27]
	v_fma_f64 v[6:7], v[4:5], v[32:33], v[6:7]
	;; [unrolled: 1-line block ×4, first 2 shown]
	ds_read_b128 v[2:5], v20 offset:32
	ds_read2_b64 v[24:27], v19 offset0:128 offset1:144
	s_waitcnt lgkmcnt(2)
	v_fma_f64 v[40:41], v[12:13], v[34:35], v[28:29]
	v_fma_f64 v[6:7], v[14:15], v[34:35], v[6:7]
	;; [unrolled: 1-line block ×4, first 2 shown]
	ds_read_b128 v[12:15], v20 offset:1056
	ds_read_b128 v[28:31], v20 offset:48
	ds_read2_b64 v[32:35], v19 offset0:160 offset1:176
	ds_read_b128 v[36:39], v20 offset:1072
	s_waitcnt lgkmcnt(4)
	v_fma_f64 v[40:41], v[24:25], v[2:3], v[40:41]
	v_fma_f64 v[2:3], v[26:27], v[2:3], v[6:7]
	s_waitcnt lgkmcnt(3)
	v_fma_f64 v[6:7], v[24:25], v[12:13], v[16:17]
	v_fma_f64 v[12:13], v[26:27], v[12:13], v[42:43]
	ds_read2_b64 v[24:27], v19 offset0:192 offset1:208
	s_waitcnt lgkmcnt(2)
	v_fma_f64 v[40:41], v[32:33], v[4:5], v[40:41]
	v_fma_f64 v[2:3], v[34:35], v[4:5], v[2:3]
	;; [unrolled: 1-line block ×4, first 2 shown]
	ds_read2_b64 v[14:17], v19 offset0:224 offset1:240
	s_waitcnt lgkmcnt(0)
	s_barrier
	buffer_gl0_inv
	v_fma_f64 v[12:13], v[24:25], v[28:29], v[40:41]
	v_fma_f64 v[2:3], v[26:27], v[28:29], v[2:3]
	;; [unrolled: 1-line block ×8, first 2 shown]
	s_cbranch_scc0 .LBB58_10
.LBB58_6:                               ; =>This Inner Loop Header: Depth=1
	v_add_nc_u32_e32 v14, s25, v21
	v_cmp_gt_i32_e64 s1, s3, v14
	v_mov_b32_e32 v14, 0
	v_mov_b32_e32 v15, 0
	s_and_b32 s12, vcc_lo, s1
	s_and_saveexec_b32 s1, s12
	s_cbranch_execz .LBB58_8
; %bb.7:                                ;   in Loop: Header=BB58_6 Depth=1
	global_load_dwordx2 v[14:15], v[8:9], off
.LBB58_8:                               ;   in Loop: Header=BB58_6 Depth=1
	s_or_b32 exec_lo, exec_lo, s1
	v_add_nc_u32_e32 v16, s25, v18
	s_waitcnt vmcnt(0)
	ds_write_b64 v22, v[14:15]
	v_cmp_gt_i32_e64 s1, s3, v16
	v_mov_b32_e32 v16, 0
	v_mov_b32_e32 v17, 0
	s_and_b32 s12, s1, s0
	s_and_saveexec_b32 s1, s12
	s_cbranch_execz .LBB58_5
; %bb.9:                                ;   in Loop: Header=BB58_6 Depth=1
	global_load_dwordx2 v[16:17], v[10:11], off
	s_branch .LBB58_5
.LBB58_10:
	s_clause 0x1
	s_load_dword s3, s[4:5], 0x50
	s_load_dwordx2 s[4:5], s[4:5], 0x58
	v_cmp_neq_f64_e64 s6, s[14:15], 0
	v_add_nc_u32_e32 v15, s24, v1
	v_add_nc_u32_e32 v0, s9, v0
	v_cmp_gt_i32_e64 s0, s2, v15
	v_cmp_le_i32_e32 vcc_lo, v0, v15
	v_ashrrev_i32_e32 v1, 31, v0
	s_waitcnt lgkmcnt(0)
	v_mad_i64_i32 v[8:9], null, v15, s3, 0
	s_mul_i32 s1, s5, s8
	s_mul_hi_u32 s5, s4, s8
	s_mul_i32 s4, s4, s8
	s_add_i32 s5, s5, s1
	v_cndmask_b32_e64 v14, 0, 1, s6
	s_lshl_b64 s[4:5], s[4:5], 3
	v_lshlrev_b64 v[8:9], 3, v[8:9]
	s_add_u32 s4, s10, s4
	s_addc_u32 s5, s11, s5
	s_and_b32 s7, s0, vcc_lo
	v_add_co_u32 v16, s1, s4, v8
	v_add_co_ci_u32_e64 v17, null, s5, v9, s1
	s_and_saveexec_b32 s1, s7
	s_cbranch_execz .LBB58_14
; %bb.11:
	v_mul_f64 v[8:9], s[16:17], v[12:13]
	v_lshlrev_b64 v[10:11], 3, v[0:1]
	v_add_co_u32 v10, vcc_lo, v16, v10
	v_add_co_ci_u32_e64 v11, null, v17, v11, vcc_lo
	s_andn2_b32 vcc_lo, exec_lo, s6
	s_cbranch_vccnz .LBB58_13
; %bb.12:
	global_load_dwordx2 v[12:13], v[10:11], off
	s_waitcnt vmcnt(0)
	v_fma_f64 v[8:9], s[14:15], v[12:13], v[8:9]
.LBB58_13:
	global_store_dwordx2 v[10:11], v[8:9], off
.LBB58_14:
	s_or_b32 exec_lo, exec_lo, s1
	v_add_nc_u32_e32 v8, 16, v0
	v_cmp_le_i32_e32 vcc_lo, v8, v15
	v_ashrrev_i32_e32 v9, 31, v8
	s_and_b32 s0, s0, vcc_lo
	s_and_saveexec_b32 s1, s0
	s_cbranch_execz .LBB58_18
; %bb.15:
	v_mul_f64 v[6:7], s[16:17], v[6:7]
	v_lshlrev_b64 v[10:11], 3, v[8:9]
	v_cmp_ne_u32_e32 vcc_lo, 1, v14
	v_add_co_u32 v10, s0, v16, v10
	v_add_co_ci_u32_e64 v11, null, v17, v11, s0
	s_cbranch_vccnz .LBB58_17
; %bb.16:
	global_load_dwordx2 v[12:13], v[10:11], off
	s_waitcnt vmcnt(0)
	v_fma_f64 v[6:7], s[14:15], v[12:13], v[6:7]
.LBB58_17:
	global_store_dwordx2 v[10:11], v[6:7], off
.LBB58_18:
	s_or_b32 exec_lo, exec_lo, s1
	v_add_nc_u32_e32 v10, 16, v15
	v_mad_i64_i32 v[6:7], null, v10, s3, 0
	v_cmp_gt_i32_e64 s0, s2, v10
	v_cmp_le_i32_e32 vcc_lo, v0, v10
	v_lshlrev_b64 v[6:7], 3, v[6:7]
	v_add_co_u32 v6, s1, s4, v6
	v_add_co_ci_u32_e64 v7, null, s5, v7, s1
	s_and_b32 s1, s0, vcc_lo
	s_and_saveexec_b32 s2, s1
	s_cbranch_execz .LBB58_22
; %bb.19:
	v_mul_f64 v[4:5], s[16:17], v[4:5]
	v_lshlrev_b64 v[0:1], 3, v[0:1]
	v_cmp_ne_u32_e32 vcc_lo, 1, v14
	v_add_co_u32 v0, s1, v6, v0
	v_add_co_ci_u32_e64 v1, null, v7, v1, s1
	s_cbranch_vccnz .LBB58_21
; %bb.20:
	global_load_dwordx2 v[11:12], v[0:1], off
	s_waitcnt vmcnt(0)
	v_fma_f64 v[4:5], s[14:15], v[11:12], v[4:5]
.LBB58_21:
	global_store_dwordx2 v[0:1], v[4:5], off
.LBB58_22:
	s_or_b32 exec_lo, exec_lo, s2
	v_cmp_le_i32_e32 vcc_lo, v8, v10
	s_and_b32 s0, s0, vcc_lo
	s_and_saveexec_b32 s1, s0
	s_cbranch_execz .LBB58_26
; %bb.23:
	v_mul_f64 v[0:1], s[16:17], v[2:3]
	v_lshlrev_b64 v[2:3], 3, v[8:9]
	v_cmp_ne_u32_e32 vcc_lo, 1, v14
	v_add_co_u32 v2, s0, v6, v2
	v_add_co_ci_u32_e64 v3, null, v7, v3, s0
	s_cbranch_vccnz .LBB58_25
; %bb.24:
	global_load_dwordx2 v[4:5], v[2:3], off
	s_waitcnt vmcnt(0)
	v_fma_f64 v[0:1], s[14:15], v[4:5], v[0:1]
.LBB58_25:
	global_store_dwordx2 v[2:3], v[0:1], off
.LBB58_26:
	s_endpgm
	.section	.rodata,"a",@progbits
	.p2align	6, 0x0
	.amdhsa_kernel _ZL29rocblas_internal_gemmt_kernelIiLi16ELi32ELi8ELc84ELc84ELc85ELb0ELb0EddPKdPdEviT_T9_T10_S3_lS5_S3_lS4_T11_S3_li
		.amdhsa_group_segment_fixed_size 4096
		.amdhsa_private_segment_fixed_size 0
		.amdhsa_kernarg_size 100
		.amdhsa_user_sgpr_count 6
		.amdhsa_user_sgpr_private_segment_buffer 1
		.amdhsa_user_sgpr_dispatch_ptr 0
		.amdhsa_user_sgpr_queue_ptr 0
		.amdhsa_user_sgpr_kernarg_segment_ptr 1
		.amdhsa_user_sgpr_dispatch_id 0
		.amdhsa_user_sgpr_flat_scratch_init 0
		.amdhsa_user_sgpr_private_segment_size 0
		.amdhsa_wavefront_size32 1
		.amdhsa_uses_dynamic_stack 0
		.amdhsa_system_sgpr_private_segment_wavefront_offset 0
		.amdhsa_system_sgpr_workgroup_id_x 1
		.amdhsa_system_sgpr_workgroup_id_y 1
		.amdhsa_system_sgpr_workgroup_id_z 1
		.amdhsa_system_sgpr_workgroup_info 0
		.amdhsa_system_vgpr_workitem_id 1
		.amdhsa_next_free_vgpr 44
		.amdhsa_next_free_sgpr 26
		.amdhsa_reserve_vcc 1
		.amdhsa_reserve_flat_scratch 0
		.amdhsa_float_round_mode_32 0
		.amdhsa_float_round_mode_16_64 0
		.amdhsa_float_denorm_mode_32 3
		.amdhsa_float_denorm_mode_16_64 3
		.amdhsa_dx10_clamp 1
		.amdhsa_ieee_mode 1
		.amdhsa_fp16_overflow 0
		.amdhsa_workgroup_processor_mode 1
		.amdhsa_memory_ordered 1
		.amdhsa_forward_progress 1
		.amdhsa_shared_vgpr_count 0
		.amdhsa_exception_fp_ieee_invalid_op 0
		.amdhsa_exception_fp_denorm_src 0
		.amdhsa_exception_fp_ieee_div_zero 0
		.amdhsa_exception_fp_ieee_overflow 0
		.amdhsa_exception_fp_ieee_underflow 0
		.amdhsa_exception_fp_ieee_inexact 0
		.amdhsa_exception_int_div_zero 0
	.end_amdhsa_kernel
	.section	.text._ZL29rocblas_internal_gemmt_kernelIiLi16ELi32ELi8ELc84ELc84ELc85ELb0ELb0EddPKdPdEviT_T9_T10_S3_lS5_S3_lS4_T11_S3_li,"axG",@progbits,_ZL29rocblas_internal_gemmt_kernelIiLi16ELi32ELi8ELc84ELc84ELc85ELb0ELb0EddPKdPdEviT_T9_T10_S3_lS5_S3_lS4_T11_S3_li,comdat
.Lfunc_end58:
	.size	_ZL29rocblas_internal_gemmt_kernelIiLi16ELi32ELi8ELc84ELc84ELc85ELb0ELb0EddPKdPdEviT_T9_T10_S3_lS5_S3_lS4_T11_S3_li, .Lfunc_end58-_ZL29rocblas_internal_gemmt_kernelIiLi16ELi32ELi8ELc84ELc84ELc85ELb0ELb0EddPKdPdEviT_T9_T10_S3_lS5_S3_lS4_T11_S3_li
                                        ; -- End function
	.set _ZL29rocblas_internal_gemmt_kernelIiLi16ELi32ELi8ELc84ELc84ELc85ELb0ELb0EddPKdPdEviT_T9_T10_S3_lS5_S3_lS4_T11_S3_li.num_vgpr, 44
	.set _ZL29rocblas_internal_gemmt_kernelIiLi16ELi32ELi8ELc84ELc84ELc85ELb0ELb0EddPKdPdEviT_T9_T10_S3_lS5_S3_lS4_T11_S3_li.num_agpr, 0
	.set _ZL29rocblas_internal_gemmt_kernelIiLi16ELi32ELi8ELc84ELc84ELc85ELb0ELb0EddPKdPdEviT_T9_T10_S3_lS5_S3_lS4_T11_S3_li.numbered_sgpr, 26
	.set _ZL29rocblas_internal_gemmt_kernelIiLi16ELi32ELi8ELc84ELc84ELc85ELb0ELb0EddPKdPdEviT_T9_T10_S3_lS5_S3_lS4_T11_S3_li.num_named_barrier, 0
	.set _ZL29rocblas_internal_gemmt_kernelIiLi16ELi32ELi8ELc84ELc84ELc85ELb0ELb0EddPKdPdEviT_T9_T10_S3_lS5_S3_lS4_T11_S3_li.private_seg_size, 0
	.set _ZL29rocblas_internal_gemmt_kernelIiLi16ELi32ELi8ELc84ELc84ELc85ELb0ELb0EddPKdPdEviT_T9_T10_S3_lS5_S3_lS4_T11_S3_li.uses_vcc, 1
	.set _ZL29rocblas_internal_gemmt_kernelIiLi16ELi32ELi8ELc84ELc84ELc85ELb0ELb0EddPKdPdEviT_T9_T10_S3_lS5_S3_lS4_T11_S3_li.uses_flat_scratch, 0
	.set _ZL29rocblas_internal_gemmt_kernelIiLi16ELi32ELi8ELc84ELc84ELc85ELb0ELb0EddPKdPdEviT_T9_T10_S3_lS5_S3_lS4_T11_S3_li.has_dyn_sized_stack, 0
	.set _ZL29rocblas_internal_gemmt_kernelIiLi16ELi32ELi8ELc84ELc84ELc85ELb0ELb0EddPKdPdEviT_T9_T10_S3_lS5_S3_lS4_T11_S3_li.has_recursion, 0
	.set _ZL29rocblas_internal_gemmt_kernelIiLi16ELi32ELi8ELc84ELc84ELc85ELb0ELb0EddPKdPdEviT_T9_T10_S3_lS5_S3_lS4_T11_S3_li.has_indirect_call, 0
	.section	.AMDGPU.csdata,"",@progbits
; Kernel info:
; codeLenInByte = 1644
; TotalNumSgprs: 28
; NumVgprs: 44
; ScratchSize: 0
; MemoryBound: 0
; FloatMode: 240
; IeeeMode: 1
; LDSByteSize: 4096 bytes/workgroup (compile time only)
; SGPRBlocks: 0
; VGPRBlocks: 5
; NumSGPRsForWavesPerEU: 28
; NumVGPRsForWavesPerEU: 44
; Occupancy: 16
; WaveLimiterHint : 0
; COMPUTE_PGM_RSRC2:SCRATCH_EN: 0
; COMPUTE_PGM_RSRC2:USER_SGPR: 6
; COMPUTE_PGM_RSRC2:TRAP_HANDLER: 0
; COMPUTE_PGM_RSRC2:TGID_X_EN: 1
; COMPUTE_PGM_RSRC2:TGID_Y_EN: 1
; COMPUTE_PGM_RSRC2:TGID_Z_EN: 1
; COMPUTE_PGM_RSRC2:TIDIG_COMP_CNT: 1
	.section	.text._ZL29rocblas_internal_gemmt_kernelIiLi16ELi32ELi8ELc84ELc67ELc85ELb0ELb0EddPKdPdEviT_T9_T10_S3_lS5_S3_lS4_T11_S3_li,"axG",@progbits,_ZL29rocblas_internal_gemmt_kernelIiLi16ELi32ELi8ELc84ELc67ELc85ELb0ELb0EddPKdPdEviT_T9_T10_S3_lS5_S3_lS4_T11_S3_li,comdat
	.globl	_ZL29rocblas_internal_gemmt_kernelIiLi16ELi32ELi8ELc84ELc67ELc85ELb0ELb0EddPKdPdEviT_T9_T10_S3_lS5_S3_lS4_T11_S3_li ; -- Begin function _ZL29rocblas_internal_gemmt_kernelIiLi16ELi32ELi8ELc84ELc67ELc85ELb0ELb0EddPKdPdEviT_T9_T10_S3_lS5_S3_lS4_T11_S3_li
	.p2align	8
	.type	_ZL29rocblas_internal_gemmt_kernelIiLi16ELi32ELi8ELc84ELc67ELc85ELb0ELb0EddPKdPdEviT_T9_T10_S3_lS5_S3_lS4_T11_S3_li,@function
_ZL29rocblas_internal_gemmt_kernelIiLi16ELi32ELi8ELc84ELc67ELc85ELb0ELb0EddPKdPdEviT_T9_T10_S3_lS5_S3_lS4_T11_S3_li: ; @_ZL29rocblas_internal_gemmt_kernelIiLi16ELi32ELi8ELc84ELc67ELc85ELb0ELb0EddPKdPdEviT_T9_T10_S3_lS5_S3_lS4_T11_S3_li
; %bb.0:
	s_clause 0x2
	s_load_dwordx4 s[12:15], s[4:5], 0x38
	s_load_dwordx2 s[2:3], s[4:5], 0x0
	s_load_dwordx4 s[16:19], s[4:5], 0x8
	s_waitcnt lgkmcnt(0)
	v_cmp_neq_f64_e64 s0, s[14:15], 1.0
	s_and_b32 vcc_lo, exec_lo, s0
	s_cbranch_vccnz .LBB59_2
; %bb.1:
	v_cmp_neq_f64_e64 s0, s[16:17], 0
	s_cmp_lg_u32 s3, 0
	s_cselect_b32 s1, -1, 0
	s_and_b32 s0, s1, s0
.LBB59_2:
	s_andn2_b32 vcc_lo, exec_lo, s0
	s_cbranch_vccnz .LBB59_26
; %bb.3:
	v_cmp_eq_f64_e64 s0, s[16:17], 0
	s_load_dwordx2 s[10:11], s[4:5], 0x48
	s_lshl_b32 s9, s6, 5
	s_lshl_b32 s24, s7, 5
	s_cmp_lt_i32 s3, 1
	v_mov_b32_e32 v12, 0
	s_cselect_b32 s1, -1, 0
	v_mov_b32_e32 v6, 0
	v_mov_b32_e32 v4, 0
	;; [unrolled: 1-line block ×7, first 2 shown]
	s_mov_b32 s25, 0
	s_or_b32 s0, s0, s1
	s_and_b32 vcc_lo, exec_lo, s0
	s_cbranch_vccnz .LBB59_10
; %bb.4:
	s_load_dword s0, s[4:5], 0x18
	v_lshl_add_u32 v2, v1, 4, v0
	s_clause 0x1
	s_load_dwordx4 s[20:23], s[4:5], 0x20
	s_load_dword s6, s[4:5], 0x30
	v_and_b32_e32 v18, 7, v0
	v_mov_b32_e32 v12, 0
	v_lshlrev_b32_e32 v19, 3, v0
	v_and_b32_e32 v3, 31, v2
	v_lshrrev_b32_e32 v4, 3, v2
	v_lshlrev_b32_e32 v5, 3, v18
	v_lshrrev_b32_e32 v21, 5, v2
	v_lshl_add_u32 v20, v1, 6, 0x800
	v_add_nc_u32_e32 v7, s9, v3
	v_add_nc_u32_e32 v2, s24, v4
	v_lshl_or_b32 v8, v4, 6, v5
	v_or_b32_e32 v6, s9, v3
	v_lshlrev_b32_e32 v3, 3, v3
	v_lshlrev_b32_e32 v10, 3, v21
	v_mov_b32_e32 v13, 0
	v_add_nc_u32_e32 v23, 0x800, v8
	v_cmp_gt_i32_e32 vcc_lo, s2, v6
	s_waitcnt lgkmcnt(0)
	v_mad_i64_i32 v[4:5], null, s0, v7, 0
	s_mul_i32 s1, s21, s8
	s_mul_hi_u32 s7, s20, s8
	v_mad_i64_i32 v[6:7], null, s6, v18, 0
	s_mul_i32 s20, s20, s8
	s_add_i32 s21, s7, s1
	v_lshlrev_b64 v[4:5], 3, v[4:5]
	s_lshl_b64 s[20:21], s[20:21], 3
	v_lshl_or_b32 v22, v21, 8, v3
	v_ashrrev_i32_e32 v3, 31, v2
	s_mul_hi_u32 s7, s12, s8
	s_mul_i32 s12, s12, s8
	v_add_co_u32 v8, s1, v4, s20
	v_add_co_ci_u32_e64 v9, null, s21, v5, s1
	s_mul_i32 s1, s13, s8
	v_lshlrev_b64 v[4:5], 3, v[6:7]
	s_add_i32 s13, s7, s1
	v_add_co_u32 v6, s1, v8, v10
	s_lshl_b64 s[12:13], s[12:13], 3
	v_cmp_gt_i32_e64 s0, s2, v2
	v_lshlrev_b64 v[2:3], 3, v[2:3]
	v_add_co_ci_u32_e64 v7, null, 0, v9, s1
	v_add_co_u32 v4, s1, s12, v4
	v_add_co_ci_u32_e64 v5, null, s13, v5, s1
	v_add_co_u32 v8, s1, s18, v6
	;; [unrolled: 2-line block ×3, first 2 shown]
	v_add_co_ci_u32_e64 v11, null, v5, v3, s1
	v_mov_b32_e32 v2, 0
	v_add_co_u32 v10, s1, s22, v10
	v_mov_b32_e32 v4, 0
	v_mov_b32_e32 v6, 0
	;; [unrolled: 1-line block ×5, first 2 shown]
	v_add_co_ci_u32_e64 v11, null, s23, v11, s1
	s_ashr_i32 s7, s6, 31
	s_lshl_b64 s[6:7], s[6:7], 6
	s_branch .LBB59_6
.LBB59_5:                               ;   in Loop: Header=BB59_6 Depth=1
	s_or_b32 exec_lo, exec_lo, s1
	s_waitcnt vmcnt(0)
	ds_write_b64 v23, v[16:17]
	s_waitcnt lgkmcnt(0)
	s_barrier
	buffer_gl0_inv
	ds_read_b128 v[14:17], v20
	ds_read2_b64 v[24:27], v19 offset1:16
	ds_read_b128 v[28:31], v20 offset:1024
	ds_read_b128 v[32:35], v20 offset:16
	ds_read2_b64 v[36:39], v19 offset0:32 offset1:48
	ds_read_b128 v[40:43], v20 offset:1040
	v_add_co_u32 v8, s1, v8, 64
	v_add_co_ci_u32_e64 v9, null, 0, v9, s1
	v_add_co_u32 v10, s1, v10, s6
	v_add_co_ci_u32_e64 v11, null, s7, v11, s1
	s_add_i32 s25, s25, 8
	s_cmp_lt_i32 s25, s3
	s_waitcnt lgkmcnt(4)
	v_fma_f64 v[12:13], v[24:25], v[14:15], v[12:13]
	v_fma_f64 v[6:7], v[26:27], v[14:15], v[6:7]
	s_waitcnt lgkmcnt(3)
	v_fma_f64 v[14:15], v[24:25], v[28:29], v[4:5]
	v_fma_f64 v[24:25], v[26:27], v[28:29], v[2:3]
	ds_read2_b64 v[2:5], v19 offset0:64 offset1:80
	s_waitcnt lgkmcnt(2)
	v_fma_f64 v[26:27], v[36:37], v[16:17], v[12:13]
	v_fma_f64 v[6:7], v[38:39], v[16:17], v[6:7]
	;; [unrolled: 1-line block ×4, first 2 shown]
	ds_read2_b64 v[12:15], v19 offset0:96 offset1:112
	s_waitcnt lgkmcnt(1)
	v_fma_f64 v[28:29], v[2:3], v[32:33], v[26:27]
	v_fma_f64 v[6:7], v[4:5], v[32:33], v[6:7]
	;; [unrolled: 1-line block ×4, first 2 shown]
	ds_read_b128 v[2:5], v20 offset:32
	ds_read2_b64 v[24:27], v19 offset0:128 offset1:144
	s_waitcnt lgkmcnt(2)
	v_fma_f64 v[40:41], v[12:13], v[34:35], v[28:29]
	v_fma_f64 v[6:7], v[14:15], v[34:35], v[6:7]
	;; [unrolled: 1-line block ×4, first 2 shown]
	ds_read_b128 v[12:15], v20 offset:1056
	ds_read_b128 v[28:31], v20 offset:48
	ds_read2_b64 v[32:35], v19 offset0:160 offset1:176
	ds_read_b128 v[36:39], v20 offset:1072
	s_waitcnt lgkmcnt(4)
	v_fma_f64 v[40:41], v[24:25], v[2:3], v[40:41]
	v_fma_f64 v[2:3], v[26:27], v[2:3], v[6:7]
	s_waitcnt lgkmcnt(3)
	v_fma_f64 v[6:7], v[24:25], v[12:13], v[16:17]
	v_fma_f64 v[12:13], v[26:27], v[12:13], v[42:43]
	ds_read2_b64 v[24:27], v19 offset0:192 offset1:208
	s_waitcnt lgkmcnt(2)
	v_fma_f64 v[40:41], v[32:33], v[4:5], v[40:41]
	v_fma_f64 v[2:3], v[34:35], v[4:5], v[2:3]
	;; [unrolled: 1-line block ×4, first 2 shown]
	ds_read2_b64 v[14:17], v19 offset0:224 offset1:240
	s_waitcnt lgkmcnt(0)
	s_barrier
	buffer_gl0_inv
	v_fma_f64 v[12:13], v[24:25], v[28:29], v[40:41]
	v_fma_f64 v[2:3], v[26:27], v[28:29], v[2:3]
	;; [unrolled: 1-line block ×8, first 2 shown]
	s_cbranch_scc0 .LBB59_10
.LBB59_6:                               ; =>This Inner Loop Header: Depth=1
	v_add_nc_u32_e32 v14, s25, v21
	v_cmp_gt_i32_e64 s1, s3, v14
	v_mov_b32_e32 v14, 0
	v_mov_b32_e32 v15, 0
	s_and_b32 s12, vcc_lo, s1
	s_and_saveexec_b32 s1, s12
	s_cbranch_execz .LBB59_8
; %bb.7:                                ;   in Loop: Header=BB59_6 Depth=1
	global_load_dwordx2 v[14:15], v[8:9], off
.LBB59_8:                               ;   in Loop: Header=BB59_6 Depth=1
	s_or_b32 exec_lo, exec_lo, s1
	v_add_nc_u32_e32 v16, s25, v18
	s_waitcnt vmcnt(0)
	ds_write_b64 v22, v[14:15]
	v_cmp_gt_i32_e64 s1, s3, v16
	v_mov_b32_e32 v16, 0
	v_mov_b32_e32 v17, 0
	s_and_b32 s12, s1, s0
	s_and_saveexec_b32 s1, s12
	s_cbranch_execz .LBB59_5
; %bb.9:                                ;   in Loop: Header=BB59_6 Depth=1
	global_load_dwordx2 v[16:17], v[10:11], off
	s_branch .LBB59_5
.LBB59_10:
	s_clause 0x1
	s_load_dword s3, s[4:5], 0x50
	s_load_dwordx2 s[4:5], s[4:5], 0x58
	v_cmp_neq_f64_e64 s6, s[14:15], 0
	v_add_nc_u32_e32 v15, s24, v1
	v_add_nc_u32_e32 v0, s9, v0
	v_cmp_gt_i32_e64 s0, s2, v15
	v_cmp_le_i32_e32 vcc_lo, v0, v15
	v_ashrrev_i32_e32 v1, 31, v0
	s_waitcnt lgkmcnt(0)
	v_mad_i64_i32 v[8:9], null, v15, s3, 0
	s_mul_i32 s1, s5, s8
	s_mul_hi_u32 s5, s4, s8
	s_mul_i32 s4, s4, s8
	s_add_i32 s5, s5, s1
	v_cndmask_b32_e64 v14, 0, 1, s6
	s_lshl_b64 s[4:5], s[4:5], 3
	v_lshlrev_b64 v[8:9], 3, v[8:9]
	s_add_u32 s4, s10, s4
	s_addc_u32 s5, s11, s5
	s_and_b32 s7, s0, vcc_lo
	v_add_co_u32 v16, s1, s4, v8
	v_add_co_ci_u32_e64 v17, null, s5, v9, s1
	s_and_saveexec_b32 s1, s7
	s_cbranch_execz .LBB59_14
; %bb.11:
	v_mul_f64 v[8:9], s[16:17], v[12:13]
	v_lshlrev_b64 v[10:11], 3, v[0:1]
	v_add_co_u32 v10, vcc_lo, v16, v10
	v_add_co_ci_u32_e64 v11, null, v17, v11, vcc_lo
	s_andn2_b32 vcc_lo, exec_lo, s6
	s_cbranch_vccnz .LBB59_13
; %bb.12:
	global_load_dwordx2 v[12:13], v[10:11], off
	s_waitcnt vmcnt(0)
	v_fma_f64 v[8:9], s[14:15], v[12:13], v[8:9]
.LBB59_13:
	global_store_dwordx2 v[10:11], v[8:9], off
.LBB59_14:
	s_or_b32 exec_lo, exec_lo, s1
	v_add_nc_u32_e32 v8, 16, v0
	v_cmp_le_i32_e32 vcc_lo, v8, v15
	v_ashrrev_i32_e32 v9, 31, v8
	s_and_b32 s0, s0, vcc_lo
	s_and_saveexec_b32 s1, s0
	s_cbranch_execz .LBB59_18
; %bb.15:
	v_mul_f64 v[6:7], s[16:17], v[6:7]
	v_lshlrev_b64 v[10:11], 3, v[8:9]
	v_cmp_ne_u32_e32 vcc_lo, 1, v14
	v_add_co_u32 v10, s0, v16, v10
	v_add_co_ci_u32_e64 v11, null, v17, v11, s0
	s_cbranch_vccnz .LBB59_17
; %bb.16:
	global_load_dwordx2 v[12:13], v[10:11], off
	s_waitcnt vmcnt(0)
	v_fma_f64 v[6:7], s[14:15], v[12:13], v[6:7]
.LBB59_17:
	global_store_dwordx2 v[10:11], v[6:7], off
.LBB59_18:
	s_or_b32 exec_lo, exec_lo, s1
	v_add_nc_u32_e32 v10, 16, v15
	v_mad_i64_i32 v[6:7], null, v10, s3, 0
	v_cmp_gt_i32_e64 s0, s2, v10
	v_cmp_le_i32_e32 vcc_lo, v0, v10
	v_lshlrev_b64 v[6:7], 3, v[6:7]
	v_add_co_u32 v6, s1, s4, v6
	v_add_co_ci_u32_e64 v7, null, s5, v7, s1
	s_and_b32 s1, s0, vcc_lo
	s_and_saveexec_b32 s2, s1
	s_cbranch_execz .LBB59_22
; %bb.19:
	v_mul_f64 v[4:5], s[16:17], v[4:5]
	v_lshlrev_b64 v[0:1], 3, v[0:1]
	v_cmp_ne_u32_e32 vcc_lo, 1, v14
	v_add_co_u32 v0, s1, v6, v0
	v_add_co_ci_u32_e64 v1, null, v7, v1, s1
	s_cbranch_vccnz .LBB59_21
; %bb.20:
	global_load_dwordx2 v[11:12], v[0:1], off
	s_waitcnt vmcnt(0)
	v_fma_f64 v[4:5], s[14:15], v[11:12], v[4:5]
.LBB59_21:
	global_store_dwordx2 v[0:1], v[4:5], off
.LBB59_22:
	s_or_b32 exec_lo, exec_lo, s2
	v_cmp_le_i32_e32 vcc_lo, v8, v10
	s_and_b32 s0, s0, vcc_lo
	s_and_saveexec_b32 s1, s0
	s_cbranch_execz .LBB59_26
; %bb.23:
	v_mul_f64 v[0:1], s[16:17], v[2:3]
	v_lshlrev_b64 v[2:3], 3, v[8:9]
	v_cmp_ne_u32_e32 vcc_lo, 1, v14
	v_add_co_u32 v2, s0, v6, v2
	v_add_co_ci_u32_e64 v3, null, v7, v3, s0
	s_cbranch_vccnz .LBB59_25
; %bb.24:
	global_load_dwordx2 v[4:5], v[2:3], off
	s_waitcnt vmcnt(0)
	v_fma_f64 v[0:1], s[14:15], v[4:5], v[0:1]
.LBB59_25:
	global_store_dwordx2 v[2:3], v[0:1], off
.LBB59_26:
	s_endpgm
	.section	.rodata,"a",@progbits
	.p2align	6, 0x0
	.amdhsa_kernel _ZL29rocblas_internal_gemmt_kernelIiLi16ELi32ELi8ELc84ELc67ELc85ELb0ELb0EddPKdPdEviT_T9_T10_S3_lS5_S3_lS4_T11_S3_li
		.amdhsa_group_segment_fixed_size 4096
		.amdhsa_private_segment_fixed_size 0
		.amdhsa_kernarg_size 100
		.amdhsa_user_sgpr_count 6
		.amdhsa_user_sgpr_private_segment_buffer 1
		.amdhsa_user_sgpr_dispatch_ptr 0
		.amdhsa_user_sgpr_queue_ptr 0
		.amdhsa_user_sgpr_kernarg_segment_ptr 1
		.amdhsa_user_sgpr_dispatch_id 0
		.amdhsa_user_sgpr_flat_scratch_init 0
		.amdhsa_user_sgpr_private_segment_size 0
		.amdhsa_wavefront_size32 1
		.amdhsa_uses_dynamic_stack 0
		.amdhsa_system_sgpr_private_segment_wavefront_offset 0
		.amdhsa_system_sgpr_workgroup_id_x 1
		.amdhsa_system_sgpr_workgroup_id_y 1
		.amdhsa_system_sgpr_workgroup_id_z 1
		.amdhsa_system_sgpr_workgroup_info 0
		.amdhsa_system_vgpr_workitem_id 1
		.amdhsa_next_free_vgpr 44
		.amdhsa_next_free_sgpr 26
		.amdhsa_reserve_vcc 1
		.amdhsa_reserve_flat_scratch 0
		.amdhsa_float_round_mode_32 0
		.amdhsa_float_round_mode_16_64 0
		.amdhsa_float_denorm_mode_32 3
		.amdhsa_float_denorm_mode_16_64 3
		.amdhsa_dx10_clamp 1
		.amdhsa_ieee_mode 1
		.amdhsa_fp16_overflow 0
		.amdhsa_workgroup_processor_mode 1
		.amdhsa_memory_ordered 1
		.amdhsa_forward_progress 1
		.amdhsa_shared_vgpr_count 0
		.amdhsa_exception_fp_ieee_invalid_op 0
		.amdhsa_exception_fp_denorm_src 0
		.amdhsa_exception_fp_ieee_div_zero 0
		.amdhsa_exception_fp_ieee_overflow 0
		.amdhsa_exception_fp_ieee_underflow 0
		.amdhsa_exception_fp_ieee_inexact 0
		.amdhsa_exception_int_div_zero 0
	.end_amdhsa_kernel
	.section	.text._ZL29rocblas_internal_gemmt_kernelIiLi16ELi32ELi8ELc84ELc67ELc85ELb0ELb0EddPKdPdEviT_T9_T10_S3_lS5_S3_lS4_T11_S3_li,"axG",@progbits,_ZL29rocblas_internal_gemmt_kernelIiLi16ELi32ELi8ELc84ELc67ELc85ELb0ELb0EddPKdPdEviT_T9_T10_S3_lS5_S3_lS4_T11_S3_li,comdat
.Lfunc_end59:
	.size	_ZL29rocblas_internal_gemmt_kernelIiLi16ELi32ELi8ELc84ELc67ELc85ELb0ELb0EddPKdPdEviT_T9_T10_S3_lS5_S3_lS4_T11_S3_li, .Lfunc_end59-_ZL29rocblas_internal_gemmt_kernelIiLi16ELi32ELi8ELc84ELc67ELc85ELb0ELb0EddPKdPdEviT_T9_T10_S3_lS5_S3_lS4_T11_S3_li
                                        ; -- End function
	.set _ZL29rocblas_internal_gemmt_kernelIiLi16ELi32ELi8ELc84ELc67ELc85ELb0ELb0EddPKdPdEviT_T9_T10_S3_lS5_S3_lS4_T11_S3_li.num_vgpr, 44
	.set _ZL29rocblas_internal_gemmt_kernelIiLi16ELi32ELi8ELc84ELc67ELc85ELb0ELb0EddPKdPdEviT_T9_T10_S3_lS5_S3_lS4_T11_S3_li.num_agpr, 0
	.set _ZL29rocblas_internal_gemmt_kernelIiLi16ELi32ELi8ELc84ELc67ELc85ELb0ELb0EddPKdPdEviT_T9_T10_S3_lS5_S3_lS4_T11_S3_li.numbered_sgpr, 26
	.set _ZL29rocblas_internal_gemmt_kernelIiLi16ELi32ELi8ELc84ELc67ELc85ELb0ELb0EddPKdPdEviT_T9_T10_S3_lS5_S3_lS4_T11_S3_li.num_named_barrier, 0
	.set _ZL29rocblas_internal_gemmt_kernelIiLi16ELi32ELi8ELc84ELc67ELc85ELb0ELb0EddPKdPdEviT_T9_T10_S3_lS5_S3_lS4_T11_S3_li.private_seg_size, 0
	.set _ZL29rocblas_internal_gemmt_kernelIiLi16ELi32ELi8ELc84ELc67ELc85ELb0ELb0EddPKdPdEviT_T9_T10_S3_lS5_S3_lS4_T11_S3_li.uses_vcc, 1
	.set _ZL29rocblas_internal_gemmt_kernelIiLi16ELi32ELi8ELc84ELc67ELc85ELb0ELb0EddPKdPdEviT_T9_T10_S3_lS5_S3_lS4_T11_S3_li.uses_flat_scratch, 0
	.set _ZL29rocblas_internal_gemmt_kernelIiLi16ELi32ELi8ELc84ELc67ELc85ELb0ELb0EddPKdPdEviT_T9_T10_S3_lS5_S3_lS4_T11_S3_li.has_dyn_sized_stack, 0
	.set _ZL29rocblas_internal_gemmt_kernelIiLi16ELi32ELi8ELc84ELc67ELc85ELb0ELb0EddPKdPdEviT_T9_T10_S3_lS5_S3_lS4_T11_S3_li.has_recursion, 0
	.set _ZL29rocblas_internal_gemmt_kernelIiLi16ELi32ELi8ELc84ELc67ELc85ELb0ELb0EddPKdPdEviT_T9_T10_S3_lS5_S3_lS4_T11_S3_li.has_indirect_call, 0
	.section	.AMDGPU.csdata,"",@progbits
; Kernel info:
; codeLenInByte = 1644
; TotalNumSgprs: 28
; NumVgprs: 44
; ScratchSize: 0
; MemoryBound: 0
; FloatMode: 240
; IeeeMode: 1
; LDSByteSize: 4096 bytes/workgroup (compile time only)
; SGPRBlocks: 0
; VGPRBlocks: 5
; NumSGPRsForWavesPerEU: 28
; NumVGPRsForWavesPerEU: 44
; Occupancy: 16
; WaveLimiterHint : 0
; COMPUTE_PGM_RSRC2:SCRATCH_EN: 0
; COMPUTE_PGM_RSRC2:USER_SGPR: 6
; COMPUTE_PGM_RSRC2:TRAP_HANDLER: 0
; COMPUTE_PGM_RSRC2:TGID_X_EN: 1
; COMPUTE_PGM_RSRC2:TGID_Y_EN: 1
; COMPUTE_PGM_RSRC2:TGID_Z_EN: 1
; COMPUTE_PGM_RSRC2:TIDIG_COMP_CNT: 1
	.section	.text._ZL29rocblas_internal_gemmt_kernelIiLi16ELi32ELi8ELc67ELc78ELc85ELb0ELb0EddPKdPdEviT_T9_T10_S3_lS5_S3_lS4_T11_S3_li,"axG",@progbits,_ZL29rocblas_internal_gemmt_kernelIiLi16ELi32ELi8ELc67ELc78ELc85ELb0ELb0EddPKdPdEviT_T9_T10_S3_lS5_S3_lS4_T11_S3_li,comdat
	.globl	_ZL29rocblas_internal_gemmt_kernelIiLi16ELi32ELi8ELc67ELc78ELc85ELb0ELb0EddPKdPdEviT_T9_T10_S3_lS5_S3_lS4_T11_S3_li ; -- Begin function _ZL29rocblas_internal_gemmt_kernelIiLi16ELi32ELi8ELc67ELc78ELc85ELb0ELb0EddPKdPdEviT_T9_T10_S3_lS5_S3_lS4_T11_S3_li
	.p2align	8
	.type	_ZL29rocblas_internal_gemmt_kernelIiLi16ELi32ELi8ELc67ELc78ELc85ELb0ELb0EddPKdPdEviT_T9_T10_S3_lS5_S3_lS4_T11_S3_li,@function
_ZL29rocblas_internal_gemmt_kernelIiLi16ELi32ELi8ELc67ELc78ELc85ELb0ELb0EddPKdPdEviT_T9_T10_S3_lS5_S3_lS4_T11_S3_li: ; @_ZL29rocblas_internal_gemmt_kernelIiLi16ELi32ELi8ELc67ELc78ELc85ELb0ELb0EddPKdPdEviT_T9_T10_S3_lS5_S3_lS4_T11_S3_li
; %bb.0:
	s_clause 0x2
	s_load_dwordx4 s[12:15], s[4:5], 0x38
	s_load_dwordx2 s[2:3], s[4:5], 0x0
	s_load_dwordx4 s[16:19], s[4:5], 0x8
	s_waitcnt lgkmcnt(0)
	v_cmp_neq_f64_e64 s0, s[14:15], 1.0
	s_and_b32 vcc_lo, exec_lo, s0
	s_cbranch_vccnz .LBB60_2
; %bb.1:
	v_cmp_neq_f64_e64 s0, s[16:17], 0
	s_cmp_lg_u32 s3, 0
	s_cselect_b32 s1, -1, 0
	s_and_b32 s0, s1, s0
.LBB60_2:
	s_andn2_b32 vcc_lo, exec_lo, s0
	s_cbranch_vccnz .LBB60_26
; %bb.3:
	v_cmp_eq_f64_e64 s0, s[16:17], 0
	s_load_dwordx2 s[10:11], s[4:5], 0x48
	s_lshl_b32 s6, s6, 5
	s_lshl_b32 s7, s7, 5
	s_cmp_lt_i32 s3, 1
	v_mov_b32_e32 v12, 0
	s_cselect_b32 s1, -1, 0
	v_mov_b32_e32 v6, 0
	v_mov_b32_e32 v4, 0
	;; [unrolled: 1-line block ×7, first 2 shown]
	s_mov_b32 s9, 0
	s_or_b32 s0, s0, s1
	s_and_b32 vcc_lo, exec_lo, s0
	s_cbranch_vccnz .LBB60_10
; %bb.4:
	s_load_dword s0, s[4:5], 0x18
	v_lshl_add_u32 v2, v1, 4, v0
	s_clause 0x1
	s_load_dwordx4 s[20:23], s[4:5], 0x20
	s_load_dword s1, s[4:5], 0x30
	v_and_b32_e32 v18, 7, v0
	v_mov_b32_e32 v12, 0
	v_lshlrev_b32_e32 v19, 3, v0
	v_and_b32_e32 v4, 31, v2
	v_lshrrev_b32_e32 v3, 3, v2
	v_lshrrev_b32_e32 v21, 5, v2
	v_lshlrev_b32_e32 v6, 3, v18
	v_lshl_add_u32 v20, v1, 6, 0x800
	v_add_nc_u32_e32 v2, s6, v4
	v_add_nc_u32_e32 v5, s7, v3
	v_or_b32_e32 v7, s6, v4
	v_lshl_or_b32 v8, v3, 6, v6
	v_lshlrev_b32_e32 v4, 3, v4
	v_lshlrev_b32_e32 v9, 3, v21
	v_mov_b32_e32 v13, 0
	v_cmp_gt_i32_e32 vcc_lo, s2, v7
	v_add_nc_u32_e32 v23, 0x800, v8
	s_waitcnt lgkmcnt(0)
	v_mad_i64_i32 v[2:3], null, s0, v2, 0
	v_lshl_or_b32 v22, v21, 8, v4
	v_cmp_gt_i32_e64 s0, s2, v5
	s_mul_i32 s21, s21, s8
	s_mul_hi_u32 s24, s20, s8
	v_mad_i64_i32 v[4:5], null, s1, v5, 0
	v_lshlrev_b64 v[2:3], 3, v[2:3]
	s_mul_i32 s20, s20, s8
	s_add_i32 s21, s24, s21
	s_lshl_b64 s[20:21], s[20:21], 3
	v_add_co_u32 v7, s1, v2, s20
	v_add_co_ci_u32_e64 v8, null, s21, v3, s1
	s_mul_i32 s1, s13, s8
	s_mul_hi_u32 s13, s12, s8
	v_lshlrev_b64 v[2:3], 3, v[4:5]
	s_add_i32 s13, s13, s1
	s_mul_i32 s12, s12, s8
	v_add_co_u32 v4, s1, v7, v9
	s_lshl_b64 s[12:13], s[12:13], 3
	v_add_co_ci_u32_e64 v5, null, 0, v8, s1
	v_add_co_u32 v2, s1, v2, s12
	v_add_co_ci_u32_e64 v3, null, s13, v3, s1
	v_add_co_u32 v8, s1, s18, v4
	;; [unrolled: 2-line block ×3, first 2 shown]
	v_add_co_ci_u32_e64 v11, null, 0, v3, s1
	v_mov_b32_e32 v2, 0
	v_add_co_u32 v10, s1, s22, v10
	v_mov_b32_e32 v4, 0
	v_mov_b32_e32 v6, 0
	;; [unrolled: 1-line block ×5, first 2 shown]
	v_add_co_ci_u32_e64 v11, null, s23, v11, s1
	s_branch .LBB60_6
.LBB60_5:                               ;   in Loop: Header=BB60_6 Depth=1
	s_or_b32 exec_lo, exec_lo, s1
	s_waitcnt vmcnt(0)
	ds_write_b64 v23, v[16:17]
	s_waitcnt lgkmcnt(0)
	s_barrier
	buffer_gl0_inv
	ds_read_b128 v[14:17], v20
	ds_read2_b64 v[24:27], v19 offset1:16
	ds_read_b128 v[28:31], v20 offset:1024
	ds_read_b128 v[32:35], v20 offset:16
	ds_read2_b64 v[36:39], v19 offset0:32 offset1:48
	ds_read_b128 v[40:43], v20 offset:1040
	v_add_co_u32 v8, s1, v8, 64
	v_add_co_ci_u32_e64 v9, null, 0, v9, s1
	v_add_co_u32 v10, s1, v10, 64
	v_add_co_ci_u32_e64 v11, null, 0, v11, s1
	s_add_i32 s9, s9, 8
	s_cmp_lt_i32 s9, s3
	s_waitcnt lgkmcnt(4)
	v_fma_f64 v[12:13], v[24:25], v[14:15], v[12:13]
	v_fma_f64 v[6:7], v[26:27], v[14:15], v[6:7]
	s_waitcnt lgkmcnt(3)
	v_fma_f64 v[14:15], v[24:25], v[28:29], v[4:5]
	v_fma_f64 v[24:25], v[26:27], v[28:29], v[2:3]
	ds_read2_b64 v[2:5], v19 offset0:64 offset1:80
	s_waitcnt lgkmcnt(2)
	v_fma_f64 v[26:27], v[36:37], v[16:17], v[12:13]
	v_fma_f64 v[6:7], v[38:39], v[16:17], v[6:7]
	;; [unrolled: 1-line block ×4, first 2 shown]
	ds_read2_b64 v[12:15], v19 offset0:96 offset1:112
	s_waitcnt lgkmcnt(1)
	v_fma_f64 v[28:29], v[2:3], v[32:33], v[26:27]
	v_fma_f64 v[6:7], v[4:5], v[32:33], v[6:7]
	;; [unrolled: 1-line block ×4, first 2 shown]
	ds_read_b128 v[2:5], v20 offset:32
	ds_read2_b64 v[24:27], v19 offset0:128 offset1:144
	s_waitcnt lgkmcnt(2)
	v_fma_f64 v[40:41], v[12:13], v[34:35], v[28:29]
	v_fma_f64 v[6:7], v[14:15], v[34:35], v[6:7]
	;; [unrolled: 1-line block ×4, first 2 shown]
	ds_read_b128 v[12:15], v20 offset:1056
	ds_read_b128 v[28:31], v20 offset:48
	ds_read2_b64 v[32:35], v19 offset0:160 offset1:176
	ds_read_b128 v[36:39], v20 offset:1072
	s_waitcnt lgkmcnt(4)
	v_fma_f64 v[40:41], v[24:25], v[2:3], v[40:41]
	v_fma_f64 v[2:3], v[26:27], v[2:3], v[6:7]
	s_waitcnt lgkmcnt(3)
	v_fma_f64 v[6:7], v[24:25], v[12:13], v[16:17]
	v_fma_f64 v[12:13], v[26:27], v[12:13], v[42:43]
	ds_read2_b64 v[24:27], v19 offset0:192 offset1:208
	s_waitcnt lgkmcnt(2)
	v_fma_f64 v[40:41], v[32:33], v[4:5], v[40:41]
	v_fma_f64 v[2:3], v[34:35], v[4:5], v[2:3]
	;; [unrolled: 1-line block ×4, first 2 shown]
	ds_read2_b64 v[14:17], v19 offset0:224 offset1:240
	s_waitcnt lgkmcnt(0)
	s_barrier
	buffer_gl0_inv
	v_fma_f64 v[12:13], v[24:25], v[28:29], v[40:41]
	v_fma_f64 v[2:3], v[26:27], v[28:29], v[2:3]
	;; [unrolled: 1-line block ×8, first 2 shown]
	s_cbranch_scc0 .LBB60_10
.LBB60_6:                               ; =>This Inner Loop Header: Depth=1
	v_add_nc_u32_e32 v14, s9, v21
	v_cmp_gt_i32_e64 s1, s3, v14
	v_mov_b32_e32 v14, 0
	v_mov_b32_e32 v15, 0
	s_and_b32 s12, vcc_lo, s1
	s_and_saveexec_b32 s1, s12
	s_cbranch_execz .LBB60_8
; %bb.7:                                ;   in Loop: Header=BB60_6 Depth=1
	global_load_dwordx2 v[14:15], v[8:9], off
.LBB60_8:                               ;   in Loop: Header=BB60_6 Depth=1
	s_or_b32 exec_lo, exec_lo, s1
	v_add_nc_u32_e32 v16, s9, v18
	s_waitcnt vmcnt(0)
	ds_write_b64 v22, v[14:15]
	v_cmp_gt_i32_e64 s1, s3, v16
	v_mov_b32_e32 v16, 0
	v_mov_b32_e32 v17, 0
	s_and_b32 s12, s1, s0
	s_and_saveexec_b32 s1, s12
	s_cbranch_execz .LBB60_5
; %bb.9:                                ;   in Loop: Header=BB60_6 Depth=1
	global_load_dwordx2 v[16:17], v[10:11], off
	s_branch .LBB60_5
.LBB60_10:
	s_clause 0x1
	s_load_dword s3, s[4:5], 0x50
	s_load_dwordx2 s[4:5], s[4:5], 0x58
	v_add_nc_u32_e32 v0, s6, v0
	v_cmp_neq_f64_e64 s6, s[14:15], 0
	v_add_nc_u32_e32 v15, s7, v1
	v_ashrrev_i32_e32 v1, 31, v0
	v_cmp_gt_i32_e64 s0, s2, v15
	v_cmp_le_i32_e32 vcc_lo, v0, v15
	s_waitcnt lgkmcnt(0)
	v_mad_i64_i32 v[8:9], null, v15, s3, 0
	s_mul_i32 s1, s5, s8
	s_mul_hi_u32 s5, s4, s8
	s_mul_i32 s4, s4, s8
	s_add_i32 s5, s5, s1
	v_cndmask_b32_e64 v14, 0, 1, s6
	s_lshl_b64 s[4:5], s[4:5], 3
	v_lshlrev_b64 v[8:9], 3, v[8:9]
	s_add_u32 s4, s10, s4
	s_addc_u32 s5, s11, s5
	s_and_b32 s7, s0, vcc_lo
	v_add_co_u32 v16, s1, s4, v8
	v_add_co_ci_u32_e64 v17, null, s5, v9, s1
	s_and_saveexec_b32 s1, s7
	s_cbranch_execz .LBB60_14
; %bb.11:
	v_mul_f64 v[8:9], s[16:17], v[12:13]
	v_lshlrev_b64 v[10:11], 3, v[0:1]
	v_add_co_u32 v10, vcc_lo, v16, v10
	v_add_co_ci_u32_e64 v11, null, v17, v11, vcc_lo
	s_andn2_b32 vcc_lo, exec_lo, s6
	s_cbranch_vccnz .LBB60_13
; %bb.12:
	global_load_dwordx2 v[12:13], v[10:11], off
	s_waitcnt vmcnt(0)
	v_fma_f64 v[8:9], s[14:15], v[12:13], v[8:9]
.LBB60_13:
	global_store_dwordx2 v[10:11], v[8:9], off
.LBB60_14:
	s_or_b32 exec_lo, exec_lo, s1
	v_add_nc_u32_e32 v8, 16, v0
	v_cmp_le_i32_e32 vcc_lo, v8, v15
	v_ashrrev_i32_e32 v9, 31, v8
	s_and_b32 s0, s0, vcc_lo
	s_and_saveexec_b32 s1, s0
	s_cbranch_execz .LBB60_18
; %bb.15:
	v_mul_f64 v[6:7], s[16:17], v[6:7]
	v_lshlrev_b64 v[10:11], 3, v[8:9]
	v_cmp_ne_u32_e32 vcc_lo, 1, v14
	v_add_co_u32 v10, s0, v16, v10
	v_add_co_ci_u32_e64 v11, null, v17, v11, s0
	s_cbranch_vccnz .LBB60_17
; %bb.16:
	global_load_dwordx2 v[12:13], v[10:11], off
	s_waitcnt vmcnt(0)
	v_fma_f64 v[6:7], s[14:15], v[12:13], v[6:7]
.LBB60_17:
	global_store_dwordx2 v[10:11], v[6:7], off
.LBB60_18:
	s_or_b32 exec_lo, exec_lo, s1
	v_add_nc_u32_e32 v10, 16, v15
	v_mad_i64_i32 v[6:7], null, v10, s3, 0
	v_cmp_gt_i32_e64 s0, s2, v10
	v_cmp_le_i32_e32 vcc_lo, v0, v10
	v_lshlrev_b64 v[6:7], 3, v[6:7]
	v_add_co_u32 v6, s1, s4, v6
	v_add_co_ci_u32_e64 v7, null, s5, v7, s1
	s_and_b32 s1, s0, vcc_lo
	s_and_saveexec_b32 s2, s1
	s_cbranch_execz .LBB60_22
; %bb.19:
	v_mul_f64 v[4:5], s[16:17], v[4:5]
	v_lshlrev_b64 v[0:1], 3, v[0:1]
	v_cmp_ne_u32_e32 vcc_lo, 1, v14
	v_add_co_u32 v0, s1, v6, v0
	v_add_co_ci_u32_e64 v1, null, v7, v1, s1
	s_cbranch_vccnz .LBB60_21
; %bb.20:
	global_load_dwordx2 v[11:12], v[0:1], off
	s_waitcnt vmcnt(0)
	v_fma_f64 v[4:5], s[14:15], v[11:12], v[4:5]
.LBB60_21:
	global_store_dwordx2 v[0:1], v[4:5], off
.LBB60_22:
	s_or_b32 exec_lo, exec_lo, s2
	v_cmp_le_i32_e32 vcc_lo, v8, v10
	s_and_b32 s0, s0, vcc_lo
	s_and_saveexec_b32 s1, s0
	s_cbranch_execz .LBB60_26
; %bb.23:
	v_mul_f64 v[0:1], s[16:17], v[2:3]
	v_lshlrev_b64 v[2:3], 3, v[8:9]
	v_cmp_ne_u32_e32 vcc_lo, 1, v14
	v_add_co_u32 v2, s0, v6, v2
	v_add_co_ci_u32_e64 v3, null, v7, v3, s0
	s_cbranch_vccnz .LBB60_25
; %bb.24:
	global_load_dwordx2 v[4:5], v[2:3], off
	s_waitcnt vmcnt(0)
	v_fma_f64 v[0:1], s[14:15], v[4:5], v[0:1]
.LBB60_25:
	global_store_dwordx2 v[2:3], v[0:1], off
.LBB60_26:
	s_endpgm
	.section	.rodata,"a",@progbits
	.p2align	6, 0x0
	.amdhsa_kernel _ZL29rocblas_internal_gemmt_kernelIiLi16ELi32ELi8ELc67ELc78ELc85ELb0ELb0EddPKdPdEviT_T9_T10_S3_lS5_S3_lS4_T11_S3_li
		.amdhsa_group_segment_fixed_size 4096
		.amdhsa_private_segment_fixed_size 0
		.amdhsa_kernarg_size 100
		.amdhsa_user_sgpr_count 6
		.amdhsa_user_sgpr_private_segment_buffer 1
		.amdhsa_user_sgpr_dispatch_ptr 0
		.amdhsa_user_sgpr_queue_ptr 0
		.amdhsa_user_sgpr_kernarg_segment_ptr 1
		.amdhsa_user_sgpr_dispatch_id 0
		.amdhsa_user_sgpr_flat_scratch_init 0
		.amdhsa_user_sgpr_private_segment_size 0
		.amdhsa_wavefront_size32 1
		.amdhsa_uses_dynamic_stack 0
		.amdhsa_system_sgpr_private_segment_wavefront_offset 0
		.amdhsa_system_sgpr_workgroup_id_x 1
		.amdhsa_system_sgpr_workgroup_id_y 1
		.amdhsa_system_sgpr_workgroup_id_z 1
		.amdhsa_system_sgpr_workgroup_info 0
		.amdhsa_system_vgpr_workitem_id 1
		.amdhsa_next_free_vgpr 44
		.amdhsa_next_free_sgpr 25
		.amdhsa_reserve_vcc 1
		.amdhsa_reserve_flat_scratch 0
		.amdhsa_float_round_mode_32 0
		.amdhsa_float_round_mode_16_64 0
		.amdhsa_float_denorm_mode_32 3
		.amdhsa_float_denorm_mode_16_64 3
		.amdhsa_dx10_clamp 1
		.amdhsa_ieee_mode 1
		.amdhsa_fp16_overflow 0
		.amdhsa_workgroup_processor_mode 1
		.amdhsa_memory_ordered 1
		.amdhsa_forward_progress 1
		.amdhsa_shared_vgpr_count 0
		.amdhsa_exception_fp_ieee_invalid_op 0
		.amdhsa_exception_fp_denorm_src 0
		.amdhsa_exception_fp_ieee_div_zero 0
		.amdhsa_exception_fp_ieee_overflow 0
		.amdhsa_exception_fp_ieee_underflow 0
		.amdhsa_exception_fp_ieee_inexact 0
		.amdhsa_exception_int_div_zero 0
	.end_amdhsa_kernel
	.section	.text._ZL29rocblas_internal_gemmt_kernelIiLi16ELi32ELi8ELc67ELc78ELc85ELb0ELb0EddPKdPdEviT_T9_T10_S3_lS5_S3_lS4_T11_S3_li,"axG",@progbits,_ZL29rocblas_internal_gemmt_kernelIiLi16ELi32ELi8ELc67ELc78ELc85ELb0ELb0EddPKdPdEviT_T9_T10_S3_lS5_S3_lS4_T11_S3_li,comdat
.Lfunc_end60:
	.size	_ZL29rocblas_internal_gemmt_kernelIiLi16ELi32ELi8ELc67ELc78ELc85ELb0ELb0EddPKdPdEviT_T9_T10_S3_lS5_S3_lS4_T11_S3_li, .Lfunc_end60-_ZL29rocblas_internal_gemmt_kernelIiLi16ELi32ELi8ELc67ELc78ELc85ELb0ELb0EddPKdPdEviT_T9_T10_S3_lS5_S3_lS4_T11_S3_li
                                        ; -- End function
	.set _ZL29rocblas_internal_gemmt_kernelIiLi16ELi32ELi8ELc67ELc78ELc85ELb0ELb0EddPKdPdEviT_T9_T10_S3_lS5_S3_lS4_T11_S3_li.num_vgpr, 44
	.set _ZL29rocblas_internal_gemmt_kernelIiLi16ELi32ELi8ELc67ELc78ELc85ELb0ELb0EddPKdPdEviT_T9_T10_S3_lS5_S3_lS4_T11_S3_li.num_agpr, 0
	.set _ZL29rocblas_internal_gemmt_kernelIiLi16ELi32ELi8ELc67ELc78ELc85ELb0ELb0EddPKdPdEviT_T9_T10_S3_lS5_S3_lS4_T11_S3_li.numbered_sgpr, 25
	.set _ZL29rocblas_internal_gemmt_kernelIiLi16ELi32ELi8ELc67ELc78ELc85ELb0ELb0EddPKdPdEviT_T9_T10_S3_lS5_S3_lS4_T11_S3_li.num_named_barrier, 0
	.set _ZL29rocblas_internal_gemmt_kernelIiLi16ELi32ELi8ELc67ELc78ELc85ELb0ELb0EddPKdPdEviT_T9_T10_S3_lS5_S3_lS4_T11_S3_li.private_seg_size, 0
	.set _ZL29rocblas_internal_gemmt_kernelIiLi16ELi32ELi8ELc67ELc78ELc85ELb0ELb0EddPKdPdEviT_T9_T10_S3_lS5_S3_lS4_T11_S3_li.uses_vcc, 1
	.set _ZL29rocblas_internal_gemmt_kernelIiLi16ELi32ELi8ELc67ELc78ELc85ELb0ELb0EddPKdPdEviT_T9_T10_S3_lS5_S3_lS4_T11_S3_li.uses_flat_scratch, 0
	.set _ZL29rocblas_internal_gemmt_kernelIiLi16ELi32ELi8ELc67ELc78ELc85ELb0ELb0EddPKdPdEviT_T9_T10_S3_lS5_S3_lS4_T11_S3_li.has_dyn_sized_stack, 0
	.set _ZL29rocblas_internal_gemmt_kernelIiLi16ELi32ELi8ELc67ELc78ELc85ELb0ELb0EddPKdPdEviT_T9_T10_S3_lS5_S3_lS4_T11_S3_li.has_recursion, 0
	.set _ZL29rocblas_internal_gemmt_kernelIiLi16ELi32ELi8ELc67ELc78ELc85ELb0ELb0EddPKdPdEviT_T9_T10_S3_lS5_S3_lS4_T11_S3_li.has_indirect_call, 0
	.section	.AMDGPU.csdata,"",@progbits
; Kernel info:
; codeLenInByte = 1624
; TotalNumSgprs: 27
; NumVgprs: 44
; ScratchSize: 0
; MemoryBound: 0
; FloatMode: 240
; IeeeMode: 1
; LDSByteSize: 4096 bytes/workgroup (compile time only)
; SGPRBlocks: 0
; VGPRBlocks: 5
; NumSGPRsForWavesPerEU: 27
; NumVGPRsForWavesPerEU: 44
; Occupancy: 16
; WaveLimiterHint : 0
; COMPUTE_PGM_RSRC2:SCRATCH_EN: 0
; COMPUTE_PGM_RSRC2:USER_SGPR: 6
; COMPUTE_PGM_RSRC2:TRAP_HANDLER: 0
; COMPUTE_PGM_RSRC2:TGID_X_EN: 1
; COMPUTE_PGM_RSRC2:TGID_Y_EN: 1
; COMPUTE_PGM_RSRC2:TGID_Z_EN: 1
; COMPUTE_PGM_RSRC2:TIDIG_COMP_CNT: 1
	.section	.text._ZL29rocblas_internal_gemmt_kernelIiLi16ELi32ELi8ELc67ELc84ELc85ELb0ELb0EddPKdPdEviT_T9_T10_S3_lS5_S3_lS4_T11_S3_li,"axG",@progbits,_ZL29rocblas_internal_gemmt_kernelIiLi16ELi32ELi8ELc67ELc84ELc85ELb0ELb0EddPKdPdEviT_T9_T10_S3_lS5_S3_lS4_T11_S3_li,comdat
	.globl	_ZL29rocblas_internal_gemmt_kernelIiLi16ELi32ELi8ELc67ELc84ELc85ELb0ELb0EddPKdPdEviT_T9_T10_S3_lS5_S3_lS4_T11_S3_li ; -- Begin function _ZL29rocblas_internal_gemmt_kernelIiLi16ELi32ELi8ELc67ELc84ELc85ELb0ELb0EddPKdPdEviT_T9_T10_S3_lS5_S3_lS4_T11_S3_li
	.p2align	8
	.type	_ZL29rocblas_internal_gemmt_kernelIiLi16ELi32ELi8ELc67ELc84ELc85ELb0ELb0EddPKdPdEviT_T9_T10_S3_lS5_S3_lS4_T11_S3_li,@function
_ZL29rocblas_internal_gemmt_kernelIiLi16ELi32ELi8ELc67ELc84ELc85ELb0ELb0EddPKdPdEviT_T9_T10_S3_lS5_S3_lS4_T11_S3_li: ; @_ZL29rocblas_internal_gemmt_kernelIiLi16ELi32ELi8ELc67ELc84ELc85ELb0ELb0EddPKdPdEviT_T9_T10_S3_lS5_S3_lS4_T11_S3_li
; %bb.0:
	s_clause 0x2
	s_load_dwordx4 s[12:15], s[4:5], 0x38
	s_load_dwordx2 s[2:3], s[4:5], 0x0
	s_load_dwordx4 s[16:19], s[4:5], 0x8
	s_waitcnt lgkmcnt(0)
	v_cmp_neq_f64_e64 s0, s[14:15], 1.0
	s_and_b32 vcc_lo, exec_lo, s0
	s_cbranch_vccnz .LBB61_2
; %bb.1:
	v_cmp_neq_f64_e64 s0, s[16:17], 0
	s_cmp_lg_u32 s3, 0
	s_cselect_b32 s1, -1, 0
	s_and_b32 s0, s1, s0
.LBB61_2:
	s_andn2_b32 vcc_lo, exec_lo, s0
	s_cbranch_vccnz .LBB61_26
; %bb.3:
	v_cmp_eq_f64_e64 s0, s[16:17], 0
	s_load_dwordx2 s[10:11], s[4:5], 0x48
	s_lshl_b32 s9, s6, 5
	s_lshl_b32 s24, s7, 5
	s_cmp_lt_i32 s3, 1
	v_mov_b32_e32 v12, 0
	s_cselect_b32 s1, -1, 0
	v_mov_b32_e32 v6, 0
	v_mov_b32_e32 v4, 0
	;; [unrolled: 1-line block ×7, first 2 shown]
	s_mov_b32 s25, 0
	s_or_b32 s0, s0, s1
	s_and_b32 vcc_lo, exec_lo, s0
	s_cbranch_vccnz .LBB61_10
; %bb.4:
	s_load_dword s0, s[4:5], 0x18
	v_lshl_add_u32 v2, v1, 4, v0
	s_clause 0x1
	s_load_dwordx4 s[20:23], s[4:5], 0x20
	s_load_dword s6, s[4:5], 0x30
	v_and_b32_e32 v18, 7, v0
	v_mov_b32_e32 v12, 0
	v_lshlrev_b32_e32 v19, 3, v0
	v_and_b32_e32 v3, 31, v2
	v_lshrrev_b32_e32 v4, 3, v2
	v_lshlrev_b32_e32 v5, 3, v18
	v_lshrrev_b32_e32 v21, 5, v2
	v_lshl_add_u32 v20, v1, 6, 0x800
	v_add_nc_u32_e32 v7, s9, v3
	v_add_nc_u32_e32 v2, s24, v4
	v_lshl_or_b32 v8, v4, 6, v5
	v_or_b32_e32 v6, s9, v3
	v_lshlrev_b32_e32 v3, 3, v3
	v_lshlrev_b32_e32 v10, 3, v21
	v_mov_b32_e32 v13, 0
	v_add_nc_u32_e32 v23, 0x800, v8
	v_cmp_gt_i32_e32 vcc_lo, s2, v6
	s_waitcnt lgkmcnt(0)
	v_mad_i64_i32 v[4:5], null, s0, v7, 0
	s_mul_i32 s1, s21, s8
	s_mul_hi_u32 s7, s20, s8
	v_mad_i64_i32 v[6:7], null, s6, v18, 0
	s_mul_i32 s20, s20, s8
	s_add_i32 s21, s7, s1
	v_lshlrev_b64 v[4:5], 3, v[4:5]
	s_lshl_b64 s[20:21], s[20:21], 3
	v_lshl_or_b32 v22, v21, 8, v3
	v_ashrrev_i32_e32 v3, 31, v2
	s_mul_hi_u32 s7, s12, s8
	s_mul_i32 s12, s12, s8
	v_add_co_u32 v8, s1, v4, s20
	v_add_co_ci_u32_e64 v9, null, s21, v5, s1
	s_mul_i32 s1, s13, s8
	v_lshlrev_b64 v[4:5], 3, v[6:7]
	s_add_i32 s13, s7, s1
	v_add_co_u32 v6, s1, v8, v10
	s_lshl_b64 s[12:13], s[12:13], 3
	v_cmp_gt_i32_e64 s0, s2, v2
	v_lshlrev_b64 v[2:3], 3, v[2:3]
	v_add_co_ci_u32_e64 v7, null, 0, v9, s1
	v_add_co_u32 v4, s1, s12, v4
	v_add_co_ci_u32_e64 v5, null, s13, v5, s1
	v_add_co_u32 v8, s1, s18, v6
	;; [unrolled: 2-line block ×3, first 2 shown]
	v_add_co_ci_u32_e64 v11, null, v5, v3, s1
	v_mov_b32_e32 v2, 0
	v_add_co_u32 v10, s1, s22, v10
	v_mov_b32_e32 v4, 0
	v_mov_b32_e32 v6, 0
	;; [unrolled: 1-line block ×5, first 2 shown]
	v_add_co_ci_u32_e64 v11, null, s23, v11, s1
	s_ashr_i32 s7, s6, 31
	s_lshl_b64 s[6:7], s[6:7], 6
	s_branch .LBB61_6
.LBB61_5:                               ;   in Loop: Header=BB61_6 Depth=1
	s_or_b32 exec_lo, exec_lo, s1
	s_waitcnt vmcnt(0)
	ds_write_b64 v23, v[16:17]
	s_waitcnt lgkmcnt(0)
	s_barrier
	buffer_gl0_inv
	ds_read_b128 v[14:17], v20
	ds_read2_b64 v[24:27], v19 offset1:16
	ds_read_b128 v[28:31], v20 offset:1024
	ds_read_b128 v[32:35], v20 offset:16
	ds_read2_b64 v[36:39], v19 offset0:32 offset1:48
	ds_read_b128 v[40:43], v20 offset:1040
	v_add_co_u32 v8, s1, v8, 64
	v_add_co_ci_u32_e64 v9, null, 0, v9, s1
	v_add_co_u32 v10, s1, v10, s6
	v_add_co_ci_u32_e64 v11, null, s7, v11, s1
	s_add_i32 s25, s25, 8
	s_cmp_lt_i32 s25, s3
	s_waitcnt lgkmcnt(4)
	v_fma_f64 v[12:13], v[24:25], v[14:15], v[12:13]
	v_fma_f64 v[6:7], v[26:27], v[14:15], v[6:7]
	s_waitcnt lgkmcnt(3)
	v_fma_f64 v[14:15], v[24:25], v[28:29], v[4:5]
	v_fma_f64 v[24:25], v[26:27], v[28:29], v[2:3]
	ds_read2_b64 v[2:5], v19 offset0:64 offset1:80
	s_waitcnt lgkmcnt(2)
	v_fma_f64 v[26:27], v[36:37], v[16:17], v[12:13]
	v_fma_f64 v[6:7], v[38:39], v[16:17], v[6:7]
	;; [unrolled: 1-line block ×4, first 2 shown]
	ds_read2_b64 v[12:15], v19 offset0:96 offset1:112
	s_waitcnt lgkmcnt(1)
	v_fma_f64 v[28:29], v[2:3], v[32:33], v[26:27]
	v_fma_f64 v[6:7], v[4:5], v[32:33], v[6:7]
	;; [unrolled: 1-line block ×4, first 2 shown]
	ds_read_b128 v[2:5], v20 offset:32
	ds_read2_b64 v[24:27], v19 offset0:128 offset1:144
	s_waitcnt lgkmcnt(2)
	v_fma_f64 v[40:41], v[12:13], v[34:35], v[28:29]
	v_fma_f64 v[6:7], v[14:15], v[34:35], v[6:7]
	;; [unrolled: 1-line block ×4, first 2 shown]
	ds_read_b128 v[12:15], v20 offset:1056
	ds_read_b128 v[28:31], v20 offset:48
	ds_read2_b64 v[32:35], v19 offset0:160 offset1:176
	ds_read_b128 v[36:39], v20 offset:1072
	s_waitcnt lgkmcnt(4)
	v_fma_f64 v[40:41], v[24:25], v[2:3], v[40:41]
	v_fma_f64 v[2:3], v[26:27], v[2:3], v[6:7]
	s_waitcnt lgkmcnt(3)
	v_fma_f64 v[6:7], v[24:25], v[12:13], v[16:17]
	v_fma_f64 v[12:13], v[26:27], v[12:13], v[42:43]
	ds_read2_b64 v[24:27], v19 offset0:192 offset1:208
	s_waitcnt lgkmcnt(2)
	v_fma_f64 v[40:41], v[32:33], v[4:5], v[40:41]
	v_fma_f64 v[2:3], v[34:35], v[4:5], v[2:3]
	;; [unrolled: 1-line block ×4, first 2 shown]
	ds_read2_b64 v[14:17], v19 offset0:224 offset1:240
	s_waitcnt lgkmcnt(0)
	s_barrier
	buffer_gl0_inv
	v_fma_f64 v[12:13], v[24:25], v[28:29], v[40:41]
	v_fma_f64 v[2:3], v[26:27], v[28:29], v[2:3]
	;; [unrolled: 1-line block ×8, first 2 shown]
	s_cbranch_scc0 .LBB61_10
.LBB61_6:                               ; =>This Inner Loop Header: Depth=1
	v_add_nc_u32_e32 v14, s25, v21
	v_cmp_gt_i32_e64 s1, s3, v14
	v_mov_b32_e32 v14, 0
	v_mov_b32_e32 v15, 0
	s_and_b32 s12, vcc_lo, s1
	s_and_saveexec_b32 s1, s12
	s_cbranch_execz .LBB61_8
; %bb.7:                                ;   in Loop: Header=BB61_6 Depth=1
	global_load_dwordx2 v[14:15], v[8:9], off
.LBB61_8:                               ;   in Loop: Header=BB61_6 Depth=1
	s_or_b32 exec_lo, exec_lo, s1
	v_add_nc_u32_e32 v16, s25, v18
	s_waitcnt vmcnt(0)
	ds_write_b64 v22, v[14:15]
	v_cmp_gt_i32_e64 s1, s3, v16
	v_mov_b32_e32 v16, 0
	v_mov_b32_e32 v17, 0
	s_and_b32 s12, s1, s0
	s_and_saveexec_b32 s1, s12
	s_cbranch_execz .LBB61_5
; %bb.9:                                ;   in Loop: Header=BB61_6 Depth=1
	global_load_dwordx2 v[16:17], v[10:11], off
	s_branch .LBB61_5
.LBB61_10:
	s_clause 0x1
	s_load_dword s3, s[4:5], 0x50
	s_load_dwordx2 s[4:5], s[4:5], 0x58
	v_cmp_neq_f64_e64 s6, s[14:15], 0
	v_add_nc_u32_e32 v15, s24, v1
	v_add_nc_u32_e32 v0, s9, v0
	v_cmp_gt_i32_e64 s0, s2, v15
	v_cmp_le_i32_e32 vcc_lo, v0, v15
	v_ashrrev_i32_e32 v1, 31, v0
	s_waitcnt lgkmcnt(0)
	v_mad_i64_i32 v[8:9], null, v15, s3, 0
	s_mul_i32 s1, s5, s8
	s_mul_hi_u32 s5, s4, s8
	s_mul_i32 s4, s4, s8
	s_add_i32 s5, s5, s1
	v_cndmask_b32_e64 v14, 0, 1, s6
	s_lshl_b64 s[4:5], s[4:5], 3
	v_lshlrev_b64 v[8:9], 3, v[8:9]
	s_add_u32 s4, s10, s4
	s_addc_u32 s5, s11, s5
	s_and_b32 s7, s0, vcc_lo
	v_add_co_u32 v16, s1, s4, v8
	v_add_co_ci_u32_e64 v17, null, s5, v9, s1
	s_and_saveexec_b32 s1, s7
	s_cbranch_execz .LBB61_14
; %bb.11:
	v_mul_f64 v[8:9], s[16:17], v[12:13]
	v_lshlrev_b64 v[10:11], 3, v[0:1]
	v_add_co_u32 v10, vcc_lo, v16, v10
	v_add_co_ci_u32_e64 v11, null, v17, v11, vcc_lo
	s_andn2_b32 vcc_lo, exec_lo, s6
	s_cbranch_vccnz .LBB61_13
; %bb.12:
	global_load_dwordx2 v[12:13], v[10:11], off
	s_waitcnt vmcnt(0)
	v_fma_f64 v[8:9], s[14:15], v[12:13], v[8:9]
.LBB61_13:
	global_store_dwordx2 v[10:11], v[8:9], off
.LBB61_14:
	s_or_b32 exec_lo, exec_lo, s1
	v_add_nc_u32_e32 v8, 16, v0
	v_cmp_le_i32_e32 vcc_lo, v8, v15
	v_ashrrev_i32_e32 v9, 31, v8
	s_and_b32 s0, s0, vcc_lo
	s_and_saveexec_b32 s1, s0
	s_cbranch_execz .LBB61_18
; %bb.15:
	v_mul_f64 v[6:7], s[16:17], v[6:7]
	v_lshlrev_b64 v[10:11], 3, v[8:9]
	v_cmp_ne_u32_e32 vcc_lo, 1, v14
	v_add_co_u32 v10, s0, v16, v10
	v_add_co_ci_u32_e64 v11, null, v17, v11, s0
	s_cbranch_vccnz .LBB61_17
; %bb.16:
	global_load_dwordx2 v[12:13], v[10:11], off
	s_waitcnt vmcnt(0)
	v_fma_f64 v[6:7], s[14:15], v[12:13], v[6:7]
.LBB61_17:
	global_store_dwordx2 v[10:11], v[6:7], off
.LBB61_18:
	s_or_b32 exec_lo, exec_lo, s1
	v_add_nc_u32_e32 v10, 16, v15
	v_mad_i64_i32 v[6:7], null, v10, s3, 0
	v_cmp_gt_i32_e64 s0, s2, v10
	v_cmp_le_i32_e32 vcc_lo, v0, v10
	v_lshlrev_b64 v[6:7], 3, v[6:7]
	v_add_co_u32 v6, s1, s4, v6
	v_add_co_ci_u32_e64 v7, null, s5, v7, s1
	s_and_b32 s1, s0, vcc_lo
	s_and_saveexec_b32 s2, s1
	s_cbranch_execz .LBB61_22
; %bb.19:
	v_mul_f64 v[4:5], s[16:17], v[4:5]
	v_lshlrev_b64 v[0:1], 3, v[0:1]
	v_cmp_ne_u32_e32 vcc_lo, 1, v14
	v_add_co_u32 v0, s1, v6, v0
	v_add_co_ci_u32_e64 v1, null, v7, v1, s1
	s_cbranch_vccnz .LBB61_21
; %bb.20:
	global_load_dwordx2 v[11:12], v[0:1], off
	s_waitcnt vmcnt(0)
	v_fma_f64 v[4:5], s[14:15], v[11:12], v[4:5]
.LBB61_21:
	global_store_dwordx2 v[0:1], v[4:5], off
.LBB61_22:
	s_or_b32 exec_lo, exec_lo, s2
	v_cmp_le_i32_e32 vcc_lo, v8, v10
	s_and_b32 s0, s0, vcc_lo
	s_and_saveexec_b32 s1, s0
	s_cbranch_execz .LBB61_26
; %bb.23:
	v_mul_f64 v[0:1], s[16:17], v[2:3]
	v_lshlrev_b64 v[2:3], 3, v[8:9]
	v_cmp_ne_u32_e32 vcc_lo, 1, v14
	v_add_co_u32 v2, s0, v6, v2
	v_add_co_ci_u32_e64 v3, null, v7, v3, s0
	s_cbranch_vccnz .LBB61_25
; %bb.24:
	global_load_dwordx2 v[4:5], v[2:3], off
	s_waitcnt vmcnt(0)
	v_fma_f64 v[0:1], s[14:15], v[4:5], v[0:1]
.LBB61_25:
	global_store_dwordx2 v[2:3], v[0:1], off
.LBB61_26:
	s_endpgm
	.section	.rodata,"a",@progbits
	.p2align	6, 0x0
	.amdhsa_kernel _ZL29rocblas_internal_gemmt_kernelIiLi16ELi32ELi8ELc67ELc84ELc85ELb0ELb0EddPKdPdEviT_T9_T10_S3_lS5_S3_lS4_T11_S3_li
		.amdhsa_group_segment_fixed_size 4096
		.amdhsa_private_segment_fixed_size 0
		.amdhsa_kernarg_size 100
		.amdhsa_user_sgpr_count 6
		.amdhsa_user_sgpr_private_segment_buffer 1
		.amdhsa_user_sgpr_dispatch_ptr 0
		.amdhsa_user_sgpr_queue_ptr 0
		.amdhsa_user_sgpr_kernarg_segment_ptr 1
		.amdhsa_user_sgpr_dispatch_id 0
		.amdhsa_user_sgpr_flat_scratch_init 0
		.amdhsa_user_sgpr_private_segment_size 0
		.amdhsa_wavefront_size32 1
		.amdhsa_uses_dynamic_stack 0
		.amdhsa_system_sgpr_private_segment_wavefront_offset 0
		.amdhsa_system_sgpr_workgroup_id_x 1
		.amdhsa_system_sgpr_workgroup_id_y 1
		.amdhsa_system_sgpr_workgroup_id_z 1
		.amdhsa_system_sgpr_workgroup_info 0
		.amdhsa_system_vgpr_workitem_id 1
		.amdhsa_next_free_vgpr 44
		.amdhsa_next_free_sgpr 26
		.amdhsa_reserve_vcc 1
		.amdhsa_reserve_flat_scratch 0
		.amdhsa_float_round_mode_32 0
		.amdhsa_float_round_mode_16_64 0
		.amdhsa_float_denorm_mode_32 3
		.amdhsa_float_denorm_mode_16_64 3
		.amdhsa_dx10_clamp 1
		.amdhsa_ieee_mode 1
		.amdhsa_fp16_overflow 0
		.amdhsa_workgroup_processor_mode 1
		.amdhsa_memory_ordered 1
		.amdhsa_forward_progress 1
		.amdhsa_shared_vgpr_count 0
		.amdhsa_exception_fp_ieee_invalid_op 0
		.amdhsa_exception_fp_denorm_src 0
		.amdhsa_exception_fp_ieee_div_zero 0
		.amdhsa_exception_fp_ieee_overflow 0
		.amdhsa_exception_fp_ieee_underflow 0
		.amdhsa_exception_fp_ieee_inexact 0
		.amdhsa_exception_int_div_zero 0
	.end_amdhsa_kernel
	.section	.text._ZL29rocblas_internal_gemmt_kernelIiLi16ELi32ELi8ELc67ELc84ELc85ELb0ELb0EddPKdPdEviT_T9_T10_S3_lS5_S3_lS4_T11_S3_li,"axG",@progbits,_ZL29rocblas_internal_gemmt_kernelIiLi16ELi32ELi8ELc67ELc84ELc85ELb0ELb0EddPKdPdEviT_T9_T10_S3_lS5_S3_lS4_T11_S3_li,comdat
.Lfunc_end61:
	.size	_ZL29rocblas_internal_gemmt_kernelIiLi16ELi32ELi8ELc67ELc84ELc85ELb0ELb0EddPKdPdEviT_T9_T10_S3_lS5_S3_lS4_T11_S3_li, .Lfunc_end61-_ZL29rocblas_internal_gemmt_kernelIiLi16ELi32ELi8ELc67ELc84ELc85ELb0ELb0EddPKdPdEviT_T9_T10_S3_lS5_S3_lS4_T11_S3_li
                                        ; -- End function
	.set _ZL29rocblas_internal_gemmt_kernelIiLi16ELi32ELi8ELc67ELc84ELc85ELb0ELb0EddPKdPdEviT_T9_T10_S3_lS5_S3_lS4_T11_S3_li.num_vgpr, 44
	.set _ZL29rocblas_internal_gemmt_kernelIiLi16ELi32ELi8ELc67ELc84ELc85ELb0ELb0EddPKdPdEviT_T9_T10_S3_lS5_S3_lS4_T11_S3_li.num_agpr, 0
	.set _ZL29rocblas_internal_gemmt_kernelIiLi16ELi32ELi8ELc67ELc84ELc85ELb0ELb0EddPKdPdEviT_T9_T10_S3_lS5_S3_lS4_T11_S3_li.numbered_sgpr, 26
	.set _ZL29rocblas_internal_gemmt_kernelIiLi16ELi32ELi8ELc67ELc84ELc85ELb0ELb0EddPKdPdEviT_T9_T10_S3_lS5_S3_lS4_T11_S3_li.num_named_barrier, 0
	.set _ZL29rocblas_internal_gemmt_kernelIiLi16ELi32ELi8ELc67ELc84ELc85ELb0ELb0EddPKdPdEviT_T9_T10_S3_lS5_S3_lS4_T11_S3_li.private_seg_size, 0
	.set _ZL29rocblas_internal_gemmt_kernelIiLi16ELi32ELi8ELc67ELc84ELc85ELb0ELb0EddPKdPdEviT_T9_T10_S3_lS5_S3_lS4_T11_S3_li.uses_vcc, 1
	.set _ZL29rocblas_internal_gemmt_kernelIiLi16ELi32ELi8ELc67ELc84ELc85ELb0ELb0EddPKdPdEviT_T9_T10_S3_lS5_S3_lS4_T11_S3_li.uses_flat_scratch, 0
	.set _ZL29rocblas_internal_gemmt_kernelIiLi16ELi32ELi8ELc67ELc84ELc85ELb0ELb0EddPKdPdEviT_T9_T10_S3_lS5_S3_lS4_T11_S3_li.has_dyn_sized_stack, 0
	.set _ZL29rocblas_internal_gemmt_kernelIiLi16ELi32ELi8ELc67ELc84ELc85ELb0ELb0EddPKdPdEviT_T9_T10_S3_lS5_S3_lS4_T11_S3_li.has_recursion, 0
	.set _ZL29rocblas_internal_gemmt_kernelIiLi16ELi32ELi8ELc67ELc84ELc85ELb0ELb0EddPKdPdEviT_T9_T10_S3_lS5_S3_lS4_T11_S3_li.has_indirect_call, 0
	.section	.AMDGPU.csdata,"",@progbits
; Kernel info:
; codeLenInByte = 1644
; TotalNumSgprs: 28
; NumVgprs: 44
; ScratchSize: 0
; MemoryBound: 0
; FloatMode: 240
; IeeeMode: 1
; LDSByteSize: 4096 bytes/workgroup (compile time only)
; SGPRBlocks: 0
; VGPRBlocks: 5
; NumSGPRsForWavesPerEU: 28
; NumVGPRsForWavesPerEU: 44
; Occupancy: 16
; WaveLimiterHint : 0
; COMPUTE_PGM_RSRC2:SCRATCH_EN: 0
; COMPUTE_PGM_RSRC2:USER_SGPR: 6
; COMPUTE_PGM_RSRC2:TRAP_HANDLER: 0
; COMPUTE_PGM_RSRC2:TGID_X_EN: 1
; COMPUTE_PGM_RSRC2:TGID_Y_EN: 1
; COMPUTE_PGM_RSRC2:TGID_Z_EN: 1
; COMPUTE_PGM_RSRC2:TIDIG_COMP_CNT: 1
	.section	.text._ZL29rocblas_internal_gemmt_kernelIiLi16ELi32ELi8ELc67ELc67ELc85ELb0ELb0EddPKdPdEviT_T9_T10_S3_lS5_S3_lS4_T11_S3_li,"axG",@progbits,_ZL29rocblas_internal_gemmt_kernelIiLi16ELi32ELi8ELc67ELc67ELc85ELb0ELb0EddPKdPdEviT_T9_T10_S3_lS5_S3_lS4_T11_S3_li,comdat
	.globl	_ZL29rocblas_internal_gemmt_kernelIiLi16ELi32ELi8ELc67ELc67ELc85ELb0ELb0EddPKdPdEviT_T9_T10_S3_lS5_S3_lS4_T11_S3_li ; -- Begin function _ZL29rocblas_internal_gemmt_kernelIiLi16ELi32ELi8ELc67ELc67ELc85ELb0ELb0EddPKdPdEviT_T9_T10_S3_lS5_S3_lS4_T11_S3_li
	.p2align	8
	.type	_ZL29rocblas_internal_gemmt_kernelIiLi16ELi32ELi8ELc67ELc67ELc85ELb0ELb0EddPKdPdEviT_T9_T10_S3_lS5_S3_lS4_T11_S3_li,@function
_ZL29rocblas_internal_gemmt_kernelIiLi16ELi32ELi8ELc67ELc67ELc85ELb0ELb0EddPKdPdEviT_T9_T10_S3_lS5_S3_lS4_T11_S3_li: ; @_ZL29rocblas_internal_gemmt_kernelIiLi16ELi32ELi8ELc67ELc67ELc85ELb0ELb0EddPKdPdEviT_T9_T10_S3_lS5_S3_lS4_T11_S3_li
; %bb.0:
	s_clause 0x2
	s_load_dwordx4 s[12:15], s[4:5], 0x38
	s_load_dwordx2 s[2:3], s[4:5], 0x0
	s_load_dwordx4 s[16:19], s[4:5], 0x8
	s_waitcnt lgkmcnt(0)
	v_cmp_neq_f64_e64 s0, s[14:15], 1.0
	s_and_b32 vcc_lo, exec_lo, s0
	s_cbranch_vccnz .LBB62_2
; %bb.1:
	v_cmp_neq_f64_e64 s0, s[16:17], 0
	s_cmp_lg_u32 s3, 0
	s_cselect_b32 s1, -1, 0
	s_and_b32 s0, s1, s0
.LBB62_2:
	s_andn2_b32 vcc_lo, exec_lo, s0
	s_cbranch_vccnz .LBB62_26
; %bb.3:
	v_cmp_eq_f64_e64 s0, s[16:17], 0
	s_load_dwordx2 s[10:11], s[4:5], 0x48
	s_lshl_b32 s9, s6, 5
	s_lshl_b32 s24, s7, 5
	s_cmp_lt_i32 s3, 1
	v_mov_b32_e32 v12, 0
	s_cselect_b32 s1, -1, 0
	v_mov_b32_e32 v6, 0
	v_mov_b32_e32 v4, 0
	;; [unrolled: 1-line block ×7, first 2 shown]
	s_mov_b32 s25, 0
	s_or_b32 s0, s0, s1
	s_and_b32 vcc_lo, exec_lo, s0
	s_cbranch_vccnz .LBB62_10
; %bb.4:
	s_load_dword s0, s[4:5], 0x18
	v_lshl_add_u32 v2, v1, 4, v0
	s_clause 0x1
	s_load_dwordx4 s[20:23], s[4:5], 0x20
	s_load_dword s6, s[4:5], 0x30
	v_and_b32_e32 v18, 7, v0
	v_mov_b32_e32 v12, 0
	v_lshlrev_b32_e32 v19, 3, v0
	v_and_b32_e32 v3, 31, v2
	v_lshrrev_b32_e32 v4, 3, v2
	v_lshlrev_b32_e32 v5, 3, v18
	v_lshrrev_b32_e32 v21, 5, v2
	v_lshl_add_u32 v20, v1, 6, 0x800
	v_add_nc_u32_e32 v7, s9, v3
	v_add_nc_u32_e32 v2, s24, v4
	v_lshl_or_b32 v8, v4, 6, v5
	v_or_b32_e32 v6, s9, v3
	v_lshlrev_b32_e32 v3, 3, v3
	v_lshlrev_b32_e32 v10, 3, v21
	v_mov_b32_e32 v13, 0
	v_add_nc_u32_e32 v23, 0x800, v8
	v_cmp_gt_i32_e32 vcc_lo, s2, v6
	s_waitcnt lgkmcnt(0)
	v_mad_i64_i32 v[4:5], null, s0, v7, 0
	s_mul_i32 s1, s21, s8
	s_mul_hi_u32 s7, s20, s8
	v_mad_i64_i32 v[6:7], null, s6, v18, 0
	s_mul_i32 s20, s20, s8
	s_add_i32 s21, s7, s1
	v_lshlrev_b64 v[4:5], 3, v[4:5]
	s_lshl_b64 s[20:21], s[20:21], 3
	v_lshl_or_b32 v22, v21, 8, v3
	v_ashrrev_i32_e32 v3, 31, v2
	s_mul_hi_u32 s7, s12, s8
	s_mul_i32 s12, s12, s8
	v_add_co_u32 v8, s1, v4, s20
	v_add_co_ci_u32_e64 v9, null, s21, v5, s1
	s_mul_i32 s1, s13, s8
	v_lshlrev_b64 v[4:5], 3, v[6:7]
	s_add_i32 s13, s7, s1
	v_add_co_u32 v6, s1, v8, v10
	s_lshl_b64 s[12:13], s[12:13], 3
	v_cmp_gt_i32_e64 s0, s2, v2
	v_lshlrev_b64 v[2:3], 3, v[2:3]
	v_add_co_ci_u32_e64 v7, null, 0, v9, s1
	v_add_co_u32 v4, s1, s12, v4
	v_add_co_ci_u32_e64 v5, null, s13, v5, s1
	v_add_co_u32 v8, s1, s18, v6
	;; [unrolled: 2-line block ×3, first 2 shown]
	v_add_co_ci_u32_e64 v11, null, v5, v3, s1
	v_mov_b32_e32 v2, 0
	v_add_co_u32 v10, s1, s22, v10
	v_mov_b32_e32 v4, 0
	v_mov_b32_e32 v6, 0
	v_mov_b32_e32 v3, 0
	v_mov_b32_e32 v5, 0
	v_mov_b32_e32 v7, 0
	v_add_co_ci_u32_e64 v11, null, s23, v11, s1
	s_ashr_i32 s7, s6, 31
	s_lshl_b64 s[6:7], s[6:7], 6
	s_branch .LBB62_6
.LBB62_5:                               ;   in Loop: Header=BB62_6 Depth=1
	s_or_b32 exec_lo, exec_lo, s1
	s_waitcnt vmcnt(0)
	ds_write_b64 v23, v[16:17]
	s_waitcnt lgkmcnt(0)
	s_barrier
	buffer_gl0_inv
	ds_read_b128 v[14:17], v20
	ds_read2_b64 v[24:27], v19 offset1:16
	ds_read_b128 v[28:31], v20 offset:1024
	ds_read_b128 v[32:35], v20 offset:16
	ds_read2_b64 v[36:39], v19 offset0:32 offset1:48
	ds_read_b128 v[40:43], v20 offset:1040
	v_add_co_u32 v8, s1, v8, 64
	v_add_co_ci_u32_e64 v9, null, 0, v9, s1
	v_add_co_u32 v10, s1, v10, s6
	v_add_co_ci_u32_e64 v11, null, s7, v11, s1
	s_add_i32 s25, s25, 8
	s_cmp_lt_i32 s25, s3
	s_waitcnt lgkmcnt(4)
	v_fma_f64 v[12:13], v[24:25], v[14:15], v[12:13]
	v_fma_f64 v[6:7], v[26:27], v[14:15], v[6:7]
	s_waitcnt lgkmcnt(3)
	v_fma_f64 v[14:15], v[24:25], v[28:29], v[4:5]
	v_fma_f64 v[24:25], v[26:27], v[28:29], v[2:3]
	ds_read2_b64 v[2:5], v19 offset0:64 offset1:80
	s_waitcnt lgkmcnt(2)
	v_fma_f64 v[26:27], v[36:37], v[16:17], v[12:13]
	v_fma_f64 v[6:7], v[38:39], v[16:17], v[6:7]
	;; [unrolled: 1-line block ×4, first 2 shown]
	ds_read2_b64 v[12:15], v19 offset0:96 offset1:112
	s_waitcnt lgkmcnt(1)
	v_fma_f64 v[28:29], v[2:3], v[32:33], v[26:27]
	v_fma_f64 v[6:7], v[4:5], v[32:33], v[6:7]
	;; [unrolled: 1-line block ×4, first 2 shown]
	ds_read_b128 v[2:5], v20 offset:32
	ds_read2_b64 v[24:27], v19 offset0:128 offset1:144
	s_waitcnt lgkmcnt(2)
	v_fma_f64 v[40:41], v[12:13], v[34:35], v[28:29]
	v_fma_f64 v[6:7], v[14:15], v[34:35], v[6:7]
	;; [unrolled: 1-line block ×4, first 2 shown]
	ds_read_b128 v[12:15], v20 offset:1056
	ds_read_b128 v[28:31], v20 offset:48
	ds_read2_b64 v[32:35], v19 offset0:160 offset1:176
	ds_read_b128 v[36:39], v20 offset:1072
	s_waitcnt lgkmcnt(4)
	v_fma_f64 v[40:41], v[24:25], v[2:3], v[40:41]
	v_fma_f64 v[2:3], v[26:27], v[2:3], v[6:7]
	s_waitcnt lgkmcnt(3)
	v_fma_f64 v[6:7], v[24:25], v[12:13], v[16:17]
	v_fma_f64 v[12:13], v[26:27], v[12:13], v[42:43]
	ds_read2_b64 v[24:27], v19 offset0:192 offset1:208
	s_waitcnt lgkmcnt(2)
	v_fma_f64 v[40:41], v[32:33], v[4:5], v[40:41]
	v_fma_f64 v[2:3], v[34:35], v[4:5], v[2:3]
	;; [unrolled: 1-line block ×4, first 2 shown]
	ds_read2_b64 v[14:17], v19 offset0:224 offset1:240
	s_waitcnt lgkmcnt(0)
	s_barrier
	buffer_gl0_inv
	v_fma_f64 v[12:13], v[24:25], v[28:29], v[40:41]
	v_fma_f64 v[2:3], v[26:27], v[28:29], v[2:3]
	;; [unrolled: 1-line block ×8, first 2 shown]
	s_cbranch_scc0 .LBB62_10
.LBB62_6:                               ; =>This Inner Loop Header: Depth=1
	v_add_nc_u32_e32 v14, s25, v21
	v_cmp_gt_i32_e64 s1, s3, v14
	v_mov_b32_e32 v14, 0
	v_mov_b32_e32 v15, 0
	s_and_b32 s12, vcc_lo, s1
	s_and_saveexec_b32 s1, s12
	s_cbranch_execz .LBB62_8
; %bb.7:                                ;   in Loop: Header=BB62_6 Depth=1
	global_load_dwordx2 v[14:15], v[8:9], off
.LBB62_8:                               ;   in Loop: Header=BB62_6 Depth=1
	s_or_b32 exec_lo, exec_lo, s1
	v_add_nc_u32_e32 v16, s25, v18
	s_waitcnt vmcnt(0)
	ds_write_b64 v22, v[14:15]
	v_cmp_gt_i32_e64 s1, s3, v16
	v_mov_b32_e32 v16, 0
	v_mov_b32_e32 v17, 0
	s_and_b32 s12, s1, s0
	s_and_saveexec_b32 s1, s12
	s_cbranch_execz .LBB62_5
; %bb.9:                                ;   in Loop: Header=BB62_6 Depth=1
	global_load_dwordx2 v[16:17], v[10:11], off
	s_branch .LBB62_5
.LBB62_10:
	s_clause 0x1
	s_load_dword s3, s[4:5], 0x50
	s_load_dwordx2 s[4:5], s[4:5], 0x58
	v_cmp_neq_f64_e64 s6, s[14:15], 0
	v_add_nc_u32_e32 v15, s24, v1
	v_add_nc_u32_e32 v0, s9, v0
	v_cmp_gt_i32_e64 s0, s2, v15
	v_cmp_le_i32_e32 vcc_lo, v0, v15
	v_ashrrev_i32_e32 v1, 31, v0
	s_waitcnt lgkmcnt(0)
	v_mad_i64_i32 v[8:9], null, v15, s3, 0
	s_mul_i32 s1, s5, s8
	s_mul_hi_u32 s5, s4, s8
	s_mul_i32 s4, s4, s8
	s_add_i32 s5, s5, s1
	v_cndmask_b32_e64 v14, 0, 1, s6
	s_lshl_b64 s[4:5], s[4:5], 3
	v_lshlrev_b64 v[8:9], 3, v[8:9]
	s_add_u32 s4, s10, s4
	s_addc_u32 s5, s11, s5
	s_and_b32 s7, s0, vcc_lo
	v_add_co_u32 v16, s1, s4, v8
	v_add_co_ci_u32_e64 v17, null, s5, v9, s1
	s_and_saveexec_b32 s1, s7
	s_cbranch_execz .LBB62_14
; %bb.11:
	v_mul_f64 v[8:9], s[16:17], v[12:13]
	v_lshlrev_b64 v[10:11], 3, v[0:1]
	v_add_co_u32 v10, vcc_lo, v16, v10
	v_add_co_ci_u32_e64 v11, null, v17, v11, vcc_lo
	s_andn2_b32 vcc_lo, exec_lo, s6
	s_cbranch_vccnz .LBB62_13
; %bb.12:
	global_load_dwordx2 v[12:13], v[10:11], off
	s_waitcnt vmcnt(0)
	v_fma_f64 v[8:9], s[14:15], v[12:13], v[8:9]
.LBB62_13:
	global_store_dwordx2 v[10:11], v[8:9], off
.LBB62_14:
	s_or_b32 exec_lo, exec_lo, s1
	v_add_nc_u32_e32 v8, 16, v0
	v_cmp_le_i32_e32 vcc_lo, v8, v15
	v_ashrrev_i32_e32 v9, 31, v8
	s_and_b32 s0, s0, vcc_lo
	s_and_saveexec_b32 s1, s0
	s_cbranch_execz .LBB62_18
; %bb.15:
	v_mul_f64 v[6:7], s[16:17], v[6:7]
	v_lshlrev_b64 v[10:11], 3, v[8:9]
	v_cmp_ne_u32_e32 vcc_lo, 1, v14
	v_add_co_u32 v10, s0, v16, v10
	v_add_co_ci_u32_e64 v11, null, v17, v11, s0
	s_cbranch_vccnz .LBB62_17
; %bb.16:
	global_load_dwordx2 v[12:13], v[10:11], off
	s_waitcnt vmcnt(0)
	v_fma_f64 v[6:7], s[14:15], v[12:13], v[6:7]
.LBB62_17:
	global_store_dwordx2 v[10:11], v[6:7], off
.LBB62_18:
	s_or_b32 exec_lo, exec_lo, s1
	v_add_nc_u32_e32 v10, 16, v15
	v_mad_i64_i32 v[6:7], null, v10, s3, 0
	v_cmp_gt_i32_e64 s0, s2, v10
	v_cmp_le_i32_e32 vcc_lo, v0, v10
	v_lshlrev_b64 v[6:7], 3, v[6:7]
	v_add_co_u32 v6, s1, s4, v6
	v_add_co_ci_u32_e64 v7, null, s5, v7, s1
	s_and_b32 s1, s0, vcc_lo
	s_and_saveexec_b32 s2, s1
	s_cbranch_execz .LBB62_22
; %bb.19:
	v_mul_f64 v[4:5], s[16:17], v[4:5]
	v_lshlrev_b64 v[0:1], 3, v[0:1]
	v_cmp_ne_u32_e32 vcc_lo, 1, v14
	v_add_co_u32 v0, s1, v6, v0
	v_add_co_ci_u32_e64 v1, null, v7, v1, s1
	s_cbranch_vccnz .LBB62_21
; %bb.20:
	global_load_dwordx2 v[11:12], v[0:1], off
	s_waitcnt vmcnt(0)
	v_fma_f64 v[4:5], s[14:15], v[11:12], v[4:5]
.LBB62_21:
	global_store_dwordx2 v[0:1], v[4:5], off
.LBB62_22:
	s_or_b32 exec_lo, exec_lo, s2
	v_cmp_le_i32_e32 vcc_lo, v8, v10
	s_and_b32 s0, s0, vcc_lo
	s_and_saveexec_b32 s1, s0
	s_cbranch_execz .LBB62_26
; %bb.23:
	v_mul_f64 v[0:1], s[16:17], v[2:3]
	v_lshlrev_b64 v[2:3], 3, v[8:9]
	v_cmp_ne_u32_e32 vcc_lo, 1, v14
	v_add_co_u32 v2, s0, v6, v2
	v_add_co_ci_u32_e64 v3, null, v7, v3, s0
	s_cbranch_vccnz .LBB62_25
; %bb.24:
	global_load_dwordx2 v[4:5], v[2:3], off
	s_waitcnt vmcnt(0)
	v_fma_f64 v[0:1], s[14:15], v[4:5], v[0:1]
.LBB62_25:
	global_store_dwordx2 v[2:3], v[0:1], off
.LBB62_26:
	s_endpgm
	.section	.rodata,"a",@progbits
	.p2align	6, 0x0
	.amdhsa_kernel _ZL29rocblas_internal_gemmt_kernelIiLi16ELi32ELi8ELc67ELc67ELc85ELb0ELb0EddPKdPdEviT_T9_T10_S3_lS5_S3_lS4_T11_S3_li
		.amdhsa_group_segment_fixed_size 4096
		.amdhsa_private_segment_fixed_size 0
		.amdhsa_kernarg_size 100
		.amdhsa_user_sgpr_count 6
		.amdhsa_user_sgpr_private_segment_buffer 1
		.amdhsa_user_sgpr_dispatch_ptr 0
		.amdhsa_user_sgpr_queue_ptr 0
		.amdhsa_user_sgpr_kernarg_segment_ptr 1
		.amdhsa_user_sgpr_dispatch_id 0
		.amdhsa_user_sgpr_flat_scratch_init 0
		.amdhsa_user_sgpr_private_segment_size 0
		.amdhsa_wavefront_size32 1
		.amdhsa_uses_dynamic_stack 0
		.amdhsa_system_sgpr_private_segment_wavefront_offset 0
		.amdhsa_system_sgpr_workgroup_id_x 1
		.amdhsa_system_sgpr_workgroup_id_y 1
		.amdhsa_system_sgpr_workgroup_id_z 1
		.amdhsa_system_sgpr_workgroup_info 0
		.amdhsa_system_vgpr_workitem_id 1
		.amdhsa_next_free_vgpr 44
		.amdhsa_next_free_sgpr 26
		.amdhsa_reserve_vcc 1
		.amdhsa_reserve_flat_scratch 0
		.amdhsa_float_round_mode_32 0
		.amdhsa_float_round_mode_16_64 0
		.amdhsa_float_denorm_mode_32 3
		.amdhsa_float_denorm_mode_16_64 3
		.amdhsa_dx10_clamp 1
		.amdhsa_ieee_mode 1
		.amdhsa_fp16_overflow 0
		.amdhsa_workgroup_processor_mode 1
		.amdhsa_memory_ordered 1
		.amdhsa_forward_progress 1
		.amdhsa_shared_vgpr_count 0
		.amdhsa_exception_fp_ieee_invalid_op 0
		.amdhsa_exception_fp_denorm_src 0
		.amdhsa_exception_fp_ieee_div_zero 0
		.amdhsa_exception_fp_ieee_overflow 0
		.amdhsa_exception_fp_ieee_underflow 0
		.amdhsa_exception_fp_ieee_inexact 0
		.amdhsa_exception_int_div_zero 0
	.end_amdhsa_kernel
	.section	.text._ZL29rocblas_internal_gemmt_kernelIiLi16ELi32ELi8ELc67ELc67ELc85ELb0ELb0EddPKdPdEviT_T9_T10_S3_lS5_S3_lS4_T11_S3_li,"axG",@progbits,_ZL29rocblas_internal_gemmt_kernelIiLi16ELi32ELi8ELc67ELc67ELc85ELb0ELb0EddPKdPdEviT_T9_T10_S3_lS5_S3_lS4_T11_S3_li,comdat
.Lfunc_end62:
	.size	_ZL29rocblas_internal_gemmt_kernelIiLi16ELi32ELi8ELc67ELc67ELc85ELb0ELb0EddPKdPdEviT_T9_T10_S3_lS5_S3_lS4_T11_S3_li, .Lfunc_end62-_ZL29rocblas_internal_gemmt_kernelIiLi16ELi32ELi8ELc67ELc67ELc85ELb0ELb0EddPKdPdEviT_T9_T10_S3_lS5_S3_lS4_T11_S3_li
                                        ; -- End function
	.set _ZL29rocblas_internal_gemmt_kernelIiLi16ELi32ELi8ELc67ELc67ELc85ELb0ELb0EddPKdPdEviT_T9_T10_S3_lS5_S3_lS4_T11_S3_li.num_vgpr, 44
	.set _ZL29rocblas_internal_gemmt_kernelIiLi16ELi32ELi8ELc67ELc67ELc85ELb0ELb0EddPKdPdEviT_T9_T10_S3_lS5_S3_lS4_T11_S3_li.num_agpr, 0
	.set _ZL29rocblas_internal_gemmt_kernelIiLi16ELi32ELi8ELc67ELc67ELc85ELb0ELb0EddPKdPdEviT_T9_T10_S3_lS5_S3_lS4_T11_S3_li.numbered_sgpr, 26
	.set _ZL29rocblas_internal_gemmt_kernelIiLi16ELi32ELi8ELc67ELc67ELc85ELb0ELb0EddPKdPdEviT_T9_T10_S3_lS5_S3_lS4_T11_S3_li.num_named_barrier, 0
	.set _ZL29rocblas_internal_gemmt_kernelIiLi16ELi32ELi8ELc67ELc67ELc85ELb0ELb0EddPKdPdEviT_T9_T10_S3_lS5_S3_lS4_T11_S3_li.private_seg_size, 0
	.set _ZL29rocblas_internal_gemmt_kernelIiLi16ELi32ELi8ELc67ELc67ELc85ELb0ELb0EddPKdPdEviT_T9_T10_S3_lS5_S3_lS4_T11_S3_li.uses_vcc, 1
	.set _ZL29rocblas_internal_gemmt_kernelIiLi16ELi32ELi8ELc67ELc67ELc85ELb0ELb0EddPKdPdEviT_T9_T10_S3_lS5_S3_lS4_T11_S3_li.uses_flat_scratch, 0
	.set _ZL29rocblas_internal_gemmt_kernelIiLi16ELi32ELi8ELc67ELc67ELc85ELb0ELb0EddPKdPdEviT_T9_T10_S3_lS5_S3_lS4_T11_S3_li.has_dyn_sized_stack, 0
	.set _ZL29rocblas_internal_gemmt_kernelIiLi16ELi32ELi8ELc67ELc67ELc85ELb0ELb0EddPKdPdEviT_T9_T10_S3_lS5_S3_lS4_T11_S3_li.has_recursion, 0
	.set _ZL29rocblas_internal_gemmt_kernelIiLi16ELi32ELi8ELc67ELc67ELc85ELb0ELb0EddPKdPdEviT_T9_T10_S3_lS5_S3_lS4_T11_S3_li.has_indirect_call, 0
	.section	.AMDGPU.csdata,"",@progbits
; Kernel info:
; codeLenInByte = 1644
; TotalNumSgprs: 28
; NumVgprs: 44
; ScratchSize: 0
; MemoryBound: 0
; FloatMode: 240
; IeeeMode: 1
; LDSByteSize: 4096 bytes/workgroup (compile time only)
; SGPRBlocks: 0
; VGPRBlocks: 5
; NumSGPRsForWavesPerEU: 28
; NumVGPRsForWavesPerEU: 44
; Occupancy: 16
; WaveLimiterHint : 0
; COMPUTE_PGM_RSRC2:SCRATCH_EN: 0
; COMPUTE_PGM_RSRC2:USER_SGPR: 6
; COMPUTE_PGM_RSRC2:TRAP_HANDLER: 0
; COMPUTE_PGM_RSRC2:TGID_X_EN: 1
; COMPUTE_PGM_RSRC2:TGID_Y_EN: 1
; COMPUTE_PGM_RSRC2:TGID_Z_EN: 1
; COMPUTE_PGM_RSRC2:TIDIG_COMP_CNT: 1
	.section	.text._ZL29rocblas_internal_gemmt_kernelIiLi16ELi32ELi8ELc78ELc78ELc76ELb0ELb0EddPKdPdEviT_T9_T10_S3_lS5_S3_lS4_T11_S3_li,"axG",@progbits,_ZL29rocblas_internal_gemmt_kernelIiLi16ELi32ELi8ELc78ELc78ELc76ELb0ELb0EddPKdPdEviT_T9_T10_S3_lS5_S3_lS4_T11_S3_li,comdat
	.globl	_ZL29rocblas_internal_gemmt_kernelIiLi16ELi32ELi8ELc78ELc78ELc76ELb0ELb0EddPKdPdEviT_T9_T10_S3_lS5_S3_lS4_T11_S3_li ; -- Begin function _ZL29rocblas_internal_gemmt_kernelIiLi16ELi32ELi8ELc78ELc78ELc76ELb0ELb0EddPKdPdEviT_T9_T10_S3_lS5_S3_lS4_T11_S3_li
	.p2align	8
	.type	_ZL29rocblas_internal_gemmt_kernelIiLi16ELi32ELi8ELc78ELc78ELc76ELb0ELb0EddPKdPdEviT_T9_T10_S3_lS5_S3_lS4_T11_S3_li,@function
_ZL29rocblas_internal_gemmt_kernelIiLi16ELi32ELi8ELc78ELc78ELc76ELb0ELb0EddPKdPdEviT_T9_T10_S3_lS5_S3_lS4_T11_S3_li: ; @_ZL29rocblas_internal_gemmt_kernelIiLi16ELi32ELi8ELc78ELc78ELc76ELb0ELb0EddPKdPdEviT_T9_T10_S3_lS5_S3_lS4_T11_S3_li
; %bb.0:
	s_clause 0x2
	s_load_dwordx4 s[12:15], s[4:5], 0x38
	s_load_dwordx2 s[2:3], s[4:5], 0x0
	s_load_dwordx4 s[16:19], s[4:5], 0x8
	s_waitcnt lgkmcnt(0)
	v_cmp_neq_f64_e64 s0, s[14:15], 1.0
	s_and_b32 vcc_lo, exec_lo, s0
	s_cbranch_vccnz .LBB63_2
; %bb.1:
	v_cmp_neq_f64_e64 s0, s[16:17], 0
	s_cmp_lg_u32 s3, 0
	s_cselect_b32 s1, -1, 0
	s_and_b32 s0, s1, s0
.LBB63_2:
	s_andn2_b32 vcc_lo, exec_lo, s0
	s_cbranch_vccnz .LBB63_26
; %bb.3:
	v_cmp_eq_f64_e64 s0, s[16:17], 0
	s_load_dwordx2 s[10:11], s[4:5], 0x48
	s_lshl_b32 s9, s6, 5
	s_lshl_b32 s24, s7, 5
	s_cmp_lt_i32 s3, 1
	v_mov_b32_e32 v12, 0
	s_cselect_b32 s1, -1, 0
	v_mov_b32_e32 v6, 0
	v_mov_b32_e32 v4, 0
	;; [unrolled: 1-line block ×7, first 2 shown]
	s_mov_b32 s25, 0
	s_or_b32 s0, s0, s1
	s_and_b32 vcc_lo, exec_lo, s0
	s_cbranch_vccnz .LBB63_10
; %bb.4:
	s_load_dword s6, s[4:5], 0x18
	v_lshl_add_u32 v2, v1, 4, v0
	s_clause 0x1
	s_load_dwordx4 s[20:23], s[4:5], 0x20
	s_load_dword s1, s[4:5], 0x30
	v_and_b32_e32 v18, 7, v0
	v_mov_b32_e32 v12, 0
	v_lshlrev_b32_e32 v19, 3, v0
	v_and_b32_e32 v3, 31, v2
	v_lshrrev_b32_e32 v4, 3, v2
	v_lshlrev_b32_e32 v10, 3, v18
	v_lshrrev_b32_e32 v21, 5, v2
	v_lshl_add_u32 v20, v1, 6, 0x800
	v_or_b32_e32 v5, s9, v3
	v_add_nc_u32_e32 v6, s24, v4
	v_lshl_or_b32 v8, v4, 6, v10
	v_lshlrev_b32_e32 v7, 3, v3
	v_add_nc_u32_e32 v2, s9, v3
	v_cmp_gt_i32_e32 vcc_lo, s2, v5
	v_cmp_gt_i32_e64 s0, s2, v6
	v_add_nc_u32_e32 v23, 0x800, v8
	v_lshl_or_b32 v22, v21, 8, v7
	s_waitcnt lgkmcnt(0)
	v_mad_i64_i32 v[4:5], null, v21, s6, 0
	s_mul_i32 s7, s21, s8
	s_mul_hi_u32 s21, s20, s8
	v_mad_i64_i32 v[6:7], null, s1, v6, 0
	v_ashrrev_i32_e32 v3, 31, v2
	s_mul_i32 s20, s20, s8
	v_lshlrev_b64 v[4:5], 3, v[4:5]
	s_add_i32 s21, s21, s7
	s_mul_hi_u32 s7, s12, s8
	s_lshl_b64 s[20:21], s[20:21], 3
	v_lshlrev_b64 v[2:3], 3, v[2:3]
	s_mul_i32 s12, s12, s8
	v_add_co_u32 v8, s1, v4, s20
	v_add_co_ci_u32_e64 v9, null, s21, v5, s1
	s_mul_i32 s1, s13, s8
	v_lshlrev_b64 v[4:5], 3, v[6:7]
	s_add_i32 s13, s7, s1
	v_add_co_u32 v2, s1, v8, v2
	s_lshl_b64 s[12:13], s[12:13], 3
	v_add_co_ci_u32_e64 v3, null, v9, v3, s1
	v_add_co_u32 v4, s1, v4, s12
	v_add_co_ci_u32_e64 v5, null, s13, v5, s1
	v_add_co_u32 v8, s1, s18, v2
	;; [unrolled: 2-line block ×3, first 2 shown]
	v_add_co_ci_u32_e64 v11, null, 0, v5, s1
	v_mov_b32_e32 v2, 0
	v_add_co_u32 v10, s1, s22, v10
	v_mov_b32_e32 v4, 0
	v_mov_b32_e32 v6, 0
	;; [unrolled: 1-line block ×6, first 2 shown]
	v_add_co_ci_u32_e64 v11, null, s23, v11, s1
	s_ashr_i32 s7, s6, 31
	s_lshl_b64 s[6:7], s[6:7], 6
	s_branch .LBB63_6
.LBB63_5:                               ;   in Loop: Header=BB63_6 Depth=1
	s_or_b32 exec_lo, exec_lo, s1
	s_waitcnt vmcnt(0)
	ds_write_b64 v23, v[16:17]
	s_waitcnt lgkmcnt(0)
	s_barrier
	buffer_gl0_inv
	ds_read_b128 v[14:17], v20
	ds_read2_b64 v[24:27], v19 offset1:16
	ds_read_b128 v[28:31], v20 offset:1024
	ds_read_b128 v[32:35], v20 offset:16
	ds_read2_b64 v[36:39], v19 offset0:32 offset1:48
	ds_read_b128 v[40:43], v20 offset:1040
	v_add_co_u32 v8, s1, v8, s6
	v_add_co_ci_u32_e64 v9, null, s7, v9, s1
	v_add_co_u32 v10, s1, v10, 64
	v_add_co_ci_u32_e64 v11, null, 0, v11, s1
	s_add_i32 s25, s25, 8
	s_cmp_lt_i32 s25, s3
	s_waitcnt lgkmcnt(4)
	v_fma_f64 v[12:13], v[24:25], v[14:15], v[12:13]
	v_fma_f64 v[6:7], v[26:27], v[14:15], v[6:7]
	s_waitcnt lgkmcnt(3)
	v_fma_f64 v[14:15], v[24:25], v[28:29], v[4:5]
	v_fma_f64 v[24:25], v[26:27], v[28:29], v[2:3]
	ds_read2_b64 v[2:5], v19 offset0:64 offset1:80
	s_waitcnt lgkmcnt(2)
	v_fma_f64 v[26:27], v[36:37], v[16:17], v[12:13]
	v_fma_f64 v[6:7], v[38:39], v[16:17], v[6:7]
	;; [unrolled: 1-line block ×4, first 2 shown]
	ds_read2_b64 v[12:15], v19 offset0:96 offset1:112
	s_waitcnt lgkmcnt(1)
	v_fma_f64 v[28:29], v[2:3], v[32:33], v[26:27]
	v_fma_f64 v[6:7], v[4:5], v[32:33], v[6:7]
	;; [unrolled: 1-line block ×4, first 2 shown]
	ds_read_b128 v[2:5], v20 offset:32
	ds_read2_b64 v[24:27], v19 offset0:128 offset1:144
	s_waitcnt lgkmcnt(2)
	v_fma_f64 v[40:41], v[12:13], v[34:35], v[28:29]
	v_fma_f64 v[6:7], v[14:15], v[34:35], v[6:7]
	;; [unrolled: 1-line block ×4, first 2 shown]
	ds_read_b128 v[12:15], v20 offset:1056
	ds_read_b128 v[28:31], v20 offset:48
	ds_read2_b64 v[32:35], v19 offset0:160 offset1:176
	ds_read_b128 v[36:39], v20 offset:1072
	s_waitcnt lgkmcnt(4)
	v_fma_f64 v[40:41], v[24:25], v[2:3], v[40:41]
	v_fma_f64 v[2:3], v[26:27], v[2:3], v[6:7]
	s_waitcnt lgkmcnt(3)
	v_fma_f64 v[6:7], v[24:25], v[12:13], v[16:17]
	v_fma_f64 v[12:13], v[26:27], v[12:13], v[42:43]
	ds_read2_b64 v[24:27], v19 offset0:192 offset1:208
	s_waitcnt lgkmcnt(2)
	v_fma_f64 v[40:41], v[32:33], v[4:5], v[40:41]
	v_fma_f64 v[2:3], v[34:35], v[4:5], v[2:3]
	;; [unrolled: 1-line block ×4, first 2 shown]
	ds_read2_b64 v[14:17], v19 offset0:224 offset1:240
	s_waitcnt lgkmcnt(0)
	s_barrier
	buffer_gl0_inv
	v_fma_f64 v[12:13], v[24:25], v[28:29], v[40:41]
	v_fma_f64 v[2:3], v[26:27], v[28:29], v[2:3]
	;; [unrolled: 1-line block ×8, first 2 shown]
	s_cbranch_scc0 .LBB63_10
.LBB63_6:                               ; =>This Inner Loop Header: Depth=1
	v_add_nc_u32_e32 v14, s25, v21
	v_cmp_gt_i32_e64 s1, s3, v14
	v_mov_b32_e32 v14, 0
	v_mov_b32_e32 v15, 0
	s_and_b32 s12, vcc_lo, s1
	s_and_saveexec_b32 s1, s12
	s_cbranch_execz .LBB63_8
; %bb.7:                                ;   in Loop: Header=BB63_6 Depth=1
	global_load_dwordx2 v[14:15], v[8:9], off
.LBB63_8:                               ;   in Loop: Header=BB63_6 Depth=1
	s_or_b32 exec_lo, exec_lo, s1
	v_add_nc_u32_e32 v16, s25, v18
	s_waitcnt vmcnt(0)
	ds_write_b64 v22, v[14:15]
	v_cmp_gt_i32_e64 s1, s3, v16
	v_mov_b32_e32 v16, 0
	v_mov_b32_e32 v17, 0
	s_and_b32 s12, s1, s0
	s_and_saveexec_b32 s1, s12
	s_cbranch_execz .LBB63_5
; %bb.9:                                ;   in Loop: Header=BB63_6 Depth=1
	global_load_dwordx2 v[16:17], v[10:11], off
	s_branch .LBB63_5
.LBB63_10:
	s_clause 0x1
	s_load_dword s3, s[4:5], 0x50
	s_load_dwordx2 s[4:5], s[4:5], 0x58
	v_cmp_neq_f64_e64 s6, s[14:15], 0
	v_add_nc_u32_e32 v15, s24, v1
	v_add_nc_u32_e32 v0, s9, v0
	v_cmp_le_i32_e32 vcc_lo, v15, v0
	v_cmp_gt_i32_e64 s0, s2, v0
	v_ashrrev_i32_e32 v1, 31, v0
	s_waitcnt lgkmcnt(0)
	v_mad_i64_i32 v[8:9], null, v15, s3, 0
	s_mul_i32 s1, s5, s8
	s_mul_hi_u32 s5, s4, s8
	s_mul_i32 s4, s4, s8
	s_add_i32 s5, s5, s1
	v_cndmask_b32_e64 v14, 0, 1, s6
	s_lshl_b64 s[4:5], s[4:5], 3
	v_lshlrev_b64 v[8:9], 3, v[8:9]
	s_add_u32 s4, s10, s4
	s_addc_u32 s5, s11, s5
	s_and_b32 s7, vcc_lo, s0
	v_add_co_u32 v16, s1, s4, v8
	v_add_co_ci_u32_e64 v17, null, s5, v9, s1
	s_and_saveexec_b32 s1, s7
	s_cbranch_execz .LBB63_14
; %bb.11:
	v_mul_f64 v[8:9], s[16:17], v[12:13]
	v_lshlrev_b64 v[10:11], 3, v[0:1]
	v_add_co_u32 v10, vcc_lo, v16, v10
	v_add_co_ci_u32_e64 v11, null, v17, v11, vcc_lo
	s_andn2_b32 vcc_lo, exec_lo, s6
	s_cbranch_vccnz .LBB63_13
; %bb.12:
	global_load_dwordx2 v[12:13], v[10:11], off
	s_waitcnt vmcnt(0)
	v_fma_f64 v[8:9], s[14:15], v[12:13], v[8:9]
.LBB63_13:
	global_store_dwordx2 v[10:11], v[8:9], off
.LBB63_14:
	s_or_b32 exec_lo, exec_lo, s1
	v_add_nc_u32_e32 v8, 16, v0
	v_cmp_le_i32_e32 vcc_lo, v15, v8
	v_cmp_gt_i32_e64 s1, s2, v8
	v_ashrrev_i32_e32 v9, 31, v8
	s_and_b32 s2, vcc_lo, s1
	s_and_saveexec_b32 s6, s2
	s_cbranch_execz .LBB63_18
; %bb.15:
	v_mul_f64 v[6:7], s[16:17], v[6:7]
	v_lshlrev_b64 v[10:11], 3, v[8:9]
	v_cmp_ne_u32_e32 vcc_lo, 1, v14
	v_add_co_u32 v10, s2, v16, v10
	v_add_co_ci_u32_e64 v11, null, v17, v11, s2
	s_cbranch_vccnz .LBB63_17
; %bb.16:
	global_load_dwordx2 v[12:13], v[10:11], off
	s_waitcnt vmcnt(0)
	v_fma_f64 v[6:7], s[14:15], v[12:13], v[6:7]
.LBB63_17:
	global_store_dwordx2 v[10:11], v[6:7], off
.LBB63_18:
	s_or_b32 exec_lo, exec_lo, s6
	v_add_nc_u32_e32 v10, 16, v15
	v_mad_i64_i32 v[6:7], null, v10, s3, 0
	v_cmp_le_i32_e32 vcc_lo, v10, v0
	s_and_b32 s0, vcc_lo, s0
	v_lshlrev_b64 v[6:7], 3, v[6:7]
	v_add_co_u32 v6, s2, s4, v6
	v_add_co_ci_u32_e64 v7, null, s5, v7, s2
	s_and_saveexec_b32 s2, s0
	s_cbranch_execz .LBB63_22
; %bb.19:
	v_mul_f64 v[4:5], s[16:17], v[4:5]
	v_lshlrev_b64 v[0:1], 3, v[0:1]
	v_cmp_ne_u32_e32 vcc_lo, 1, v14
	v_add_co_u32 v0, s0, v6, v0
	v_add_co_ci_u32_e64 v1, null, v7, v1, s0
	s_cbranch_vccnz .LBB63_21
; %bb.20:
	global_load_dwordx2 v[11:12], v[0:1], off
	s_waitcnt vmcnt(0)
	v_fma_f64 v[4:5], s[14:15], v[11:12], v[4:5]
.LBB63_21:
	global_store_dwordx2 v[0:1], v[4:5], off
.LBB63_22:
	s_or_b32 exec_lo, exec_lo, s2
	v_cmp_le_i32_e32 vcc_lo, v10, v8
	s_and_b32 s0, vcc_lo, s1
	s_and_saveexec_b32 s1, s0
	s_cbranch_execz .LBB63_26
; %bb.23:
	v_mul_f64 v[0:1], s[16:17], v[2:3]
	v_lshlrev_b64 v[2:3], 3, v[8:9]
	v_cmp_ne_u32_e32 vcc_lo, 1, v14
	v_add_co_u32 v2, s0, v6, v2
	v_add_co_ci_u32_e64 v3, null, v7, v3, s0
	s_cbranch_vccnz .LBB63_25
; %bb.24:
	global_load_dwordx2 v[4:5], v[2:3], off
	s_waitcnt vmcnt(0)
	v_fma_f64 v[0:1], s[14:15], v[4:5], v[0:1]
.LBB63_25:
	global_store_dwordx2 v[2:3], v[0:1], off
.LBB63_26:
	s_endpgm
	.section	.rodata,"a",@progbits
	.p2align	6, 0x0
	.amdhsa_kernel _ZL29rocblas_internal_gemmt_kernelIiLi16ELi32ELi8ELc78ELc78ELc76ELb0ELb0EddPKdPdEviT_T9_T10_S3_lS5_S3_lS4_T11_S3_li
		.amdhsa_group_segment_fixed_size 4096
		.amdhsa_private_segment_fixed_size 0
		.amdhsa_kernarg_size 100
		.amdhsa_user_sgpr_count 6
		.amdhsa_user_sgpr_private_segment_buffer 1
		.amdhsa_user_sgpr_dispatch_ptr 0
		.amdhsa_user_sgpr_queue_ptr 0
		.amdhsa_user_sgpr_kernarg_segment_ptr 1
		.amdhsa_user_sgpr_dispatch_id 0
		.amdhsa_user_sgpr_flat_scratch_init 0
		.amdhsa_user_sgpr_private_segment_size 0
		.amdhsa_wavefront_size32 1
		.amdhsa_uses_dynamic_stack 0
		.amdhsa_system_sgpr_private_segment_wavefront_offset 0
		.amdhsa_system_sgpr_workgroup_id_x 1
		.amdhsa_system_sgpr_workgroup_id_y 1
		.amdhsa_system_sgpr_workgroup_id_z 1
		.amdhsa_system_sgpr_workgroup_info 0
		.amdhsa_system_vgpr_workitem_id 1
		.amdhsa_next_free_vgpr 44
		.amdhsa_next_free_sgpr 26
		.amdhsa_reserve_vcc 1
		.amdhsa_reserve_flat_scratch 0
		.amdhsa_float_round_mode_32 0
		.amdhsa_float_round_mode_16_64 0
		.amdhsa_float_denorm_mode_32 3
		.amdhsa_float_denorm_mode_16_64 3
		.amdhsa_dx10_clamp 1
		.amdhsa_ieee_mode 1
		.amdhsa_fp16_overflow 0
		.amdhsa_workgroup_processor_mode 1
		.amdhsa_memory_ordered 1
		.amdhsa_forward_progress 1
		.amdhsa_shared_vgpr_count 0
		.amdhsa_exception_fp_ieee_invalid_op 0
		.amdhsa_exception_fp_denorm_src 0
		.amdhsa_exception_fp_ieee_div_zero 0
		.amdhsa_exception_fp_ieee_overflow 0
		.amdhsa_exception_fp_ieee_underflow 0
		.amdhsa_exception_fp_ieee_inexact 0
		.amdhsa_exception_int_div_zero 0
	.end_amdhsa_kernel
	.section	.text._ZL29rocblas_internal_gemmt_kernelIiLi16ELi32ELi8ELc78ELc78ELc76ELb0ELb0EddPKdPdEviT_T9_T10_S3_lS5_S3_lS4_T11_S3_li,"axG",@progbits,_ZL29rocblas_internal_gemmt_kernelIiLi16ELi32ELi8ELc78ELc78ELc76ELb0ELb0EddPKdPdEviT_T9_T10_S3_lS5_S3_lS4_T11_S3_li,comdat
.Lfunc_end63:
	.size	_ZL29rocblas_internal_gemmt_kernelIiLi16ELi32ELi8ELc78ELc78ELc76ELb0ELb0EddPKdPdEviT_T9_T10_S3_lS5_S3_lS4_T11_S3_li, .Lfunc_end63-_ZL29rocblas_internal_gemmt_kernelIiLi16ELi32ELi8ELc78ELc78ELc76ELb0ELb0EddPKdPdEviT_T9_T10_S3_lS5_S3_lS4_T11_S3_li
                                        ; -- End function
	.set _ZL29rocblas_internal_gemmt_kernelIiLi16ELi32ELi8ELc78ELc78ELc76ELb0ELb0EddPKdPdEviT_T9_T10_S3_lS5_S3_lS4_T11_S3_li.num_vgpr, 44
	.set _ZL29rocblas_internal_gemmt_kernelIiLi16ELi32ELi8ELc78ELc78ELc76ELb0ELb0EddPKdPdEviT_T9_T10_S3_lS5_S3_lS4_T11_S3_li.num_agpr, 0
	.set _ZL29rocblas_internal_gemmt_kernelIiLi16ELi32ELi8ELc78ELc78ELc76ELb0ELb0EddPKdPdEviT_T9_T10_S3_lS5_S3_lS4_T11_S3_li.numbered_sgpr, 26
	.set _ZL29rocblas_internal_gemmt_kernelIiLi16ELi32ELi8ELc78ELc78ELc76ELb0ELb0EddPKdPdEviT_T9_T10_S3_lS5_S3_lS4_T11_S3_li.num_named_barrier, 0
	.set _ZL29rocblas_internal_gemmt_kernelIiLi16ELi32ELi8ELc78ELc78ELc76ELb0ELb0EddPKdPdEviT_T9_T10_S3_lS5_S3_lS4_T11_S3_li.private_seg_size, 0
	.set _ZL29rocblas_internal_gemmt_kernelIiLi16ELi32ELi8ELc78ELc78ELc76ELb0ELb0EddPKdPdEviT_T9_T10_S3_lS5_S3_lS4_T11_S3_li.uses_vcc, 1
	.set _ZL29rocblas_internal_gemmt_kernelIiLi16ELi32ELi8ELc78ELc78ELc76ELb0ELb0EddPKdPdEviT_T9_T10_S3_lS5_S3_lS4_T11_S3_li.uses_flat_scratch, 0
	.set _ZL29rocblas_internal_gemmt_kernelIiLi16ELi32ELi8ELc78ELc78ELc76ELb0ELb0EddPKdPdEviT_T9_T10_S3_lS5_S3_lS4_T11_S3_li.has_dyn_sized_stack, 0
	.set _ZL29rocblas_internal_gemmt_kernelIiLi16ELi32ELi8ELc78ELc78ELc76ELb0ELb0EddPKdPdEviT_T9_T10_S3_lS5_S3_lS4_T11_S3_li.has_recursion, 0
	.set _ZL29rocblas_internal_gemmt_kernelIiLi16ELi32ELi8ELc78ELc78ELc76ELb0ELb0EddPKdPdEviT_T9_T10_S3_lS5_S3_lS4_T11_S3_li.has_indirect_call, 0
	.section	.AMDGPU.csdata,"",@progbits
; Kernel info:
; codeLenInByte = 1640
; TotalNumSgprs: 28
; NumVgprs: 44
; ScratchSize: 0
; MemoryBound: 0
; FloatMode: 240
; IeeeMode: 1
; LDSByteSize: 4096 bytes/workgroup (compile time only)
; SGPRBlocks: 0
; VGPRBlocks: 5
; NumSGPRsForWavesPerEU: 28
; NumVGPRsForWavesPerEU: 44
; Occupancy: 16
; WaveLimiterHint : 0
; COMPUTE_PGM_RSRC2:SCRATCH_EN: 0
; COMPUTE_PGM_RSRC2:USER_SGPR: 6
; COMPUTE_PGM_RSRC2:TRAP_HANDLER: 0
; COMPUTE_PGM_RSRC2:TGID_X_EN: 1
; COMPUTE_PGM_RSRC2:TGID_Y_EN: 1
; COMPUTE_PGM_RSRC2:TGID_Z_EN: 1
; COMPUTE_PGM_RSRC2:TIDIG_COMP_CNT: 1
	.section	.text._ZL29rocblas_internal_gemmt_kernelIiLi16ELi32ELi8ELc78ELc84ELc76ELb0ELb0EddPKdPdEviT_T9_T10_S3_lS5_S3_lS4_T11_S3_li,"axG",@progbits,_ZL29rocblas_internal_gemmt_kernelIiLi16ELi32ELi8ELc78ELc84ELc76ELb0ELb0EddPKdPdEviT_T9_T10_S3_lS5_S3_lS4_T11_S3_li,comdat
	.globl	_ZL29rocblas_internal_gemmt_kernelIiLi16ELi32ELi8ELc78ELc84ELc76ELb0ELb0EddPKdPdEviT_T9_T10_S3_lS5_S3_lS4_T11_S3_li ; -- Begin function _ZL29rocblas_internal_gemmt_kernelIiLi16ELi32ELi8ELc78ELc84ELc76ELb0ELb0EddPKdPdEviT_T9_T10_S3_lS5_S3_lS4_T11_S3_li
	.p2align	8
	.type	_ZL29rocblas_internal_gemmt_kernelIiLi16ELi32ELi8ELc78ELc84ELc76ELb0ELb0EddPKdPdEviT_T9_T10_S3_lS5_S3_lS4_T11_S3_li,@function
_ZL29rocblas_internal_gemmt_kernelIiLi16ELi32ELi8ELc78ELc84ELc76ELb0ELb0EddPKdPdEviT_T9_T10_S3_lS5_S3_lS4_T11_S3_li: ; @_ZL29rocblas_internal_gemmt_kernelIiLi16ELi32ELi8ELc78ELc84ELc76ELb0ELb0EddPKdPdEviT_T9_T10_S3_lS5_S3_lS4_T11_S3_li
; %bb.0:
	s_clause 0x2
	s_load_dwordx4 s[12:15], s[4:5], 0x38
	s_load_dwordx2 s[2:3], s[4:5], 0x0
	s_load_dwordx4 s[16:19], s[4:5], 0x8
	s_waitcnt lgkmcnt(0)
	v_cmp_neq_f64_e64 s0, s[14:15], 1.0
	s_and_b32 vcc_lo, exec_lo, s0
	s_cbranch_vccnz .LBB64_2
; %bb.1:
	v_cmp_neq_f64_e64 s0, s[16:17], 0
	s_cmp_lg_u32 s3, 0
	s_cselect_b32 s1, -1, 0
	s_and_b32 s0, s1, s0
.LBB64_2:
	s_andn2_b32 vcc_lo, exec_lo, s0
	s_cbranch_vccnz .LBB64_26
; %bb.3:
	v_cmp_eq_f64_e64 s0, s[16:17], 0
	s_load_dwordx2 s[10:11], s[4:5], 0x48
	s_lshl_b32 s9, s6, 5
	s_lshl_b32 s24, s7, 5
	s_cmp_lt_i32 s3, 1
	v_mov_b32_e32 v12, 0
	s_cselect_b32 s1, -1, 0
	v_mov_b32_e32 v6, 0
	v_mov_b32_e32 v4, 0
	v_mov_b32_e32 v2, 0
	v_mov_b32_e32 v13, 0
	v_mov_b32_e32 v7, 0
	v_mov_b32_e32 v5, 0
	v_mov_b32_e32 v3, 0
	s_mov_b32 s25, 0
	s_or_b32 s0, s0, s1
	s_and_b32 vcc_lo, exec_lo, s0
	s_cbranch_vccnz .LBB64_10
; %bb.4:
	s_clause 0x2
	s_load_dword s6, s[4:5], 0x18
	s_load_dwordx4 s[20:23], s[4:5], 0x20
	s_load_dword s26, s[4:5], 0x30
	v_lshl_add_u32 v2, v1, 4, v0
	v_and_b32_e32 v18, 7, v0
	s_mul_i32 s13, s13, s8
	s_mul_hi_u32 s27, s12, s8
	s_mul_i32 s12, s12, s8
	v_and_b32_e32 v6, 31, v2
	v_lshrrev_b32_e32 v3, 3, v2
	v_lshlrev_b32_e32 v4, 3, v18
	v_lshrrev_b32_e32 v19, 5, v2
	s_add_i32 s13, s27, s13
	v_or_b32_e32 v5, s9, v6
	v_add_nc_u32_e32 v2, s24, v3
	v_lshl_or_b32 v3, v3, 6, v4
	v_lshlrev_b32_e32 v7, 3, v6
	v_add_nc_u32_e32 v6, s9, v6
	v_cmp_gt_i32_e32 vcc_lo, s2, v5
	s_lshl_b64 s[12:13], s[12:13], 3
	s_waitcnt lgkmcnt(0)
	v_mad_i64_i32 v[4:5], null, v19, s6, 0
	s_mul_i32 s1, s21, s8
	s_mul_hi_u32 s21, s20, s8
	v_mad_i64_i32 v[8:9], null, s26, v18, 0
	v_lshl_or_b32 v20, v19, 8, v7
	v_ashrrev_i32_e32 v7, 31, v6
	v_lshlrev_b64 v[4:5], 3, v[4:5]
	s_add_i32 s21, s21, s1
	s_mul_i32 s20, s20, s8
	v_add_nc_u32_e32 v21, 0x800, v3
	s_lshl_b64 s[20:21], s[20:21], 3
	v_lshlrev_b64 v[6:7], 3, v[6:7]
	v_add_co_u32 v10, s1, v4, s20
	v_ashrrev_i32_e32 v3, 31, v2
	v_add_co_ci_u32_e64 v11, null, s21, v5, s1
	v_lshlrev_b64 v[4:5], 3, v[8:9]
	v_add_co_u32 v6, s1, v10, v6
	v_cmp_gt_i32_e64 s0, s2, v2
	v_lshlrev_b64 v[2:3], 3, v[2:3]
	v_add_co_ci_u32_e64 v7, null, v11, v7, s1
	v_add_co_u32 v4, s1, s12, v4
	v_add_co_ci_u32_e64 v5, null, s13, v5, s1
	v_add_co_u32 v8, s1, s18, v6
	;; [unrolled: 2-line block ×3, first 2 shown]
	v_add_co_ci_u32_e64 v11, null, v5, v3, s1
	v_mov_b32_e32 v2, 0
	v_add_co_u32 v10, s1, s22, v10
	v_mov_b32_e32 v4, 0
	v_mov_b32_e32 v6, 0
	;; [unrolled: 1-line block ×3, first 2 shown]
	v_lshlrev_b32_e32 v22, 3, v0
	v_lshl_add_u32 v23, v1, 6, 0x800
	v_mov_b32_e32 v3, 0
	v_mov_b32_e32 v5, 0
	;; [unrolled: 1-line block ×4, first 2 shown]
	v_add_co_ci_u32_e64 v11, null, s23, v11, s1
	s_ashr_i32 s7, s6, 31
	s_ashr_i32 s27, s26, 31
	s_lshl_b64 s[6:7], s[6:7], 6
	s_lshl_b64 s[12:13], s[26:27], 6
	s_branch .LBB64_6
.LBB64_5:                               ;   in Loop: Header=BB64_6 Depth=1
	s_or_b32 exec_lo, exec_lo, s1
	s_waitcnt vmcnt(0)
	ds_write_b64 v21, v[16:17]
	s_waitcnt lgkmcnt(0)
	s_barrier
	buffer_gl0_inv
	ds_read_b128 v[14:17], v23
	ds_read2_b64 v[24:27], v22 offset1:16
	ds_read_b128 v[28:31], v23 offset:1024
	ds_read_b128 v[32:35], v23 offset:16
	ds_read2_b64 v[36:39], v22 offset0:32 offset1:48
	ds_read_b128 v[40:43], v23 offset:1040
	v_add_co_u32 v8, s1, v8, s6
	v_add_co_ci_u32_e64 v9, null, s7, v9, s1
	v_add_co_u32 v10, s1, v10, s12
	v_add_co_ci_u32_e64 v11, null, s13, v11, s1
	s_add_i32 s25, s25, 8
	s_cmp_lt_i32 s25, s3
	s_waitcnt lgkmcnt(4)
	v_fma_f64 v[12:13], v[24:25], v[14:15], v[12:13]
	v_fma_f64 v[6:7], v[26:27], v[14:15], v[6:7]
	s_waitcnt lgkmcnt(3)
	v_fma_f64 v[14:15], v[24:25], v[28:29], v[4:5]
	v_fma_f64 v[24:25], v[26:27], v[28:29], v[2:3]
	ds_read2_b64 v[2:5], v22 offset0:64 offset1:80
	s_waitcnt lgkmcnt(2)
	v_fma_f64 v[26:27], v[36:37], v[16:17], v[12:13]
	v_fma_f64 v[6:7], v[38:39], v[16:17], v[6:7]
	;; [unrolled: 1-line block ×4, first 2 shown]
	ds_read2_b64 v[12:15], v22 offset0:96 offset1:112
	s_waitcnt lgkmcnt(1)
	v_fma_f64 v[28:29], v[2:3], v[32:33], v[26:27]
	v_fma_f64 v[6:7], v[4:5], v[32:33], v[6:7]
	;; [unrolled: 1-line block ×4, first 2 shown]
	ds_read_b128 v[2:5], v23 offset:32
	ds_read2_b64 v[24:27], v22 offset0:128 offset1:144
	s_waitcnt lgkmcnt(2)
	v_fma_f64 v[40:41], v[12:13], v[34:35], v[28:29]
	v_fma_f64 v[6:7], v[14:15], v[34:35], v[6:7]
	;; [unrolled: 1-line block ×4, first 2 shown]
	ds_read_b128 v[12:15], v23 offset:1056
	ds_read_b128 v[28:31], v23 offset:48
	ds_read2_b64 v[32:35], v22 offset0:160 offset1:176
	ds_read_b128 v[36:39], v23 offset:1072
	s_waitcnt lgkmcnt(4)
	v_fma_f64 v[40:41], v[24:25], v[2:3], v[40:41]
	v_fma_f64 v[2:3], v[26:27], v[2:3], v[6:7]
	s_waitcnt lgkmcnt(3)
	v_fma_f64 v[6:7], v[24:25], v[12:13], v[16:17]
	v_fma_f64 v[12:13], v[26:27], v[12:13], v[42:43]
	ds_read2_b64 v[24:27], v22 offset0:192 offset1:208
	s_waitcnt lgkmcnt(2)
	v_fma_f64 v[40:41], v[32:33], v[4:5], v[40:41]
	v_fma_f64 v[2:3], v[34:35], v[4:5], v[2:3]
	;; [unrolled: 1-line block ×4, first 2 shown]
	ds_read2_b64 v[14:17], v22 offset0:224 offset1:240
	s_waitcnt lgkmcnt(0)
	s_barrier
	buffer_gl0_inv
	v_fma_f64 v[12:13], v[24:25], v[28:29], v[40:41]
	v_fma_f64 v[2:3], v[26:27], v[28:29], v[2:3]
	v_fma_f64 v[4:5], v[24:25], v[36:37], v[4:5]
	v_fma_f64 v[24:25], v[26:27], v[36:37], v[6:7]
	v_fma_f64 v[12:13], v[14:15], v[30:31], v[12:13]
	v_fma_f64 v[6:7], v[16:17], v[30:31], v[2:3]
	v_fma_f64 v[4:5], v[14:15], v[38:39], v[4:5]
	v_fma_f64 v[2:3], v[16:17], v[38:39], v[24:25]
	s_cbranch_scc0 .LBB64_10
.LBB64_6:                               ; =>This Inner Loop Header: Depth=1
	v_add_nc_u32_e32 v14, s25, v19
	v_cmp_gt_i32_e64 s1, s3, v14
	v_mov_b32_e32 v14, 0
	v_mov_b32_e32 v15, 0
	s_and_b32 s18, vcc_lo, s1
	s_and_saveexec_b32 s1, s18
	s_cbranch_execz .LBB64_8
; %bb.7:                                ;   in Loop: Header=BB64_6 Depth=1
	global_load_dwordx2 v[14:15], v[8:9], off
.LBB64_8:                               ;   in Loop: Header=BB64_6 Depth=1
	s_or_b32 exec_lo, exec_lo, s1
	v_add_nc_u32_e32 v16, s25, v18
	s_waitcnt vmcnt(0)
	ds_write_b64 v20, v[14:15]
	v_cmp_gt_i32_e64 s1, s3, v16
	v_mov_b32_e32 v16, 0
	v_mov_b32_e32 v17, 0
	s_and_b32 s18, s1, s0
	s_and_saveexec_b32 s1, s18
	s_cbranch_execz .LBB64_5
; %bb.9:                                ;   in Loop: Header=BB64_6 Depth=1
	global_load_dwordx2 v[16:17], v[10:11], off
	s_branch .LBB64_5
.LBB64_10:
	s_clause 0x1
	s_load_dword s3, s[4:5], 0x50
	s_load_dwordx2 s[4:5], s[4:5], 0x58
	v_cmp_neq_f64_e64 s6, s[14:15], 0
	v_add_nc_u32_e32 v15, s24, v1
	v_add_nc_u32_e32 v0, s9, v0
	v_cmp_le_i32_e32 vcc_lo, v15, v0
	v_cmp_gt_i32_e64 s0, s2, v0
	v_ashrrev_i32_e32 v1, 31, v0
	s_waitcnt lgkmcnt(0)
	v_mad_i64_i32 v[8:9], null, v15, s3, 0
	s_mul_i32 s1, s5, s8
	s_mul_hi_u32 s5, s4, s8
	s_mul_i32 s4, s4, s8
	s_add_i32 s5, s5, s1
	v_cndmask_b32_e64 v14, 0, 1, s6
	s_lshl_b64 s[4:5], s[4:5], 3
	v_lshlrev_b64 v[8:9], 3, v[8:9]
	s_add_u32 s4, s10, s4
	s_addc_u32 s5, s11, s5
	s_and_b32 s7, vcc_lo, s0
	v_add_co_u32 v16, s1, s4, v8
	v_add_co_ci_u32_e64 v17, null, s5, v9, s1
	s_and_saveexec_b32 s1, s7
	s_cbranch_execz .LBB64_14
; %bb.11:
	v_mul_f64 v[8:9], s[16:17], v[12:13]
	v_lshlrev_b64 v[10:11], 3, v[0:1]
	v_add_co_u32 v10, vcc_lo, v16, v10
	v_add_co_ci_u32_e64 v11, null, v17, v11, vcc_lo
	s_andn2_b32 vcc_lo, exec_lo, s6
	s_cbranch_vccnz .LBB64_13
; %bb.12:
	global_load_dwordx2 v[12:13], v[10:11], off
	s_waitcnt vmcnt(0)
	v_fma_f64 v[8:9], s[14:15], v[12:13], v[8:9]
.LBB64_13:
	global_store_dwordx2 v[10:11], v[8:9], off
.LBB64_14:
	s_or_b32 exec_lo, exec_lo, s1
	v_add_nc_u32_e32 v8, 16, v0
	v_cmp_le_i32_e32 vcc_lo, v15, v8
	v_cmp_gt_i32_e64 s1, s2, v8
	v_ashrrev_i32_e32 v9, 31, v8
	s_and_b32 s2, vcc_lo, s1
	s_and_saveexec_b32 s6, s2
	s_cbranch_execz .LBB64_18
; %bb.15:
	v_mul_f64 v[6:7], s[16:17], v[6:7]
	v_lshlrev_b64 v[10:11], 3, v[8:9]
	v_cmp_ne_u32_e32 vcc_lo, 1, v14
	v_add_co_u32 v10, s2, v16, v10
	v_add_co_ci_u32_e64 v11, null, v17, v11, s2
	s_cbranch_vccnz .LBB64_17
; %bb.16:
	global_load_dwordx2 v[12:13], v[10:11], off
	s_waitcnt vmcnt(0)
	v_fma_f64 v[6:7], s[14:15], v[12:13], v[6:7]
.LBB64_17:
	global_store_dwordx2 v[10:11], v[6:7], off
.LBB64_18:
	s_or_b32 exec_lo, exec_lo, s6
	v_add_nc_u32_e32 v10, 16, v15
	v_mad_i64_i32 v[6:7], null, v10, s3, 0
	v_cmp_le_i32_e32 vcc_lo, v10, v0
	s_and_b32 s0, vcc_lo, s0
	v_lshlrev_b64 v[6:7], 3, v[6:7]
	v_add_co_u32 v6, s2, s4, v6
	v_add_co_ci_u32_e64 v7, null, s5, v7, s2
	s_and_saveexec_b32 s2, s0
	s_cbranch_execz .LBB64_22
; %bb.19:
	v_mul_f64 v[4:5], s[16:17], v[4:5]
	v_lshlrev_b64 v[0:1], 3, v[0:1]
	v_cmp_ne_u32_e32 vcc_lo, 1, v14
	v_add_co_u32 v0, s0, v6, v0
	v_add_co_ci_u32_e64 v1, null, v7, v1, s0
	s_cbranch_vccnz .LBB64_21
; %bb.20:
	global_load_dwordx2 v[11:12], v[0:1], off
	s_waitcnt vmcnt(0)
	v_fma_f64 v[4:5], s[14:15], v[11:12], v[4:5]
.LBB64_21:
	global_store_dwordx2 v[0:1], v[4:5], off
.LBB64_22:
	s_or_b32 exec_lo, exec_lo, s2
	v_cmp_le_i32_e32 vcc_lo, v10, v8
	s_and_b32 s0, vcc_lo, s1
	s_and_saveexec_b32 s1, s0
	s_cbranch_execz .LBB64_26
; %bb.23:
	v_mul_f64 v[0:1], s[16:17], v[2:3]
	v_lshlrev_b64 v[2:3], 3, v[8:9]
	v_cmp_ne_u32_e32 vcc_lo, 1, v14
	v_add_co_u32 v2, s0, v6, v2
	v_add_co_ci_u32_e64 v3, null, v7, v3, s0
	s_cbranch_vccnz .LBB64_25
; %bb.24:
	global_load_dwordx2 v[4:5], v[2:3], off
	s_waitcnt vmcnt(0)
	v_fma_f64 v[0:1], s[14:15], v[4:5], v[0:1]
.LBB64_25:
	global_store_dwordx2 v[2:3], v[0:1], off
.LBB64_26:
	s_endpgm
	.section	.rodata,"a",@progbits
	.p2align	6, 0x0
	.amdhsa_kernel _ZL29rocblas_internal_gemmt_kernelIiLi16ELi32ELi8ELc78ELc84ELc76ELb0ELb0EddPKdPdEviT_T9_T10_S3_lS5_S3_lS4_T11_S3_li
		.amdhsa_group_segment_fixed_size 4096
		.amdhsa_private_segment_fixed_size 0
		.amdhsa_kernarg_size 100
		.amdhsa_user_sgpr_count 6
		.amdhsa_user_sgpr_private_segment_buffer 1
		.amdhsa_user_sgpr_dispatch_ptr 0
		.amdhsa_user_sgpr_queue_ptr 0
		.amdhsa_user_sgpr_kernarg_segment_ptr 1
		.amdhsa_user_sgpr_dispatch_id 0
		.amdhsa_user_sgpr_flat_scratch_init 0
		.amdhsa_user_sgpr_private_segment_size 0
		.amdhsa_wavefront_size32 1
		.amdhsa_uses_dynamic_stack 0
		.amdhsa_system_sgpr_private_segment_wavefront_offset 0
		.amdhsa_system_sgpr_workgroup_id_x 1
		.amdhsa_system_sgpr_workgroup_id_y 1
		.amdhsa_system_sgpr_workgroup_id_z 1
		.amdhsa_system_sgpr_workgroup_info 0
		.amdhsa_system_vgpr_workitem_id 1
		.amdhsa_next_free_vgpr 44
		.amdhsa_next_free_sgpr 28
		.amdhsa_reserve_vcc 1
		.amdhsa_reserve_flat_scratch 0
		.amdhsa_float_round_mode_32 0
		.amdhsa_float_round_mode_16_64 0
		.amdhsa_float_denorm_mode_32 3
		.amdhsa_float_denorm_mode_16_64 3
		.amdhsa_dx10_clamp 1
		.amdhsa_ieee_mode 1
		.amdhsa_fp16_overflow 0
		.amdhsa_workgroup_processor_mode 1
		.amdhsa_memory_ordered 1
		.amdhsa_forward_progress 1
		.amdhsa_shared_vgpr_count 0
		.amdhsa_exception_fp_ieee_invalid_op 0
		.amdhsa_exception_fp_denorm_src 0
		.amdhsa_exception_fp_ieee_div_zero 0
		.amdhsa_exception_fp_ieee_overflow 0
		.amdhsa_exception_fp_ieee_underflow 0
		.amdhsa_exception_fp_ieee_inexact 0
		.amdhsa_exception_int_div_zero 0
	.end_amdhsa_kernel
	.section	.text._ZL29rocblas_internal_gemmt_kernelIiLi16ELi32ELi8ELc78ELc84ELc76ELb0ELb0EddPKdPdEviT_T9_T10_S3_lS5_S3_lS4_T11_S3_li,"axG",@progbits,_ZL29rocblas_internal_gemmt_kernelIiLi16ELi32ELi8ELc78ELc84ELc76ELb0ELb0EddPKdPdEviT_T9_T10_S3_lS5_S3_lS4_T11_S3_li,comdat
.Lfunc_end64:
	.size	_ZL29rocblas_internal_gemmt_kernelIiLi16ELi32ELi8ELc78ELc84ELc76ELb0ELb0EddPKdPdEviT_T9_T10_S3_lS5_S3_lS4_T11_S3_li, .Lfunc_end64-_ZL29rocblas_internal_gemmt_kernelIiLi16ELi32ELi8ELc78ELc84ELc76ELb0ELb0EddPKdPdEviT_T9_T10_S3_lS5_S3_lS4_T11_S3_li
                                        ; -- End function
	.set _ZL29rocblas_internal_gemmt_kernelIiLi16ELi32ELi8ELc78ELc84ELc76ELb0ELb0EddPKdPdEviT_T9_T10_S3_lS5_S3_lS4_T11_S3_li.num_vgpr, 44
	.set _ZL29rocblas_internal_gemmt_kernelIiLi16ELi32ELi8ELc78ELc84ELc76ELb0ELb0EddPKdPdEviT_T9_T10_S3_lS5_S3_lS4_T11_S3_li.num_agpr, 0
	.set _ZL29rocblas_internal_gemmt_kernelIiLi16ELi32ELi8ELc78ELc84ELc76ELb0ELb0EddPKdPdEviT_T9_T10_S3_lS5_S3_lS4_T11_S3_li.numbered_sgpr, 28
	.set _ZL29rocblas_internal_gemmt_kernelIiLi16ELi32ELi8ELc78ELc84ELc76ELb0ELb0EddPKdPdEviT_T9_T10_S3_lS5_S3_lS4_T11_S3_li.num_named_barrier, 0
	.set _ZL29rocblas_internal_gemmt_kernelIiLi16ELi32ELi8ELc78ELc84ELc76ELb0ELb0EddPKdPdEviT_T9_T10_S3_lS5_S3_lS4_T11_S3_li.private_seg_size, 0
	.set _ZL29rocblas_internal_gemmt_kernelIiLi16ELi32ELi8ELc78ELc84ELc76ELb0ELb0EddPKdPdEviT_T9_T10_S3_lS5_S3_lS4_T11_S3_li.uses_vcc, 1
	.set _ZL29rocblas_internal_gemmt_kernelIiLi16ELi32ELi8ELc78ELc84ELc76ELb0ELb0EddPKdPdEviT_T9_T10_S3_lS5_S3_lS4_T11_S3_li.uses_flat_scratch, 0
	.set _ZL29rocblas_internal_gemmt_kernelIiLi16ELi32ELi8ELc78ELc84ELc76ELb0ELb0EddPKdPdEviT_T9_T10_S3_lS5_S3_lS4_T11_S3_li.has_dyn_sized_stack, 0
	.set _ZL29rocblas_internal_gemmt_kernelIiLi16ELi32ELi8ELc78ELc84ELc76ELb0ELb0EddPKdPdEviT_T9_T10_S3_lS5_S3_lS4_T11_S3_li.has_recursion, 0
	.set _ZL29rocblas_internal_gemmt_kernelIiLi16ELi32ELi8ELc78ELc84ELc76ELb0ELb0EddPKdPdEviT_T9_T10_S3_lS5_S3_lS4_T11_S3_li.has_indirect_call, 0
	.section	.AMDGPU.csdata,"",@progbits
; Kernel info:
; codeLenInByte = 1660
; TotalNumSgprs: 30
; NumVgprs: 44
; ScratchSize: 0
; MemoryBound: 0
; FloatMode: 240
; IeeeMode: 1
; LDSByteSize: 4096 bytes/workgroup (compile time only)
; SGPRBlocks: 0
; VGPRBlocks: 5
; NumSGPRsForWavesPerEU: 30
; NumVGPRsForWavesPerEU: 44
; Occupancy: 16
; WaveLimiterHint : 0
; COMPUTE_PGM_RSRC2:SCRATCH_EN: 0
; COMPUTE_PGM_RSRC2:USER_SGPR: 6
; COMPUTE_PGM_RSRC2:TRAP_HANDLER: 0
; COMPUTE_PGM_RSRC2:TGID_X_EN: 1
; COMPUTE_PGM_RSRC2:TGID_Y_EN: 1
; COMPUTE_PGM_RSRC2:TGID_Z_EN: 1
; COMPUTE_PGM_RSRC2:TIDIG_COMP_CNT: 1
	.section	.text._ZL29rocblas_internal_gemmt_kernelIiLi16ELi32ELi8ELc78ELc67ELc76ELb0ELb0EddPKdPdEviT_T9_T10_S3_lS5_S3_lS4_T11_S3_li,"axG",@progbits,_ZL29rocblas_internal_gemmt_kernelIiLi16ELi32ELi8ELc78ELc67ELc76ELb0ELb0EddPKdPdEviT_T9_T10_S3_lS5_S3_lS4_T11_S3_li,comdat
	.globl	_ZL29rocblas_internal_gemmt_kernelIiLi16ELi32ELi8ELc78ELc67ELc76ELb0ELb0EddPKdPdEviT_T9_T10_S3_lS5_S3_lS4_T11_S3_li ; -- Begin function _ZL29rocblas_internal_gemmt_kernelIiLi16ELi32ELi8ELc78ELc67ELc76ELb0ELb0EddPKdPdEviT_T9_T10_S3_lS5_S3_lS4_T11_S3_li
	.p2align	8
	.type	_ZL29rocblas_internal_gemmt_kernelIiLi16ELi32ELi8ELc78ELc67ELc76ELb0ELb0EddPKdPdEviT_T9_T10_S3_lS5_S3_lS4_T11_S3_li,@function
_ZL29rocblas_internal_gemmt_kernelIiLi16ELi32ELi8ELc78ELc67ELc76ELb0ELb0EddPKdPdEviT_T9_T10_S3_lS5_S3_lS4_T11_S3_li: ; @_ZL29rocblas_internal_gemmt_kernelIiLi16ELi32ELi8ELc78ELc67ELc76ELb0ELb0EddPKdPdEviT_T9_T10_S3_lS5_S3_lS4_T11_S3_li
; %bb.0:
	s_clause 0x2
	s_load_dwordx4 s[12:15], s[4:5], 0x38
	s_load_dwordx2 s[2:3], s[4:5], 0x0
	s_load_dwordx4 s[16:19], s[4:5], 0x8
	s_waitcnt lgkmcnt(0)
	v_cmp_neq_f64_e64 s0, s[14:15], 1.0
	s_and_b32 vcc_lo, exec_lo, s0
	s_cbranch_vccnz .LBB65_2
; %bb.1:
	v_cmp_neq_f64_e64 s0, s[16:17], 0
	s_cmp_lg_u32 s3, 0
	s_cselect_b32 s1, -1, 0
	s_and_b32 s0, s1, s0
.LBB65_2:
	s_andn2_b32 vcc_lo, exec_lo, s0
	s_cbranch_vccnz .LBB65_26
; %bb.3:
	v_cmp_eq_f64_e64 s0, s[16:17], 0
	s_load_dwordx2 s[10:11], s[4:5], 0x48
	s_lshl_b32 s9, s6, 5
	s_lshl_b32 s24, s7, 5
	s_cmp_lt_i32 s3, 1
	v_mov_b32_e32 v12, 0
	s_cselect_b32 s1, -1, 0
	v_mov_b32_e32 v6, 0
	v_mov_b32_e32 v4, 0
	;; [unrolled: 1-line block ×7, first 2 shown]
	s_mov_b32 s25, 0
	s_or_b32 s0, s0, s1
	s_and_b32 vcc_lo, exec_lo, s0
	s_cbranch_vccnz .LBB65_10
; %bb.4:
	s_clause 0x2
	s_load_dword s6, s[4:5], 0x18
	s_load_dwordx4 s[20:23], s[4:5], 0x20
	s_load_dword s26, s[4:5], 0x30
	v_lshl_add_u32 v2, v1, 4, v0
	v_and_b32_e32 v18, 7, v0
	s_mul_i32 s13, s13, s8
	s_mul_hi_u32 s27, s12, s8
	s_mul_i32 s12, s12, s8
	v_and_b32_e32 v6, 31, v2
	v_lshrrev_b32_e32 v3, 3, v2
	v_lshlrev_b32_e32 v4, 3, v18
	v_lshrrev_b32_e32 v19, 5, v2
	s_add_i32 s13, s27, s13
	v_or_b32_e32 v5, s9, v6
	v_add_nc_u32_e32 v2, s24, v3
	v_lshl_or_b32 v3, v3, 6, v4
	v_lshlrev_b32_e32 v7, 3, v6
	v_add_nc_u32_e32 v6, s9, v6
	v_cmp_gt_i32_e32 vcc_lo, s2, v5
	s_lshl_b64 s[12:13], s[12:13], 3
	s_waitcnt lgkmcnt(0)
	v_mad_i64_i32 v[4:5], null, v19, s6, 0
	s_mul_i32 s1, s21, s8
	s_mul_hi_u32 s21, s20, s8
	v_mad_i64_i32 v[8:9], null, s26, v18, 0
	v_lshl_or_b32 v20, v19, 8, v7
	v_ashrrev_i32_e32 v7, 31, v6
	v_lshlrev_b64 v[4:5], 3, v[4:5]
	s_add_i32 s21, s21, s1
	s_mul_i32 s20, s20, s8
	v_add_nc_u32_e32 v21, 0x800, v3
	s_lshl_b64 s[20:21], s[20:21], 3
	v_lshlrev_b64 v[6:7], 3, v[6:7]
	v_add_co_u32 v10, s1, v4, s20
	v_ashrrev_i32_e32 v3, 31, v2
	v_add_co_ci_u32_e64 v11, null, s21, v5, s1
	v_lshlrev_b64 v[4:5], 3, v[8:9]
	v_add_co_u32 v6, s1, v10, v6
	v_cmp_gt_i32_e64 s0, s2, v2
	v_lshlrev_b64 v[2:3], 3, v[2:3]
	v_add_co_ci_u32_e64 v7, null, v11, v7, s1
	v_add_co_u32 v4, s1, s12, v4
	v_add_co_ci_u32_e64 v5, null, s13, v5, s1
	v_add_co_u32 v8, s1, s18, v6
	;; [unrolled: 2-line block ×3, first 2 shown]
	v_add_co_ci_u32_e64 v11, null, v5, v3, s1
	v_mov_b32_e32 v2, 0
	v_add_co_u32 v10, s1, s22, v10
	v_mov_b32_e32 v4, 0
	v_mov_b32_e32 v6, 0
	;; [unrolled: 1-line block ×3, first 2 shown]
	v_lshlrev_b32_e32 v22, 3, v0
	v_lshl_add_u32 v23, v1, 6, 0x800
	v_mov_b32_e32 v3, 0
	v_mov_b32_e32 v5, 0
	;; [unrolled: 1-line block ×4, first 2 shown]
	v_add_co_ci_u32_e64 v11, null, s23, v11, s1
	s_ashr_i32 s7, s6, 31
	s_ashr_i32 s27, s26, 31
	s_lshl_b64 s[6:7], s[6:7], 6
	s_lshl_b64 s[12:13], s[26:27], 6
	s_branch .LBB65_6
.LBB65_5:                               ;   in Loop: Header=BB65_6 Depth=1
	s_or_b32 exec_lo, exec_lo, s1
	s_waitcnt vmcnt(0)
	ds_write_b64 v21, v[16:17]
	s_waitcnt lgkmcnt(0)
	s_barrier
	buffer_gl0_inv
	ds_read_b128 v[14:17], v23
	ds_read2_b64 v[24:27], v22 offset1:16
	ds_read_b128 v[28:31], v23 offset:1024
	ds_read_b128 v[32:35], v23 offset:16
	ds_read2_b64 v[36:39], v22 offset0:32 offset1:48
	ds_read_b128 v[40:43], v23 offset:1040
	v_add_co_u32 v8, s1, v8, s6
	v_add_co_ci_u32_e64 v9, null, s7, v9, s1
	v_add_co_u32 v10, s1, v10, s12
	v_add_co_ci_u32_e64 v11, null, s13, v11, s1
	s_add_i32 s25, s25, 8
	s_cmp_lt_i32 s25, s3
	s_waitcnt lgkmcnt(4)
	v_fma_f64 v[12:13], v[24:25], v[14:15], v[12:13]
	v_fma_f64 v[6:7], v[26:27], v[14:15], v[6:7]
	s_waitcnt lgkmcnt(3)
	v_fma_f64 v[14:15], v[24:25], v[28:29], v[4:5]
	v_fma_f64 v[24:25], v[26:27], v[28:29], v[2:3]
	ds_read2_b64 v[2:5], v22 offset0:64 offset1:80
	s_waitcnt lgkmcnt(2)
	v_fma_f64 v[26:27], v[36:37], v[16:17], v[12:13]
	v_fma_f64 v[6:7], v[38:39], v[16:17], v[6:7]
	v_fma_f64 v[16:17], v[36:37], v[30:31], v[14:15]
	v_fma_f64 v[24:25], v[38:39], v[30:31], v[24:25]
	ds_read2_b64 v[12:15], v22 offset0:96 offset1:112
	s_waitcnt lgkmcnt(1)
	v_fma_f64 v[28:29], v[2:3], v[32:33], v[26:27]
	v_fma_f64 v[6:7], v[4:5], v[32:33], v[6:7]
	;; [unrolled: 1-line block ×4, first 2 shown]
	ds_read_b128 v[2:5], v23 offset:32
	ds_read2_b64 v[24:27], v22 offset0:128 offset1:144
	s_waitcnt lgkmcnt(2)
	v_fma_f64 v[40:41], v[12:13], v[34:35], v[28:29]
	v_fma_f64 v[6:7], v[14:15], v[34:35], v[6:7]
	v_fma_f64 v[16:17], v[12:13], v[42:43], v[16:17]
	v_fma_f64 v[42:43], v[14:15], v[42:43], v[30:31]
	ds_read_b128 v[12:15], v23 offset:1056
	ds_read_b128 v[28:31], v23 offset:48
	ds_read2_b64 v[32:35], v22 offset0:160 offset1:176
	ds_read_b128 v[36:39], v23 offset:1072
	s_waitcnt lgkmcnt(4)
	v_fma_f64 v[40:41], v[24:25], v[2:3], v[40:41]
	v_fma_f64 v[2:3], v[26:27], v[2:3], v[6:7]
	s_waitcnt lgkmcnt(3)
	v_fma_f64 v[6:7], v[24:25], v[12:13], v[16:17]
	v_fma_f64 v[12:13], v[26:27], v[12:13], v[42:43]
	ds_read2_b64 v[24:27], v22 offset0:192 offset1:208
	s_waitcnt lgkmcnt(2)
	v_fma_f64 v[40:41], v[32:33], v[4:5], v[40:41]
	v_fma_f64 v[2:3], v[34:35], v[4:5], v[2:3]
	;; [unrolled: 1-line block ×4, first 2 shown]
	ds_read2_b64 v[14:17], v22 offset0:224 offset1:240
	s_waitcnt lgkmcnt(0)
	s_barrier
	buffer_gl0_inv
	v_fma_f64 v[12:13], v[24:25], v[28:29], v[40:41]
	v_fma_f64 v[2:3], v[26:27], v[28:29], v[2:3]
	;; [unrolled: 1-line block ×8, first 2 shown]
	s_cbranch_scc0 .LBB65_10
.LBB65_6:                               ; =>This Inner Loop Header: Depth=1
	v_add_nc_u32_e32 v14, s25, v19
	v_cmp_gt_i32_e64 s1, s3, v14
	v_mov_b32_e32 v14, 0
	v_mov_b32_e32 v15, 0
	s_and_b32 s18, vcc_lo, s1
	s_and_saveexec_b32 s1, s18
	s_cbranch_execz .LBB65_8
; %bb.7:                                ;   in Loop: Header=BB65_6 Depth=1
	global_load_dwordx2 v[14:15], v[8:9], off
.LBB65_8:                               ;   in Loop: Header=BB65_6 Depth=1
	s_or_b32 exec_lo, exec_lo, s1
	v_add_nc_u32_e32 v16, s25, v18
	s_waitcnt vmcnt(0)
	ds_write_b64 v20, v[14:15]
	v_cmp_gt_i32_e64 s1, s3, v16
	v_mov_b32_e32 v16, 0
	v_mov_b32_e32 v17, 0
	s_and_b32 s18, s1, s0
	s_and_saveexec_b32 s1, s18
	s_cbranch_execz .LBB65_5
; %bb.9:                                ;   in Loop: Header=BB65_6 Depth=1
	global_load_dwordx2 v[16:17], v[10:11], off
	s_branch .LBB65_5
.LBB65_10:
	s_clause 0x1
	s_load_dword s3, s[4:5], 0x50
	s_load_dwordx2 s[4:5], s[4:5], 0x58
	v_cmp_neq_f64_e64 s6, s[14:15], 0
	v_add_nc_u32_e32 v15, s24, v1
	v_add_nc_u32_e32 v0, s9, v0
	v_cmp_le_i32_e32 vcc_lo, v15, v0
	v_cmp_gt_i32_e64 s0, s2, v0
	v_ashrrev_i32_e32 v1, 31, v0
	s_waitcnt lgkmcnt(0)
	v_mad_i64_i32 v[8:9], null, v15, s3, 0
	s_mul_i32 s1, s5, s8
	s_mul_hi_u32 s5, s4, s8
	s_mul_i32 s4, s4, s8
	s_add_i32 s5, s5, s1
	v_cndmask_b32_e64 v14, 0, 1, s6
	s_lshl_b64 s[4:5], s[4:5], 3
	v_lshlrev_b64 v[8:9], 3, v[8:9]
	s_add_u32 s4, s10, s4
	s_addc_u32 s5, s11, s5
	s_and_b32 s7, vcc_lo, s0
	v_add_co_u32 v16, s1, s4, v8
	v_add_co_ci_u32_e64 v17, null, s5, v9, s1
	s_and_saveexec_b32 s1, s7
	s_cbranch_execz .LBB65_14
; %bb.11:
	v_mul_f64 v[8:9], s[16:17], v[12:13]
	v_lshlrev_b64 v[10:11], 3, v[0:1]
	v_add_co_u32 v10, vcc_lo, v16, v10
	v_add_co_ci_u32_e64 v11, null, v17, v11, vcc_lo
	s_andn2_b32 vcc_lo, exec_lo, s6
	s_cbranch_vccnz .LBB65_13
; %bb.12:
	global_load_dwordx2 v[12:13], v[10:11], off
	s_waitcnt vmcnt(0)
	v_fma_f64 v[8:9], s[14:15], v[12:13], v[8:9]
.LBB65_13:
	global_store_dwordx2 v[10:11], v[8:9], off
.LBB65_14:
	s_or_b32 exec_lo, exec_lo, s1
	v_add_nc_u32_e32 v8, 16, v0
	v_cmp_le_i32_e32 vcc_lo, v15, v8
	v_cmp_gt_i32_e64 s1, s2, v8
	v_ashrrev_i32_e32 v9, 31, v8
	s_and_b32 s2, vcc_lo, s1
	s_and_saveexec_b32 s6, s2
	s_cbranch_execz .LBB65_18
; %bb.15:
	v_mul_f64 v[6:7], s[16:17], v[6:7]
	v_lshlrev_b64 v[10:11], 3, v[8:9]
	v_cmp_ne_u32_e32 vcc_lo, 1, v14
	v_add_co_u32 v10, s2, v16, v10
	v_add_co_ci_u32_e64 v11, null, v17, v11, s2
	s_cbranch_vccnz .LBB65_17
; %bb.16:
	global_load_dwordx2 v[12:13], v[10:11], off
	s_waitcnt vmcnt(0)
	v_fma_f64 v[6:7], s[14:15], v[12:13], v[6:7]
.LBB65_17:
	global_store_dwordx2 v[10:11], v[6:7], off
.LBB65_18:
	s_or_b32 exec_lo, exec_lo, s6
	v_add_nc_u32_e32 v10, 16, v15
	v_mad_i64_i32 v[6:7], null, v10, s3, 0
	v_cmp_le_i32_e32 vcc_lo, v10, v0
	s_and_b32 s0, vcc_lo, s0
	v_lshlrev_b64 v[6:7], 3, v[6:7]
	v_add_co_u32 v6, s2, s4, v6
	v_add_co_ci_u32_e64 v7, null, s5, v7, s2
	s_and_saveexec_b32 s2, s0
	s_cbranch_execz .LBB65_22
; %bb.19:
	v_mul_f64 v[4:5], s[16:17], v[4:5]
	v_lshlrev_b64 v[0:1], 3, v[0:1]
	v_cmp_ne_u32_e32 vcc_lo, 1, v14
	v_add_co_u32 v0, s0, v6, v0
	v_add_co_ci_u32_e64 v1, null, v7, v1, s0
	s_cbranch_vccnz .LBB65_21
; %bb.20:
	global_load_dwordx2 v[11:12], v[0:1], off
	s_waitcnt vmcnt(0)
	v_fma_f64 v[4:5], s[14:15], v[11:12], v[4:5]
.LBB65_21:
	global_store_dwordx2 v[0:1], v[4:5], off
.LBB65_22:
	s_or_b32 exec_lo, exec_lo, s2
	v_cmp_le_i32_e32 vcc_lo, v10, v8
	s_and_b32 s0, vcc_lo, s1
	s_and_saveexec_b32 s1, s0
	s_cbranch_execz .LBB65_26
; %bb.23:
	v_mul_f64 v[0:1], s[16:17], v[2:3]
	v_lshlrev_b64 v[2:3], 3, v[8:9]
	v_cmp_ne_u32_e32 vcc_lo, 1, v14
	v_add_co_u32 v2, s0, v6, v2
	v_add_co_ci_u32_e64 v3, null, v7, v3, s0
	s_cbranch_vccnz .LBB65_25
; %bb.24:
	global_load_dwordx2 v[4:5], v[2:3], off
	s_waitcnt vmcnt(0)
	v_fma_f64 v[0:1], s[14:15], v[4:5], v[0:1]
.LBB65_25:
	global_store_dwordx2 v[2:3], v[0:1], off
.LBB65_26:
	s_endpgm
	.section	.rodata,"a",@progbits
	.p2align	6, 0x0
	.amdhsa_kernel _ZL29rocblas_internal_gemmt_kernelIiLi16ELi32ELi8ELc78ELc67ELc76ELb0ELb0EddPKdPdEviT_T9_T10_S3_lS5_S3_lS4_T11_S3_li
		.amdhsa_group_segment_fixed_size 4096
		.amdhsa_private_segment_fixed_size 0
		.amdhsa_kernarg_size 100
		.amdhsa_user_sgpr_count 6
		.amdhsa_user_sgpr_private_segment_buffer 1
		.amdhsa_user_sgpr_dispatch_ptr 0
		.amdhsa_user_sgpr_queue_ptr 0
		.amdhsa_user_sgpr_kernarg_segment_ptr 1
		.amdhsa_user_sgpr_dispatch_id 0
		.amdhsa_user_sgpr_flat_scratch_init 0
		.amdhsa_user_sgpr_private_segment_size 0
		.amdhsa_wavefront_size32 1
		.amdhsa_uses_dynamic_stack 0
		.amdhsa_system_sgpr_private_segment_wavefront_offset 0
		.amdhsa_system_sgpr_workgroup_id_x 1
		.amdhsa_system_sgpr_workgroup_id_y 1
		.amdhsa_system_sgpr_workgroup_id_z 1
		.amdhsa_system_sgpr_workgroup_info 0
		.amdhsa_system_vgpr_workitem_id 1
		.amdhsa_next_free_vgpr 44
		.amdhsa_next_free_sgpr 28
		.amdhsa_reserve_vcc 1
		.amdhsa_reserve_flat_scratch 0
		.amdhsa_float_round_mode_32 0
		.amdhsa_float_round_mode_16_64 0
		.amdhsa_float_denorm_mode_32 3
		.amdhsa_float_denorm_mode_16_64 3
		.amdhsa_dx10_clamp 1
		.amdhsa_ieee_mode 1
		.amdhsa_fp16_overflow 0
		.amdhsa_workgroup_processor_mode 1
		.amdhsa_memory_ordered 1
		.amdhsa_forward_progress 1
		.amdhsa_shared_vgpr_count 0
		.amdhsa_exception_fp_ieee_invalid_op 0
		.amdhsa_exception_fp_denorm_src 0
		.amdhsa_exception_fp_ieee_div_zero 0
		.amdhsa_exception_fp_ieee_overflow 0
		.amdhsa_exception_fp_ieee_underflow 0
		.amdhsa_exception_fp_ieee_inexact 0
		.amdhsa_exception_int_div_zero 0
	.end_amdhsa_kernel
	.section	.text._ZL29rocblas_internal_gemmt_kernelIiLi16ELi32ELi8ELc78ELc67ELc76ELb0ELb0EddPKdPdEviT_T9_T10_S3_lS5_S3_lS4_T11_S3_li,"axG",@progbits,_ZL29rocblas_internal_gemmt_kernelIiLi16ELi32ELi8ELc78ELc67ELc76ELb0ELb0EddPKdPdEviT_T9_T10_S3_lS5_S3_lS4_T11_S3_li,comdat
.Lfunc_end65:
	.size	_ZL29rocblas_internal_gemmt_kernelIiLi16ELi32ELi8ELc78ELc67ELc76ELb0ELb0EddPKdPdEviT_T9_T10_S3_lS5_S3_lS4_T11_S3_li, .Lfunc_end65-_ZL29rocblas_internal_gemmt_kernelIiLi16ELi32ELi8ELc78ELc67ELc76ELb0ELb0EddPKdPdEviT_T9_T10_S3_lS5_S3_lS4_T11_S3_li
                                        ; -- End function
	.set _ZL29rocblas_internal_gemmt_kernelIiLi16ELi32ELi8ELc78ELc67ELc76ELb0ELb0EddPKdPdEviT_T9_T10_S3_lS5_S3_lS4_T11_S3_li.num_vgpr, 44
	.set _ZL29rocblas_internal_gemmt_kernelIiLi16ELi32ELi8ELc78ELc67ELc76ELb0ELb0EddPKdPdEviT_T9_T10_S3_lS5_S3_lS4_T11_S3_li.num_agpr, 0
	.set _ZL29rocblas_internal_gemmt_kernelIiLi16ELi32ELi8ELc78ELc67ELc76ELb0ELb0EddPKdPdEviT_T9_T10_S3_lS5_S3_lS4_T11_S3_li.numbered_sgpr, 28
	.set _ZL29rocblas_internal_gemmt_kernelIiLi16ELi32ELi8ELc78ELc67ELc76ELb0ELb0EddPKdPdEviT_T9_T10_S3_lS5_S3_lS4_T11_S3_li.num_named_barrier, 0
	.set _ZL29rocblas_internal_gemmt_kernelIiLi16ELi32ELi8ELc78ELc67ELc76ELb0ELb0EddPKdPdEviT_T9_T10_S3_lS5_S3_lS4_T11_S3_li.private_seg_size, 0
	.set _ZL29rocblas_internal_gemmt_kernelIiLi16ELi32ELi8ELc78ELc67ELc76ELb0ELb0EddPKdPdEviT_T9_T10_S3_lS5_S3_lS4_T11_S3_li.uses_vcc, 1
	.set _ZL29rocblas_internal_gemmt_kernelIiLi16ELi32ELi8ELc78ELc67ELc76ELb0ELb0EddPKdPdEviT_T9_T10_S3_lS5_S3_lS4_T11_S3_li.uses_flat_scratch, 0
	.set _ZL29rocblas_internal_gemmt_kernelIiLi16ELi32ELi8ELc78ELc67ELc76ELb0ELb0EddPKdPdEviT_T9_T10_S3_lS5_S3_lS4_T11_S3_li.has_dyn_sized_stack, 0
	.set _ZL29rocblas_internal_gemmt_kernelIiLi16ELi32ELi8ELc78ELc67ELc76ELb0ELb0EddPKdPdEviT_T9_T10_S3_lS5_S3_lS4_T11_S3_li.has_recursion, 0
	.set _ZL29rocblas_internal_gemmt_kernelIiLi16ELi32ELi8ELc78ELc67ELc76ELb0ELb0EddPKdPdEviT_T9_T10_S3_lS5_S3_lS4_T11_S3_li.has_indirect_call, 0
	.section	.AMDGPU.csdata,"",@progbits
; Kernel info:
; codeLenInByte = 1660
; TotalNumSgprs: 30
; NumVgprs: 44
; ScratchSize: 0
; MemoryBound: 0
; FloatMode: 240
; IeeeMode: 1
; LDSByteSize: 4096 bytes/workgroup (compile time only)
; SGPRBlocks: 0
; VGPRBlocks: 5
; NumSGPRsForWavesPerEU: 30
; NumVGPRsForWavesPerEU: 44
; Occupancy: 16
; WaveLimiterHint : 0
; COMPUTE_PGM_RSRC2:SCRATCH_EN: 0
; COMPUTE_PGM_RSRC2:USER_SGPR: 6
; COMPUTE_PGM_RSRC2:TRAP_HANDLER: 0
; COMPUTE_PGM_RSRC2:TGID_X_EN: 1
; COMPUTE_PGM_RSRC2:TGID_Y_EN: 1
; COMPUTE_PGM_RSRC2:TGID_Z_EN: 1
; COMPUTE_PGM_RSRC2:TIDIG_COMP_CNT: 1
	.section	.text._ZL29rocblas_internal_gemmt_kernelIiLi16ELi32ELi8ELc84ELc78ELc76ELb0ELb0EddPKdPdEviT_T9_T10_S3_lS5_S3_lS4_T11_S3_li,"axG",@progbits,_ZL29rocblas_internal_gemmt_kernelIiLi16ELi32ELi8ELc84ELc78ELc76ELb0ELb0EddPKdPdEviT_T9_T10_S3_lS5_S3_lS4_T11_S3_li,comdat
	.globl	_ZL29rocblas_internal_gemmt_kernelIiLi16ELi32ELi8ELc84ELc78ELc76ELb0ELb0EddPKdPdEviT_T9_T10_S3_lS5_S3_lS4_T11_S3_li ; -- Begin function _ZL29rocblas_internal_gemmt_kernelIiLi16ELi32ELi8ELc84ELc78ELc76ELb0ELb0EddPKdPdEviT_T9_T10_S3_lS5_S3_lS4_T11_S3_li
	.p2align	8
	.type	_ZL29rocblas_internal_gemmt_kernelIiLi16ELi32ELi8ELc84ELc78ELc76ELb0ELb0EddPKdPdEviT_T9_T10_S3_lS5_S3_lS4_T11_S3_li,@function
_ZL29rocblas_internal_gemmt_kernelIiLi16ELi32ELi8ELc84ELc78ELc76ELb0ELb0EddPKdPdEviT_T9_T10_S3_lS5_S3_lS4_T11_S3_li: ; @_ZL29rocblas_internal_gemmt_kernelIiLi16ELi32ELi8ELc84ELc78ELc76ELb0ELb0EddPKdPdEviT_T9_T10_S3_lS5_S3_lS4_T11_S3_li
; %bb.0:
	s_clause 0x2
	s_load_dwordx4 s[12:15], s[4:5], 0x38
	s_load_dwordx2 s[2:3], s[4:5], 0x0
	s_load_dwordx4 s[16:19], s[4:5], 0x8
	s_waitcnt lgkmcnt(0)
	v_cmp_neq_f64_e64 s0, s[14:15], 1.0
	s_and_b32 vcc_lo, exec_lo, s0
	s_cbranch_vccnz .LBB66_2
; %bb.1:
	v_cmp_neq_f64_e64 s0, s[16:17], 0
	s_cmp_lg_u32 s3, 0
	s_cselect_b32 s1, -1, 0
	s_and_b32 s0, s1, s0
.LBB66_2:
	s_andn2_b32 vcc_lo, exec_lo, s0
	s_cbranch_vccnz .LBB66_26
; %bb.3:
	v_cmp_eq_f64_e64 s0, s[16:17], 0
	s_load_dwordx2 s[10:11], s[4:5], 0x48
	s_lshl_b32 s6, s6, 5
	s_lshl_b32 s7, s7, 5
	s_cmp_lt_i32 s3, 1
	v_mov_b32_e32 v12, 0
	s_cselect_b32 s1, -1, 0
	v_mov_b32_e32 v6, 0
	v_mov_b32_e32 v4, 0
	v_mov_b32_e32 v2, 0
	v_mov_b32_e32 v13, 0
	v_mov_b32_e32 v7, 0
	v_mov_b32_e32 v5, 0
	v_mov_b32_e32 v3, 0
	s_mov_b32 s9, 0
	s_or_b32 s0, s0, s1
	s_and_b32 vcc_lo, exec_lo, s0
	s_cbranch_vccnz .LBB66_10
; %bb.4:
	s_load_dword s0, s[4:5], 0x18
	v_lshl_add_u32 v2, v1, 4, v0
	s_clause 0x1
	s_load_dwordx4 s[20:23], s[4:5], 0x20
	s_load_dword s1, s[4:5], 0x30
	v_and_b32_e32 v18, 7, v0
	v_mov_b32_e32 v12, 0
	v_lshlrev_b32_e32 v19, 3, v0
	v_and_b32_e32 v4, 31, v2
	v_lshrrev_b32_e32 v3, 3, v2
	v_lshrrev_b32_e32 v21, 5, v2
	v_lshlrev_b32_e32 v6, 3, v18
	v_lshl_add_u32 v20, v1, 6, 0x800
	v_add_nc_u32_e32 v2, s6, v4
	v_add_nc_u32_e32 v5, s7, v3
	v_or_b32_e32 v7, s6, v4
	v_lshl_or_b32 v8, v3, 6, v6
	v_lshlrev_b32_e32 v4, 3, v4
	v_lshlrev_b32_e32 v9, 3, v21
	v_mov_b32_e32 v13, 0
	v_cmp_gt_i32_e32 vcc_lo, s2, v7
	v_add_nc_u32_e32 v23, 0x800, v8
	s_waitcnt lgkmcnt(0)
	v_mad_i64_i32 v[2:3], null, s0, v2, 0
	v_lshl_or_b32 v22, v21, 8, v4
	v_cmp_gt_i32_e64 s0, s2, v5
	s_mul_i32 s21, s21, s8
	s_mul_hi_u32 s24, s20, s8
	v_mad_i64_i32 v[4:5], null, s1, v5, 0
	v_lshlrev_b64 v[2:3], 3, v[2:3]
	s_mul_i32 s20, s20, s8
	s_add_i32 s21, s24, s21
	s_lshl_b64 s[20:21], s[20:21], 3
	v_add_co_u32 v7, s1, v2, s20
	v_add_co_ci_u32_e64 v8, null, s21, v3, s1
	s_mul_i32 s1, s13, s8
	s_mul_hi_u32 s13, s12, s8
	v_lshlrev_b64 v[2:3], 3, v[4:5]
	s_add_i32 s13, s13, s1
	s_mul_i32 s12, s12, s8
	v_add_co_u32 v4, s1, v7, v9
	s_lshl_b64 s[12:13], s[12:13], 3
	v_add_co_ci_u32_e64 v5, null, 0, v8, s1
	v_add_co_u32 v2, s1, v2, s12
	v_add_co_ci_u32_e64 v3, null, s13, v3, s1
	v_add_co_u32 v8, s1, s18, v4
	;; [unrolled: 2-line block ×3, first 2 shown]
	v_add_co_ci_u32_e64 v11, null, 0, v3, s1
	v_mov_b32_e32 v2, 0
	v_add_co_u32 v10, s1, s22, v10
	v_mov_b32_e32 v4, 0
	v_mov_b32_e32 v6, 0
	;; [unrolled: 1-line block ×5, first 2 shown]
	v_add_co_ci_u32_e64 v11, null, s23, v11, s1
	s_branch .LBB66_6
.LBB66_5:                               ;   in Loop: Header=BB66_6 Depth=1
	s_or_b32 exec_lo, exec_lo, s1
	s_waitcnt vmcnt(0)
	ds_write_b64 v23, v[16:17]
	s_waitcnt lgkmcnt(0)
	s_barrier
	buffer_gl0_inv
	ds_read_b128 v[14:17], v20
	ds_read2_b64 v[24:27], v19 offset1:16
	ds_read_b128 v[28:31], v20 offset:1024
	ds_read_b128 v[32:35], v20 offset:16
	ds_read2_b64 v[36:39], v19 offset0:32 offset1:48
	ds_read_b128 v[40:43], v20 offset:1040
	v_add_co_u32 v8, s1, v8, 64
	v_add_co_ci_u32_e64 v9, null, 0, v9, s1
	v_add_co_u32 v10, s1, v10, 64
	v_add_co_ci_u32_e64 v11, null, 0, v11, s1
	s_add_i32 s9, s9, 8
	s_cmp_lt_i32 s9, s3
	s_waitcnt lgkmcnt(4)
	v_fma_f64 v[12:13], v[24:25], v[14:15], v[12:13]
	v_fma_f64 v[6:7], v[26:27], v[14:15], v[6:7]
	s_waitcnt lgkmcnt(3)
	v_fma_f64 v[14:15], v[24:25], v[28:29], v[4:5]
	v_fma_f64 v[24:25], v[26:27], v[28:29], v[2:3]
	ds_read2_b64 v[2:5], v19 offset0:64 offset1:80
	s_waitcnt lgkmcnt(2)
	v_fma_f64 v[26:27], v[36:37], v[16:17], v[12:13]
	v_fma_f64 v[6:7], v[38:39], v[16:17], v[6:7]
	;; [unrolled: 1-line block ×4, first 2 shown]
	ds_read2_b64 v[12:15], v19 offset0:96 offset1:112
	s_waitcnt lgkmcnt(1)
	v_fma_f64 v[28:29], v[2:3], v[32:33], v[26:27]
	v_fma_f64 v[6:7], v[4:5], v[32:33], v[6:7]
	;; [unrolled: 1-line block ×4, first 2 shown]
	ds_read_b128 v[2:5], v20 offset:32
	ds_read2_b64 v[24:27], v19 offset0:128 offset1:144
	s_waitcnt lgkmcnt(2)
	v_fma_f64 v[40:41], v[12:13], v[34:35], v[28:29]
	v_fma_f64 v[6:7], v[14:15], v[34:35], v[6:7]
	;; [unrolled: 1-line block ×4, first 2 shown]
	ds_read_b128 v[12:15], v20 offset:1056
	ds_read_b128 v[28:31], v20 offset:48
	ds_read2_b64 v[32:35], v19 offset0:160 offset1:176
	ds_read_b128 v[36:39], v20 offset:1072
	s_waitcnt lgkmcnt(4)
	v_fma_f64 v[40:41], v[24:25], v[2:3], v[40:41]
	v_fma_f64 v[2:3], v[26:27], v[2:3], v[6:7]
	s_waitcnt lgkmcnt(3)
	v_fma_f64 v[6:7], v[24:25], v[12:13], v[16:17]
	v_fma_f64 v[12:13], v[26:27], v[12:13], v[42:43]
	ds_read2_b64 v[24:27], v19 offset0:192 offset1:208
	s_waitcnt lgkmcnt(2)
	v_fma_f64 v[40:41], v[32:33], v[4:5], v[40:41]
	v_fma_f64 v[2:3], v[34:35], v[4:5], v[2:3]
	;; [unrolled: 1-line block ×4, first 2 shown]
	ds_read2_b64 v[14:17], v19 offset0:224 offset1:240
	s_waitcnt lgkmcnt(0)
	s_barrier
	buffer_gl0_inv
	v_fma_f64 v[12:13], v[24:25], v[28:29], v[40:41]
	v_fma_f64 v[2:3], v[26:27], v[28:29], v[2:3]
	;; [unrolled: 1-line block ×8, first 2 shown]
	s_cbranch_scc0 .LBB66_10
.LBB66_6:                               ; =>This Inner Loop Header: Depth=1
	v_add_nc_u32_e32 v14, s9, v21
	v_cmp_gt_i32_e64 s1, s3, v14
	v_mov_b32_e32 v14, 0
	v_mov_b32_e32 v15, 0
	s_and_b32 s12, vcc_lo, s1
	s_and_saveexec_b32 s1, s12
	s_cbranch_execz .LBB66_8
; %bb.7:                                ;   in Loop: Header=BB66_6 Depth=1
	global_load_dwordx2 v[14:15], v[8:9], off
.LBB66_8:                               ;   in Loop: Header=BB66_6 Depth=1
	s_or_b32 exec_lo, exec_lo, s1
	v_add_nc_u32_e32 v16, s9, v18
	s_waitcnt vmcnt(0)
	ds_write_b64 v22, v[14:15]
	v_cmp_gt_i32_e64 s1, s3, v16
	v_mov_b32_e32 v16, 0
	v_mov_b32_e32 v17, 0
	s_and_b32 s12, s1, s0
	s_and_saveexec_b32 s1, s12
	s_cbranch_execz .LBB66_5
; %bb.9:                                ;   in Loop: Header=BB66_6 Depth=1
	global_load_dwordx2 v[16:17], v[10:11], off
	s_branch .LBB66_5
.LBB66_10:
	s_clause 0x1
	s_load_dword s3, s[4:5], 0x50
	s_load_dwordx2 s[4:5], s[4:5], 0x58
	v_add_nc_u32_e32 v0, s6, v0
	v_cmp_neq_f64_e64 s6, s[14:15], 0
	v_add_nc_u32_e32 v15, s7, v1
	v_cmp_gt_i32_e64 s0, s2, v0
	v_ashrrev_i32_e32 v1, 31, v0
	v_cmp_le_i32_e32 vcc_lo, v15, v0
	s_waitcnt lgkmcnt(0)
	v_mad_i64_i32 v[8:9], null, v15, s3, 0
	s_mul_i32 s1, s5, s8
	s_mul_hi_u32 s5, s4, s8
	s_mul_i32 s4, s4, s8
	s_add_i32 s5, s5, s1
	v_cndmask_b32_e64 v14, 0, 1, s6
	s_lshl_b64 s[4:5], s[4:5], 3
	v_lshlrev_b64 v[8:9], 3, v[8:9]
	s_add_u32 s4, s10, s4
	s_addc_u32 s5, s11, s5
	s_and_b32 s7, vcc_lo, s0
	v_add_co_u32 v16, s1, s4, v8
	v_add_co_ci_u32_e64 v17, null, s5, v9, s1
	s_and_saveexec_b32 s1, s7
	s_cbranch_execz .LBB66_14
; %bb.11:
	v_mul_f64 v[8:9], s[16:17], v[12:13]
	v_lshlrev_b64 v[10:11], 3, v[0:1]
	v_add_co_u32 v10, vcc_lo, v16, v10
	v_add_co_ci_u32_e64 v11, null, v17, v11, vcc_lo
	s_andn2_b32 vcc_lo, exec_lo, s6
	s_cbranch_vccnz .LBB66_13
; %bb.12:
	global_load_dwordx2 v[12:13], v[10:11], off
	s_waitcnt vmcnt(0)
	v_fma_f64 v[8:9], s[14:15], v[12:13], v[8:9]
.LBB66_13:
	global_store_dwordx2 v[10:11], v[8:9], off
.LBB66_14:
	s_or_b32 exec_lo, exec_lo, s1
	v_add_nc_u32_e32 v8, 16, v0
	v_cmp_le_i32_e32 vcc_lo, v15, v8
	v_cmp_gt_i32_e64 s1, s2, v8
	v_ashrrev_i32_e32 v9, 31, v8
	s_and_b32 s2, vcc_lo, s1
	s_and_saveexec_b32 s6, s2
	s_cbranch_execz .LBB66_18
; %bb.15:
	v_mul_f64 v[6:7], s[16:17], v[6:7]
	v_lshlrev_b64 v[10:11], 3, v[8:9]
	v_cmp_ne_u32_e32 vcc_lo, 1, v14
	v_add_co_u32 v10, s2, v16, v10
	v_add_co_ci_u32_e64 v11, null, v17, v11, s2
	s_cbranch_vccnz .LBB66_17
; %bb.16:
	global_load_dwordx2 v[12:13], v[10:11], off
	s_waitcnt vmcnt(0)
	v_fma_f64 v[6:7], s[14:15], v[12:13], v[6:7]
.LBB66_17:
	global_store_dwordx2 v[10:11], v[6:7], off
.LBB66_18:
	s_or_b32 exec_lo, exec_lo, s6
	v_add_nc_u32_e32 v10, 16, v15
	v_mad_i64_i32 v[6:7], null, v10, s3, 0
	v_cmp_le_i32_e32 vcc_lo, v10, v0
	s_and_b32 s0, vcc_lo, s0
	v_lshlrev_b64 v[6:7], 3, v[6:7]
	v_add_co_u32 v6, s2, s4, v6
	v_add_co_ci_u32_e64 v7, null, s5, v7, s2
	s_and_saveexec_b32 s2, s0
	s_cbranch_execz .LBB66_22
; %bb.19:
	v_mul_f64 v[4:5], s[16:17], v[4:5]
	v_lshlrev_b64 v[0:1], 3, v[0:1]
	v_cmp_ne_u32_e32 vcc_lo, 1, v14
	v_add_co_u32 v0, s0, v6, v0
	v_add_co_ci_u32_e64 v1, null, v7, v1, s0
	s_cbranch_vccnz .LBB66_21
; %bb.20:
	global_load_dwordx2 v[11:12], v[0:1], off
	s_waitcnt vmcnt(0)
	v_fma_f64 v[4:5], s[14:15], v[11:12], v[4:5]
.LBB66_21:
	global_store_dwordx2 v[0:1], v[4:5], off
.LBB66_22:
	s_or_b32 exec_lo, exec_lo, s2
	v_cmp_le_i32_e32 vcc_lo, v10, v8
	s_and_b32 s0, vcc_lo, s1
	s_and_saveexec_b32 s1, s0
	s_cbranch_execz .LBB66_26
; %bb.23:
	v_mul_f64 v[0:1], s[16:17], v[2:3]
	v_lshlrev_b64 v[2:3], 3, v[8:9]
	v_cmp_ne_u32_e32 vcc_lo, 1, v14
	v_add_co_u32 v2, s0, v6, v2
	v_add_co_ci_u32_e64 v3, null, v7, v3, s0
	s_cbranch_vccnz .LBB66_25
; %bb.24:
	global_load_dwordx2 v[4:5], v[2:3], off
	s_waitcnt vmcnt(0)
	v_fma_f64 v[0:1], s[14:15], v[4:5], v[0:1]
.LBB66_25:
	global_store_dwordx2 v[2:3], v[0:1], off
.LBB66_26:
	s_endpgm
	.section	.rodata,"a",@progbits
	.p2align	6, 0x0
	.amdhsa_kernel _ZL29rocblas_internal_gemmt_kernelIiLi16ELi32ELi8ELc84ELc78ELc76ELb0ELb0EddPKdPdEviT_T9_T10_S3_lS5_S3_lS4_T11_S3_li
		.amdhsa_group_segment_fixed_size 4096
		.amdhsa_private_segment_fixed_size 0
		.amdhsa_kernarg_size 100
		.amdhsa_user_sgpr_count 6
		.amdhsa_user_sgpr_private_segment_buffer 1
		.amdhsa_user_sgpr_dispatch_ptr 0
		.amdhsa_user_sgpr_queue_ptr 0
		.amdhsa_user_sgpr_kernarg_segment_ptr 1
		.amdhsa_user_sgpr_dispatch_id 0
		.amdhsa_user_sgpr_flat_scratch_init 0
		.amdhsa_user_sgpr_private_segment_size 0
		.amdhsa_wavefront_size32 1
		.amdhsa_uses_dynamic_stack 0
		.amdhsa_system_sgpr_private_segment_wavefront_offset 0
		.amdhsa_system_sgpr_workgroup_id_x 1
		.amdhsa_system_sgpr_workgroup_id_y 1
		.amdhsa_system_sgpr_workgroup_id_z 1
		.amdhsa_system_sgpr_workgroup_info 0
		.amdhsa_system_vgpr_workitem_id 1
		.amdhsa_next_free_vgpr 44
		.amdhsa_next_free_sgpr 25
		.amdhsa_reserve_vcc 1
		.amdhsa_reserve_flat_scratch 0
		.amdhsa_float_round_mode_32 0
		.amdhsa_float_round_mode_16_64 0
		.amdhsa_float_denorm_mode_32 3
		.amdhsa_float_denorm_mode_16_64 3
		.amdhsa_dx10_clamp 1
		.amdhsa_ieee_mode 1
		.amdhsa_fp16_overflow 0
		.amdhsa_workgroup_processor_mode 1
		.amdhsa_memory_ordered 1
		.amdhsa_forward_progress 1
		.amdhsa_shared_vgpr_count 0
		.amdhsa_exception_fp_ieee_invalid_op 0
		.amdhsa_exception_fp_denorm_src 0
		.amdhsa_exception_fp_ieee_div_zero 0
		.amdhsa_exception_fp_ieee_overflow 0
		.amdhsa_exception_fp_ieee_underflow 0
		.amdhsa_exception_fp_ieee_inexact 0
		.amdhsa_exception_int_div_zero 0
	.end_amdhsa_kernel
	.section	.text._ZL29rocblas_internal_gemmt_kernelIiLi16ELi32ELi8ELc84ELc78ELc76ELb0ELb0EddPKdPdEviT_T9_T10_S3_lS5_S3_lS4_T11_S3_li,"axG",@progbits,_ZL29rocblas_internal_gemmt_kernelIiLi16ELi32ELi8ELc84ELc78ELc76ELb0ELb0EddPKdPdEviT_T9_T10_S3_lS5_S3_lS4_T11_S3_li,comdat
.Lfunc_end66:
	.size	_ZL29rocblas_internal_gemmt_kernelIiLi16ELi32ELi8ELc84ELc78ELc76ELb0ELb0EddPKdPdEviT_T9_T10_S3_lS5_S3_lS4_T11_S3_li, .Lfunc_end66-_ZL29rocblas_internal_gemmt_kernelIiLi16ELi32ELi8ELc84ELc78ELc76ELb0ELb0EddPKdPdEviT_T9_T10_S3_lS5_S3_lS4_T11_S3_li
                                        ; -- End function
	.set _ZL29rocblas_internal_gemmt_kernelIiLi16ELi32ELi8ELc84ELc78ELc76ELb0ELb0EddPKdPdEviT_T9_T10_S3_lS5_S3_lS4_T11_S3_li.num_vgpr, 44
	.set _ZL29rocblas_internal_gemmt_kernelIiLi16ELi32ELi8ELc84ELc78ELc76ELb0ELb0EddPKdPdEviT_T9_T10_S3_lS5_S3_lS4_T11_S3_li.num_agpr, 0
	.set _ZL29rocblas_internal_gemmt_kernelIiLi16ELi32ELi8ELc84ELc78ELc76ELb0ELb0EddPKdPdEviT_T9_T10_S3_lS5_S3_lS4_T11_S3_li.numbered_sgpr, 25
	.set _ZL29rocblas_internal_gemmt_kernelIiLi16ELi32ELi8ELc84ELc78ELc76ELb0ELb0EddPKdPdEviT_T9_T10_S3_lS5_S3_lS4_T11_S3_li.num_named_barrier, 0
	.set _ZL29rocblas_internal_gemmt_kernelIiLi16ELi32ELi8ELc84ELc78ELc76ELb0ELb0EddPKdPdEviT_T9_T10_S3_lS5_S3_lS4_T11_S3_li.private_seg_size, 0
	.set _ZL29rocblas_internal_gemmt_kernelIiLi16ELi32ELi8ELc84ELc78ELc76ELb0ELb0EddPKdPdEviT_T9_T10_S3_lS5_S3_lS4_T11_S3_li.uses_vcc, 1
	.set _ZL29rocblas_internal_gemmt_kernelIiLi16ELi32ELi8ELc84ELc78ELc76ELb0ELb0EddPKdPdEviT_T9_T10_S3_lS5_S3_lS4_T11_S3_li.uses_flat_scratch, 0
	.set _ZL29rocblas_internal_gemmt_kernelIiLi16ELi32ELi8ELc84ELc78ELc76ELb0ELb0EddPKdPdEviT_T9_T10_S3_lS5_S3_lS4_T11_S3_li.has_dyn_sized_stack, 0
	.set _ZL29rocblas_internal_gemmt_kernelIiLi16ELi32ELi8ELc84ELc78ELc76ELb0ELb0EddPKdPdEviT_T9_T10_S3_lS5_S3_lS4_T11_S3_li.has_recursion, 0
	.set _ZL29rocblas_internal_gemmt_kernelIiLi16ELi32ELi8ELc84ELc78ELc76ELb0ELb0EddPKdPdEviT_T9_T10_S3_lS5_S3_lS4_T11_S3_li.has_indirect_call, 0
	.section	.AMDGPU.csdata,"",@progbits
; Kernel info:
; codeLenInByte = 1624
; TotalNumSgprs: 27
; NumVgprs: 44
; ScratchSize: 0
; MemoryBound: 0
; FloatMode: 240
; IeeeMode: 1
; LDSByteSize: 4096 bytes/workgroup (compile time only)
; SGPRBlocks: 0
; VGPRBlocks: 5
; NumSGPRsForWavesPerEU: 27
; NumVGPRsForWavesPerEU: 44
; Occupancy: 16
; WaveLimiterHint : 0
; COMPUTE_PGM_RSRC2:SCRATCH_EN: 0
; COMPUTE_PGM_RSRC2:USER_SGPR: 6
; COMPUTE_PGM_RSRC2:TRAP_HANDLER: 0
; COMPUTE_PGM_RSRC2:TGID_X_EN: 1
; COMPUTE_PGM_RSRC2:TGID_Y_EN: 1
; COMPUTE_PGM_RSRC2:TGID_Z_EN: 1
; COMPUTE_PGM_RSRC2:TIDIG_COMP_CNT: 1
	.section	.text._ZL29rocblas_internal_gemmt_kernelIiLi16ELi32ELi8ELc84ELc84ELc76ELb0ELb0EddPKdPdEviT_T9_T10_S3_lS5_S3_lS4_T11_S3_li,"axG",@progbits,_ZL29rocblas_internal_gemmt_kernelIiLi16ELi32ELi8ELc84ELc84ELc76ELb0ELb0EddPKdPdEviT_T9_T10_S3_lS5_S3_lS4_T11_S3_li,comdat
	.globl	_ZL29rocblas_internal_gemmt_kernelIiLi16ELi32ELi8ELc84ELc84ELc76ELb0ELb0EddPKdPdEviT_T9_T10_S3_lS5_S3_lS4_T11_S3_li ; -- Begin function _ZL29rocblas_internal_gemmt_kernelIiLi16ELi32ELi8ELc84ELc84ELc76ELb0ELb0EddPKdPdEviT_T9_T10_S3_lS5_S3_lS4_T11_S3_li
	.p2align	8
	.type	_ZL29rocblas_internal_gemmt_kernelIiLi16ELi32ELi8ELc84ELc84ELc76ELb0ELb0EddPKdPdEviT_T9_T10_S3_lS5_S3_lS4_T11_S3_li,@function
_ZL29rocblas_internal_gemmt_kernelIiLi16ELi32ELi8ELc84ELc84ELc76ELb0ELb0EddPKdPdEviT_T9_T10_S3_lS5_S3_lS4_T11_S3_li: ; @_ZL29rocblas_internal_gemmt_kernelIiLi16ELi32ELi8ELc84ELc84ELc76ELb0ELb0EddPKdPdEviT_T9_T10_S3_lS5_S3_lS4_T11_S3_li
; %bb.0:
	s_clause 0x2
	s_load_dwordx4 s[12:15], s[4:5], 0x38
	s_load_dwordx2 s[2:3], s[4:5], 0x0
	s_load_dwordx4 s[16:19], s[4:5], 0x8
	s_waitcnt lgkmcnt(0)
	v_cmp_neq_f64_e64 s0, s[14:15], 1.0
	s_and_b32 vcc_lo, exec_lo, s0
	s_cbranch_vccnz .LBB67_2
; %bb.1:
	v_cmp_neq_f64_e64 s0, s[16:17], 0
	s_cmp_lg_u32 s3, 0
	s_cselect_b32 s1, -1, 0
	s_and_b32 s0, s1, s0
.LBB67_2:
	s_andn2_b32 vcc_lo, exec_lo, s0
	s_cbranch_vccnz .LBB67_26
; %bb.3:
	v_cmp_eq_f64_e64 s0, s[16:17], 0
	s_load_dwordx2 s[10:11], s[4:5], 0x48
	s_lshl_b32 s9, s6, 5
	s_lshl_b32 s24, s7, 5
	s_cmp_lt_i32 s3, 1
	v_mov_b32_e32 v12, 0
	s_cselect_b32 s1, -1, 0
	v_mov_b32_e32 v6, 0
	v_mov_b32_e32 v4, 0
	;; [unrolled: 1-line block ×7, first 2 shown]
	s_mov_b32 s25, 0
	s_or_b32 s0, s0, s1
	s_and_b32 vcc_lo, exec_lo, s0
	s_cbranch_vccnz .LBB67_10
; %bb.4:
	s_load_dword s0, s[4:5], 0x18
	v_lshl_add_u32 v2, v1, 4, v0
	s_clause 0x1
	s_load_dwordx4 s[20:23], s[4:5], 0x20
	s_load_dword s6, s[4:5], 0x30
	v_and_b32_e32 v18, 7, v0
	v_mov_b32_e32 v12, 0
	v_lshlrev_b32_e32 v19, 3, v0
	v_and_b32_e32 v3, 31, v2
	v_lshrrev_b32_e32 v4, 3, v2
	v_lshlrev_b32_e32 v5, 3, v18
	v_lshrrev_b32_e32 v21, 5, v2
	v_lshl_add_u32 v20, v1, 6, 0x800
	v_add_nc_u32_e32 v7, s9, v3
	v_add_nc_u32_e32 v2, s24, v4
	v_lshl_or_b32 v8, v4, 6, v5
	v_or_b32_e32 v6, s9, v3
	v_lshlrev_b32_e32 v3, 3, v3
	v_lshlrev_b32_e32 v10, 3, v21
	v_mov_b32_e32 v13, 0
	v_add_nc_u32_e32 v23, 0x800, v8
	v_cmp_gt_i32_e32 vcc_lo, s2, v6
	s_waitcnt lgkmcnt(0)
	v_mad_i64_i32 v[4:5], null, s0, v7, 0
	s_mul_i32 s1, s21, s8
	s_mul_hi_u32 s7, s20, s8
	v_mad_i64_i32 v[6:7], null, s6, v18, 0
	s_mul_i32 s20, s20, s8
	s_add_i32 s21, s7, s1
	v_lshlrev_b64 v[4:5], 3, v[4:5]
	s_lshl_b64 s[20:21], s[20:21], 3
	v_lshl_or_b32 v22, v21, 8, v3
	v_ashrrev_i32_e32 v3, 31, v2
	s_mul_hi_u32 s7, s12, s8
	s_mul_i32 s12, s12, s8
	v_add_co_u32 v8, s1, v4, s20
	v_add_co_ci_u32_e64 v9, null, s21, v5, s1
	s_mul_i32 s1, s13, s8
	v_lshlrev_b64 v[4:5], 3, v[6:7]
	s_add_i32 s13, s7, s1
	v_add_co_u32 v6, s1, v8, v10
	s_lshl_b64 s[12:13], s[12:13], 3
	v_cmp_gt_i32_e64 s0, s2, v2
	v_lshlrev_b64 v[2:3], 3, v[2:3]
	v_add_co_ci_u32_e64 v7, null, 0, v9, s1
	v_add_co_u32 v4, s1, s12, v4
	v_add_co_ci_u32_e64 v5, null, s13, v5, s1
	v_add_co_u32 v8, s1, s18, v6
	;; [unrolled: 2-line block ×3, first 2 shown]
	v_add_co_ci_u32_e64 v11, null, v5, v3, s1
	v_mov_b32_e32 v2, 0
	v_add_co_u32 v10, s1, s22, v10
	v_mov_b32_e32 v4, 0
	v_mov_b32_e32 v6, 0
	;; [unrolled: 1-line block ×5, first 2 shown]
	v_add_co_ci_u32_e64 v11, null, s23, v11, s1
	s_ashr_i32 s7, s6, 31
	s_lshl_b64 s[6:7], s[6:7], 6
	s_branch .LBB67_6
.LBB67_5:                               ;   in Loop: Header=BB67_6 Depth=1
	s_or_b32 exec_lo, exec_lo, s1
	s_waitcnt vmcnt(0)
	ds_write_b64 v23, v[16:17]
	s_waitcnt lgkmcnt(0)
	s_barrier
	buffer_gl0_inv
	ds_read_b128 v[14:17], v20
	ds_read2_b64 v[24:27], v19 offset1:16
	ds_read_b128 v[28:31], v20 offset:1024
	ds_read_b128 v[32:35], v20 offset:16
	ds_read2_b64 v[36:39], v19 offset0:32 offset1:48
	ds_read_b128 v[40:43], v20 offset:1040
	v_add_co_u32 v8, s1, v8, 64
	v_add_co_ci_u32_e64 v9, null, 0, v9, s1
	v_add_co_u32 v10, s1, v10, s6
	v_add_co_ci_u32_e64 v11, null, s7, v11, s1
	s_add_i32 s25, s25, 8
	s_cmp_lt_i32 s25, s3
	s_waitcnt lgkmcnt(4)
	v_fma_f64 v[12:13], v[24:25], v[14:15], v[12:13]
	v_fma_f64 v[6:7], v[26:27], v[14:15], v[6:7]
	s_waitcnt lgkmcnt(3)
	v_fma_f64 v[14:15], v[24:25], v[28:29], v[4:5]
	v_fma_f64 v[24:25], v[26:27], v[28:29], v[2:3]
	ds_read2_b64 v[2:5], v19 offset0:64 offset1:80
	s_waitcnt lgkmcnt(2)
	v_fma_f64 v[26:27], v[36:37], v[16:17], v[12:13]
	v_fma_f64 v[6:7], v[38:39], v[16:17], v[6:7]
	;; [unrolled: 1-line block ×4, first 2 shown]
	ds_read2_b64 v[12:15], v19 offset0:96 offset1:112
	s_waitcnt lgkmcnt(1)
	v_fma_f64 v[28:29], v[2:3], v[32:33], v[26:27]
	v_fma_f64 v[6:7], v[4:5], v[32:33], v[6:7]
	v_fma_f64 v[16:17], v[2:3], v[40:41], v[16:17]
	v_fma_f64 v[30:31], v[4:5], v[40:41], v[24:25]
	ds_read_b128 v[2:5], v20 offset:32
	ds_read2_b64 v[24:27], v19 offset0:128 offset1:144
	s_waitcnt lgkmcnt(2)
	v_fma_f64 v[40:41], v[12:13], v[34:35], v[28:29]
	v_fma_f64 v[6:7], v[14:15], v[34:35], v[6:7]
	;; [unrolled: 1-line block ×4, first 2 shown]
	ds_read_b128 v[12:15], v20 offset:1056
	ds_read_b128 v[28:31], v20 offset:48
	ds_read2_b64 v[32:35], v19 offset0:160 offset1:176
	ds_read_b128 v[36:39], v20 offset:1072
	s_waitcnt lgkmcnt(4)
	v_fma_f64 v[40:41], v[24:25], v[2:3], v[40:41]
	v_fma_f64 v[2:3], v[26:27], v[2:3], v[6:7]
	s_waitcnt lgkmcnt(3)
	v_fma_f64 v[6:7], v[24:25], v[12:13], v[16:17]
	v_fma_f64 v[12:13], v[26:27], v[12:13], v[42:43]
	ds_read2_b64 v[24:27], v19 offset0:192 offset1:208
	s_waitcnt lgkmcnt(2)
	v_fma_f64 v[40:41], v[32:33], v[4:5], v[40:41]
	v_fma_f64 v[2:3], v[34:35], v[4:5], v[2:3]
	;; [unrolled: 1-line block ×4, first 2 shown]
	ds_read2_b64 v[14:17], v19 offset0:224 offset1:240
	s_waitcnt lgkmcnt(0)
	s_barrier
	buffer_gl0_inv
	v_fma_f64 v[12:13], v[24:25], v[28:29], v[40:41]
	v_fma_f64 v[2:3], v[26:27], v[28:29], v[2:3]
	;; [unrolled: 1-line block ×8, first 2 shown]
	s_cbranch_scc0 .LBB67_10
.LBB67_6:                               ; =>This Inner Loop Header: Depth=1
	v_add_nc_u32_e32 v14, s25, v21
	v_cmp_gt_i32_e64 s1, s3, v14
	v_mov_b32_e32 v14, 0
	v_mov_b32_e32 v15, 0
	s_and_b32 s12, vcc_lo, s1
	s_and_saveexec_b32 s1, s12
	s_cbranch_execz .LBB67_8
; %bb.7:                                ;   in Loop: Header=BB67_6 Depth=1
	global_load_dwordx2 v[14:15], v[8:9], off
.LBB67_8:                               ;   in Loop: Header=BB67_6 Depth=1
	s_or_b32 exec_lo, exec_lo, s1
	v_add_nc_u32_e32 v16, s25, v18
	s_waitcnt vmcnt(0)
	ds_write_b64 v22, v[14:15]
	v_cmp_gt_i32_e64 s1, s3, v16
	v_mov_b32_e32 v16, 0
	v_mov_b32_e32 v17, 0
	s_and_b32 s12, s1, s0
	s_and_saveexec_b32 s1, s12
	s_cbranch_execz .LBB67_5
; %bb.9:                                ;   in Loop: Header=BB67_6 Depth=1
	global_load_dwordx2 v[16:17], v[10:11], off
	s_branch .LBB67_5
.LBB67_10:
	s_clause 0x1
	s_load_dword s3, s[4:5], 0x50
	s_load_dwordx2 s[4:5], s[4:5], 0x58
	v_cmp_neq_f64_e64 s6, s[14:15], 0
	v_add_nc_u32_e32 v15, s24, v1
	v_add_nc_u32_e32 v0, s9, v0
	v_cmp_le_i32_e32 vcc_lo, v15, v0
	v_cmp_gt_i32_e64 s0, s2, v0
	v_ashrrev_i32_e32 v1, 31, v0
	s_waitcnt lgkmcnt(0)
	v_mad_i64_i32 v[8:9], null, v15, s3, 0
	s_mul_i32 s1, s5, s8
	s_mul_hi_u32 s5, s4, s8
	s_mul_i32 s4, s4, s8
	s_add_i32 s5, s5, s1
	v_cndmask_b32_e64 v14, 0, 1, s6
	s_lshl_b64 s[4:5], s[4:5], 3
	v_lshlrev_b64 v[8:9], 3, v[8:9]
	s_add_u32 s4, s10, s4
	s_addc_u32 s5, s11, s5
	s_and_b32 s7, vcc_lo, s0
	v_add_co_u32 v16, s1, s4, v8
	v_add_co_ci_u32_e64 v17, null, s5, v9, s1
	s_and_saveexec_b32 s1, s7
	s_cbranch_execz .LBB67_14
; %bb.11:
	v_mul_f64 v[8:9], s[16:17], v[12:13]
	v_lshlrev_b64 v[10:11], 3, v[0:1]
	v_add_co_u32 v10, vcc_lo, v16, v10
	v_add_co_ci_u32_e64 v11, null, v17, v11, vcc_lo
	s_andn2_b32 vcc_lo, exec_lo, s6
	s_cbranch_vccnz .LBB67_13
; %bb.12:
	global_load_dwordx2 v[12:13], v[10:11], off
	s_waitcnt vmcnt(0)
	v_fma_f64 v[8:9], s[14:15], v[12:13], v[8:9]
.LBB67_13:
	global_store_dwordx2 v[10:11], v[8:9], off
.LBB67_14:
	s_or_b32 exec_lo, exec_lo, s1
	v_add_nc_u32_e32 v8, 16, v0
	v_cmp_le_i32_e32 vcc_lo, v15, v8
	v_cmp_gt_i32_e64 s1, s2, v8
	v_ashrrev_i32_e32 v9, 31, v8
	s_and_b32 s2, vcc_lo, s1
	s_and_saveexec_b32 s6, s2
	s_cbranch_execz .LBB67_18
; %bb.15:
	v_mul_f64 v[6:7], s[16:17], v[6:7]
	v_lshlrev_b64 v[10:11], 3, v[8:9]
	v_cmp_ne_u32_e32 vcc_lo, 1, v14
	v_add_co_u32 v10, s2, v16, v10
	v_add_co_ci_u32_e64 v11, null, v17, v11, s2
	s_cbranch_vccnz .LBB67_17
; %bb.16:
	global_load_dwordx2 v[12:13], v[10:11], off
	s_waitcnt vmcnt(0)
	v_fma_f64 v[6:7], s[14:15], v[12:13], v[6:7]
.LBB67_17:
	global_store_dwordx2 v[10:11], v[6:7], off
.LBB67_18:
	s_or_b32 exec_lo, exec_lo, s6
	v_add_nc_u32_e32 v10, 16, v15
	v_mad_i64_i32 v[6:7], null, v10, s3, 0
	v_cmp_le_i32_e32 vcc_lo, v10, v0
	s_and_b32 s0, vcc_lo, s0
	v_lshlrev_b64 v[6:7], 3, v[6:7]
	v_add_co_u32 v6, s2, s4, v6
	v_add_co_ci_u32_e64 v7, null, s5, v7, s2
	s_and_saveexec_b32 s2, s0
	s_cbranch_execz .LBB67_22
; %bb.19:
	v_mul_f64 v[4:5], s[16:17], v[4:5]
	v_lshlrev_b64 v[0:1], 3, v[0:1]
	v_cmp_ne_u32_e32 vcc_lo, 1, v14
	v_add_co_u32 v0, s0, v6, v0
	v_add_co_ci_u32_e64 v1, null, v7, v1, s0
	s_cbranch_vccnz .LBB67_21
; %bb.20:
	global_load_dwordx2 v[11:12], v[0:1], off
	s_waitcnt vmcnt(0)
	v_fma_f64 v[4:5], s[14:15], v[11:12], v[4:5]
.LBB67_21:
	global_store_dwordx2 v[0:1], v[4:5], off
.LBB67_22:
	s_or_b32 exec_lo, exec_lo, s2
	v_cmp_le_i32_e32 vcc_lo, v10, v8
	s_and_b32 s0, vcc_lo, s1
	s_and_saveexec_b32 s1, s0
	s_cbranch_execz .LBB67_26
; %bb.23:
	v_mul_f64 v[0:1], s[16:17], v[2:3]
	v_lshlrev_b64 v[2:3], 3, v[8:9]
	v_cmp_ne_u32_e32 vcc_lo, 1, v14
	v_add_co_u32 v2, s0, v6, v2
	v_add_co_ci_u32_e64 v3, null, v7, v3, s0
	s_cbranch_vccnz .LBB67_25
; %bb.24:
	global_load_dwordx2 v[4:5], v[2:3], off
	s_waitcnt vmcnt(0)
	v_fma_f64 v[0:1], s[14:15], v[4:5], v[0:1]
.LBB67_25:
	global_store_dwordx2 v[2:3], v[0:1], off
.LBB67_26:
	s_endpgm
	.section	.rodata,"a",@progbits
	.p2align	6, 0x0
	.amdhsa_kernel _ZL29rocblas_internal_gemmt_kernelIiLi16ELi32ELi8ELc84ELc84ELc76ELb0ELb0EddPKdPdEviT_T9_T10_S3_lS5_S3_lS4_T11_S3_li
		.amdhsa_group_segment_fixed_size 4096
		.amdhsa_private_segment_fixed_size 0
		.amdhsa_kernarg_size 100
		.amdhsa_user_sgpr_count 6
		.amdhsa_user_sgpr_private_segment_buffer 1
		.amdhsa_user_sgpr_dispatch_ptr 0
		.amdhsa_user_sgpr_queue_ptr 0
		.amdhsa_user_sgpr_kernarg_segment_ptr 1
		.amdhsa_user_sgpr_dispatch_id 0
		.amdhsa_user_sgpr_flat_scratch_init 0
		.amdhsa_user_sgpr_private_segment_size 0
		.amdhsa_wavefront_size32 1
		.amdhsa_uses_dynamic_stack 0
		.amdhsa_system_sgpr_private_segment_wavefront_offset 0
		.amdhsa_system_sgpr_workgroup_id_x 1
		.amdhsa_system_sgpr_workgroup_id_y 1
		.amdhsa_system_sgpr_workgroup_id_z 1
		.amdhsa_system_sgpr_workgroup_info 0
		.amdhsa_system_vgpr_workitem_id 1
		.amdhsa_next_free_vgpr 44
		.amdhsa_next_free_sgpr 26
		.amdhsa_reserve_vcc 1
		.amdhsa_reserve_flat_scratch 0
		.amdhsa_float_round_mode_32 0
		.amdhsa_float_round_mode_16_64 0
		.amdhsa_float_denorm_mode_32 3
		.amdhsa_float_denorm_mode_16_64 3
		.amdhsa_dx10_clamp 1
		.amdhsa_ieee_mode 1
		.amdhsa_fp16_overflow 0
		.amdhsa_workgroup_processor_mode 1
		.amdhsa_memory_ordered 1
		.amdhsa_forward_progress 1
		.amdhsa_shared_vgpr_count 0
		.amdhsa_exception_fp_ieee_invalid_op 0
		.amdhsa_exception_fp_denorm_src 0
		.amdhsa_exception_fp_ieee_div_zero 0
		.amdhsa_exception_fp_ieee_overflow 0
		.amdhsa_exception_fp_ieee_underflow 0
		.amdhsa_exception_fp_ieee_inexact 0
		.amdhsa_exception_int_div_zero 0
	.end_amdhsa_kernel
	.section	.text._ZL29rocblas_internal_gemmt_kernelIiLi16ELi32ELi8ELc84ELc84ELc76ELb0ELb0EddPKdPdEviT_T9_T10_S3_lS5_S3_lS4_T11_S3_li,"axG",@progbits,_ZL29rocblas_internal_gemmt_kernelIiLi16ELi32ELi8ELc84ELc84ELc76ELb0ELb0EddPKdPdEviT_T9_T10_S3_lS5_S3_lS4_T11_S3_li,comdat
.Lfunc_end67:
	.size	_ZL29rocblas_internal_gemmt_kernelIiLi16ELi32ELi8ELc84ELc84ELc76ELb0ELb0EddPKdPdEviT_T9_T10_S3_lS5_S3_lS4_T11_S3_li, .Lfunc_end67-_ZL29rocblas_internal_gemmt_kernelIiLi16ELi32ELi8ELc84ELc84ELc76ELb0ELb0EddPKdPdEviT_T9_T10_S3_lS5_S3_lS4_T11_S3_li
                                        ; -- End function
	.set _ZL29rocblas_internal_gemmt_kernelIiLi16ELi32ELi8ELc84ELc84ELc76ELb0ELb0EddPKdPdEviT_T9_T10_S3_lS5_S3_lS4_T11_S3_li.num_vgpr, 44
	.set _ZL29rocblas_internal_gemmt_kernelIiLi16ELi32ELi8ELc84ELc84ELc76ELb0ELb0EddPKdPdEviT_T9_T10_S3_lS5_S3_lS4_T11_S3_li.num_agpr, 0
	.set _ZL29rocblas_internal_gemmt_kernelIiLi16ELi32ELi8ELc84ELc84ELc76ELb0ELb0EddPKdPdEviT_T9_T10_S3_lS5_S3_lS4_T11_S3_li.numbered_sgpr, 26
	.set _ZL29rocblas_internal_gemmt_kernelIiLi16ELi32ELi8ELc84ELc84ELc76ELb0ELb0EddPKdPdEviT_T9_T10_S3_lS5_S3_lS4_T11_S3_li.num_named_barrier, 0
	.set _ZL29rocblas_internal_gemmt_kernelIiLi16ELi32ELi8ELc84ELc84ELc76ELb0ELb0EddPKdPdEviT_T9_T10_S3_lS5_S3_lS4_T11_S3_li.private_seg_size, 0
	.set _ZL29rocblas_internal_gemmt_kernelIiLi16ELi32ELi8ELc84ELc84ELc76ELb0ELb0EddPKdPdEviT_T9_T10_S3_lS5_S3_lS4_T11_S3_li.uses_vcc, 1
	.set _ZL29rocblas_internal_gemmt_kernelIiLi16ELi32ELi8ELc84ELc84ELc76ELb0ELb0EddPKdPdEviT_T9_T10_S3_lS5_S3_lS4_T11_S3_li.uses_flat_scratch, 0
	.set _ZL29rocblas_internal_gemmt_kernelIiLi16ELi32ELi8ELc84ELc84ELc76ELb0ELb0EddPKdPdEviT_T9_T10_S3_lS5_S3_lS4_T11_S3_li.has_dyn_sized_stack, 0
	.set _ZL29rocblas_internal_gemmt_kernelIiLi16ELi32ELi8ELc84ELc84ELc76ELb0ELb0EddPKdPdEviT_T9_T10_S3_lS5_S3_lS4_T11_S3_li.has_recursion, 0
	.set _ZL29rocblas_internal_gemmt_kernelIiLi16ELi32ELi8ELc84ELc84ELc76ELb0ELb0EddPKdPdEviT_T9_T10_S3_lS5_S3_lS4_T11_S3_li.has_indirect_call, 0
	.section	.AMDGPU.csdata,"",@progbits
; Kernel info:
; codeLenInByte = 1644
; TotalNumSgprs: 28
; NumVgprs: 44
; ScratchSize: 0
; MemoryBound: 0
; FloatMode: 240
; IeeeMode: 1
; LDSByteSize: 4096 bytes/workgroup (compile time only)
; SGPRBlocks: 0
; VGPRBlocks: 5
; NumSGPRsForWavesPerEU: 28
; NumVGPRsForWavesPerEU: 44
; Occupancy: 16
; WaveLimiterHint : 0
; COMPUTE_PGM_RSRC2:SCRATCH_EN: 0
; COMPUTE_PGM_RSRC2:USER_SGPR: 6
; COMPUTE_PGM_RSRC2:TRAP_HANDLER: 0
; COMPUTE_PGM_RSRC2:TGID_X_EN: 1
; COMPUTE_PGM_RSRC2:TGID_Y_EN: 1
; COMPUTE_PGM_RSRC2:TGID_Z_EN: 1
; COMPUTE_PGM_RSRC2:TIDIG_COMP_CNT: 1
	.section	.text._ZL29rocblas_internal_gemmt_kernelIiLi16ELi32ELi8ELc84ELc67ELc76ELb0ELb0EddPKdPdEviT_T9_T10_S3_lS5_S3_lS4_T11_S3_li,"axG",@progbits,_ZL29rocblas_internal_gemmt_kernelIiLi16ELi32ELi8ELc84ELc67ELc76ELb0ELb0EddPKdPdEviT_T9_T10_S3_lS5_S3_lS4_T11_S3_li,comdat
	.globl	_ZL29rocblas_internal_gemmt_kernelIiLi16ELi32ELi8ELc84ELc67ELc76ELb0ELb0EddPKdPdEviT_T9_T10_S3_lS5_S3_lS4_T11_S3_li ; -- Begin function _ZL29rocblas_internal_gemmt_kernelIiLi16ELi32ELi8ELc84ELc67ELc76ELb0ELb0EddPKdPdEviT_T9_T10_S3_lS5_S3_lS4_T11_S3_li
	.p2align	8
	.type	_ZL29rocblas_internal_gemmt_kernelIiLi16ELi32ELi8ELc84ELc67ELc76ELb0ELb0EddPKdPdEviT_T9_T10_S3_lS5_S3_lS4_T11_S3_li,@function
_ZL29rocblas_internal_gemmt_kernelIiLi16ELi32ELi8ELc84ELc67ELc76ELb0ELb0EddPKdPdEviT_T9_T10_S3_lS5_S3_lS4_T11_S3_li: ; @_ZL29rocblas_internal_gemmt_kernelIiLi16ELi32ELi8ELc84ELc67ELc76ELb0ELb0EddPKdPdEviT_T9_T10_S3_lS5_S3_lS4_T11_S3_li
; %bb.0:
	s_clause 0x2
	s_load_dwordx4 s[12:15], s[4:5], 0x38
	s_load_dwordx2 s[2:3], s[4:5], 0x0
	s_load_dwordx4 s[16:19], s[4:5], 0x8
	s_waitcnt lgkmcnt(0)
	v_cmp_neq_f64_e64 s0, s[14:15], 1.0
	s_and_b32 vcc_lo, exec_lo, s0
	s_cbranch_vccnz .LBB68_2
; %bb.1:
	v_cmp_neq_f64_e64 s0, s[16:17], 0
	s_cmp_lg_u32 s3, 0
	s_cselect_b32 s1, -1, 0
	s_and_b32 s0, s1, s0
.LBB68_2:
	s_andn2_b32 vcc_lo, exec_lo, s0
	s_cbranch_vccnz .LBB68_26
; %bb.3:
	v_cmp_eq_f64_e64 s0, s[16:17], 0
	s_load_dwordx2 s[10:11], s[4:5], 0x48
	s_lshl_b32 s9, s6, 5
	s_lshl_b32 s24, s7, 5
	s_cmp_lt_i32 s3, 1
	v_mov_b32_e32 v12, 0
	s_cselect_b32 s1, -1, 0
	v_mov_b32_e32 v6, 0
	v_mov_b32_e32 v4, 0
	;; [unrolled: 1-line block ×7, first 2 shown]
	s_mov_b32 s25, 0
	s_or_b32 s0, s0, s1
	s_and_b32 vcc_lo, exec_lo, s0
	s_cbranch_vccnz .LBB68_10
; %bb.4:
	s_load_dword s0, s[4:5], 0x18
	v_lshl_add_u32 v2, v1, 4, v0
	s_clause 0x1
	s_load_dwordx4 s[20:23], s[4:5], 0x20
	s_load_dword s6, s[4:5], 0x30
	v_and_b32_e32 v18, 7, v0
	v_mov_b32_e32 v12, 0
	v_lshlrev_b32_e32 v19, 3, v0
	v_and_b32_e32 v3, 31, v2
	v_lshrrev_b32_e32 v4, 3, v2
	v_lshlrev_b32_e32 v5, 3, v18
	v_lshrrev_b32_e32 v21, 5, v2
	v_lshl_add_u32 v20, v1, 6, 0x800
	v_add_nc_u32_e32 v7, s9, v3
	v_add_nc_u32_e32 v2, s24, v4
	v_lshl_or_b32 v8, v4, 6, v5
	v_or_b32_e32 v6, s9, v3
	v_lshlrev_b32_e32 v3, 3, v3
	v_lshlrev_b32_e32 v10, 3, v21
	v_mov_b32_e32 v13, 0
	v_add_nc_u32_e32 v23, 0x800, v8
	v_cmp_gt_i32_e32 vcc_lo, s2, v6
	s_waitcnt lgkmcnt(0)
	v_mad_i64_i32 v[4:5], null, s0, v7, 0
	s_mul_i32 s1, s21, s8
	s_mul_hi_u32 s7, s20, s8
	v_mad_i64_i32 v[6:7], null, s6, v18, 0
	s_mul_i32 s20, s20, s8
	s_add_i32 s21, s7, s1
	v_lshlrev_b64 v[4:5], 3, v[4:5]
	s_lshl_b64 s[20:21], s[20:21], 3
	v_lshl_or_b32 v22, v21, 8, v3
	v_ashrrev_i32_e32 v3, 31, v2
	s_mul_hi_u32 s7, s12, s8
	s_mul_i32 s12, s12, s8
	v_add_co_u32 v8, s1, v4, s20
	v_add_co_ci_u32_e64 v9, null, s21, v5, s1
	s_mul_i32 s1, s13, s8
	v_lshlrev_b64 v[4:5], 3, v[6:7]
	s_add_i32 s13, s7, s1
	v_add_co_u32 v6, s1, v8, v10
	s_lshl_b64 s[12:13], s[12:13], 3
	v_cmp_gt_i32_e64 s0, s2, v2
	v_lshlrev_b64 v[2:3], 3, v[2:3]
	v_add_co_ci_u32_e64 v7, null, 0, v9, s1
	v_add_co_u32 v4, s1, s12, v4
	v_add_co_ci_u32_e64 v5, null, s13, v5, s1
	v_add_co_u32 v8, s1, s18, v6
	;; [unrolled: 2-line block ×3, first 2 shown]
	v_add_co_ci_u32_e64 v11, null, v5, v3, s1
	v_mov_b32_e32 v2, 0
	v_add_co_u32 v10, s1, s22, v10
	v_mov_b32_e32 v4, 0
	v_mov_b32_e32 v6, 0
	;; [unrolled: 1-line block ×5, first 2 shown]
	v_add_co_ci_u32_e64 v11, null, s23, v11, s1
	s_ashr_i32 s7, s6, 31
	s_lshl_b64 s[6:7], s[6:7], 6
	s_branch .LBB68_6
.LBB68_5:                               ;   in Loop: Header=BB68_6 Depth=1
	s_or_b32 exec_lo, exec_lo, s1
	s_waitcnt vmcnt(0)
	ds_write_b64 v23, v[16:17]
	s_waitcnt lgkmcnt(0)
	s_barrier
	buffer_gl0_inv
	ds_read_b128 v[14:17], v20
	ds_read2_b64 v[24:27], v19 offset1:16
	ds_read_b128 v[28:31], v20 offset:1024
	ds_read_b128 v[32:35], v20 offset:16
	ds_read2_b64 v[36:39], v19 offset0:32 offset1:48
	ds_read_b128 v[40:43], v20 offset:1040
	v_add_co_u32 v8, s1, v8, 64
	v_add_co_ci_u32_e64 v9, null, 0, v9, s1
	v_add_co_u32 v10, s1, v10, s6
	v_add_co_ci_u32_e64 v11, null, s7, v11, s1
	s_add_i32 s25, s25, 8
	s_cmp_lt_i32 s25, s3
	s_waitcnt lgkmcnt(4)
	v_fma_f64 v[12:13], v[24:25], v[14:15], v[12:13]
	v_fma_f64 v[6:7], v[26:27], v[14:15], v[6:7]
	s_waitcnt lgkmcnt(3)
	v_fma_f64 v[14:15], v[24:25], v[28:29], v[4:5]
	v_fma_f64 v[24:25], v[26:27], v[28:29], v[2:3]
	ds_read2_b64 v[2:5], v19 offset0:64 offset1:80
	s_waitcnt lgkmcnt(2)
	v_fma_f64 v[26:27], v[36:37], v[16:17], v[12:13]
	v_fma_f64 v[6:7], v[38:39], v[16:17], v[6:7]
	;; [unrolled: 1-line block ×4, first 2 shown]
	ds_read2_b64 v[12:15], v19 offset0:96 offset1:112
	s_waitcnt lgkmcnt(1)
	v_fma_f64 v[28:29], v[2:3], v[32:33], v[26:27]
	v_fma_f64 v[6:7], v[4:5], v[32:33], v[6:7]
	;; [unrolled: 1-line block ×4, first 2 shown]
	ds_read_b128 v[2:5], v20 offset:32
	ds_read2_b64 v[24:27], v19 offset0:128 offset1:144
	s_waitcnt lgkmcnt(2)
	v_fma_f64 v[40:41], v[12:13], v[34:35], v[28:29]
	v_fma_f64 v[6:7], v[14:15], v[34:35], v[6:7]
	;; [unrolled: 1-line block ×4, first 2 shown]
	ds_read_b128 v[12:15], v20 offset:1056
	ds_read_b128 v[28:31], v20 offset:48
	ds_read2_b64 v[32:35], v19 offset0:160 offset1:176
	ds_read_b128 v[36:39], v20 offset:1072
	s_waitcnt lgkmcnt(4)
	v_fma_f64 v[40:41], v[24:25], v[2:3], v[40:41]
	v_fma_f64 v[2:3], v[26:27], v[2:3], v[6:7]
	s_waitcnt lgkmcnt(3)
	v_fma_f64 v[6:7], v[24:25], v[12:13], v[16:17]
	v_fma_f64 v[12:13], v[26:27], v[12:13], v[42:43]
	ds_read2_b64 v[24:27], v19 offset0:192 offset1:208
	s_waitcnt lgkmcnt(2)
	v_fma_f64 v[40:41], v[32:33], v[4:5], v[40:41]
	v_fma_f64 v[2:3], v[34:35], v[4:5], v[2:3]
	;; [unrolled: 1-line block ×4, first 2 shown]
	ds_read2_b64 v[14:17], v19 offset0:224 offset1:240
	s_waitcnt lgkmcnt(0)
	s_barrier
	buffer_gl0_inv
	v_fma_f64 v[12:13], v[24:25], v[28:29], v[40:41]
	v_fma_f64 v[2:3], v[26:27], v[28:29], v[2:3]
	;; [unrolled: 1-line block ×8, first 2 shown]
	s_cbranch_scc0 .LBB68_10
.LBB68_6:                               ; =>This Inner Loop Header: Depth=1
	v_add_nc_u32_e32 v14, s25, v21
	v_cmp_gt_i32_e64 s1, s3, v14
	v_mov_b32_e32 v14, 0
	v_mov_b32_e32 v15, 0
	s_and_b32 s12, vcc_lo, s1
	s_and_saveexec_b32 s1, s12
	s_cbranch_execz .LBB68_8
; %bb.7:                                ;   in Loop: Header=BB68_6 Depth=1
	global_load_dwordx2 v[14:15], v[8:9], off
.LBB68_8:                               ;   in Loop: Header=BB68_6 Depth=1
	s_or_b32 exec_lo, exec_lo, s1
	v_add_nc_u32_e32 v16, s25, v18
	s_waitcnt vmcnt(0)
	ds_write_b64 v22, v[14:15]
	v_cmp_gt_i32_e64 s1, s3, v16
	v_mov_b32_e32 v16, 0
	v_mov_b32_e32 v17, 0
	s_and_b32 s12, s1, s0
	s_and_saveexec_b32 s1, s12
	s_cbranch_execz .LBB68_5
; %bb.9:                                ;   in Loop: Header=BB68_6 Depth=1
	global_load_dwordx2 v[16:17], v[10:11], off
	s_branch .LBB68_5
.LBB68_10:
	s_clause 0x1
	s_load_dword s3, s[4:5], 0x50
	s_load_dwordx2 s[4:5], s[4:5], 0x58
	v_cmp_neq_f64_e64 s6, s[14:15], 0
	v_add_nc_u32_e32 v15, s24, v1
	v_add_nc_u32_e32 v0, s9, v0
	v_cmp_le_i32_e32 vcc_lo, v15, v0
	v_cmp_gt_i32_e64 s0, s2, v0
	v_ashrrev_i32_e32 v1, 31, v0
	s_waitcnt lgkmcnt(0)
	v_mad_i64_i32 v[8:9], null, v15, s3, 0
	s_mul_i32 s1, s5, s8
	s_mul_hi_u32 s5, s4, s8
	s_mul_i32 s4, s4, s8
	s_add_i32 s5, s5, s1
	v_cndmask_b32_e64 v14, 0, 1, s6
	s_lshl_b64 s[4:5], s[4:5], 3
	v_lshlrev_b64 v[8:9], 3, v[8:9]
	s_add_u32 s4, s10, s4
	s_addc_u32 s5, s11, s5
	s_and_b32 s7, vcc_lo, s0
	v_add_co_u32 v16, s1, s4, v8
	v_add_co_ci_u32_e64 v17, null, s5, v9, s1
	s_and_saveexec_b32 s1, s7
	s_cbranch_execz .LBB68_14
; %bb.11:
	v_mul_f64 v[8:9], s[16:17], v[12:13]
	v_lshlrev_b64 v[10:11], 3, v[0:1]
	v_add_co_u32 v10, vcc_lo, v16, v10
	v_add_co_ci_u32_e64 v11, null, v17, v11, vcc_lo
	s_andn2_b32 vcc_lo, exec_lo, s6
	s_cbranch_vccnz .LBB68_13
; %bb.12:
	global_load_dwordx2 v[12:13], v[10:11], off
	s_waitcnt vmcnt(0)
	v_fma_f64 v[8:9], s[14:15], v[12:13], v[8:9]
.LBB68_13:
	global_store_dwordx2 v[10:11], v[8:9], off
.LBB68_14:
	s_or_b32 exec_lo, exec_lo, s1
	v_add_nc_u32_e32 v8, 16, v0
	v_cmp_le_i32_e32 vcc_lo, v15, v8
	v_cmp_gt_i32_e64 s1, s2, v8
	v_ashrrev_i32_e32 v9, 31, v8
	s_and_b32 s2, vcc_lo, s1
	s_and_saveexec_b32 s6, s2
	s_cbranch_execz .LBB68_18
; %bb.15:
	v_mul_f64 v[6:7], s[16:17], v[6:7]
	v_lshlrev_b64 v[10:11], 3, v[8:9]
	v_cmp_ne_u32_e32 vcc_lo, 1, v14
	v_add_co_u32 v10, s2, v16, v10
	v_add_co_ci_u32_e64 v11, null, v17, v11, s2
	s_cbranch_vccnz .LBB68_17
; %bb.16:
	global_load_dwordx2 v[12:13], v[10:11], off
	s_waitcnt vmcnt(0)
	v_fma_f64 v[6:7], s[14:15], v[12:13], v[6:7]
.LBB68_17:
	global_store_dwordx2 v[10:11], v[6:7], off
.LBB68_18:
	s_or_b32 exec_lo, exec_lo, s6
	v_add_nc_u32_e32 v10, 16, v15
	v_mad_i64_i32 v[6:7], null, v10, s3, 0
	v_cmp_le_i32_e32 vcc_lo, v10, v0
	s_and_b32 s0, vcc_lo, s0
	v_lshlrev_b64 v[6:7], 3, v[6:7]
	v_add_co_u32 v6, s2, s4, v6
	v_add_co_ci_u32_e64 v7, null, s5, v7, s2
	s_and_saveexec_b32 s2, s0
	s_cbranch_execz .LBB68_22
; %bb.19:
	v_mul_f64 v[4:5], s[16:17], v[4:5]
	v_lshlrev_b64 v[0:1], 3, v[0:1]
	v_cmp_ne_u32_e32 vcc_lo, 1, v14
	v_add_co_u32 v0, s0, v6, v0
	v_add_co_ci_u32_e64 v1, null, v7, v1, s0
	s_cbranch_vccnz .LBB68_21
; %bb.20:
	global_load_dwordx2 v[11:12], v[0:1], off
	s_waitcnt vmcnt(0)
	v_fma_f64 v[4:5], s[14:15], v[11:12], v[4:5]
.LBB68_21:
	global_store_dwordx2 v[0:1], v[4:5], off
.LBB68_22:
	s_or_b32 exec_lo, exec_lo, s2
	v_cmp_le_i32_e32 vcc_lo, v10, v8
	s_and_b32 s0, vcc_lo, s1
	s_and_saveexec_b32 s1, s0
	s_cbranch_execz .LBB68_26
; %bb.23:
	v_mul_f64 v[0:1], s[16:17], v[2:3]
	v_lshlrev_b64 v[2:3], 3, v[8:9]
	v_cmp_ne_u32_e32 vcc_lo, 1, v14
	v_add_co_u32 v2, s0, v6, v2
	v_add_co_ci_u32_e64 v3, null, v7, v3, s0
	s_cbranch_vccnz .LBB68_25
; %bb.24:
	global_load_dwordx2 v[4:5], v[2:3], off
	s_waitcnt vmcnt(0)
	v_fma_f64 v[0:1], s[14:15], v[4:5], v[0:1]
.LBB68_25:
	global_store_dwordx2 v[2:3], v[0:1], off
.LBB68_26:
	s_endpgm
	.section	.rodata,"a",@progbits
	.p2align	6, 0x0
	.amdhsa_kernel _ZL29rocblas_internal_gemmt_kernelIiLi16ELi32ELi8ELc84ELc67ELc76ELb0ELb0EddPKdPdEviT_T9_T10_S3_lS5_S3_lS4_T11_S3_li
		.amdhsa_group_segment_fixed_size 4096
		.amdhsa_private_segment_fixed_size 0
		.amdhsa_kernarg_size 100
		.amdhsa_user_sgpr_count 6
		.amdhsa_user_sgpr_private_segment_buffer 1
		.amdhsa_user_sgpr_dispatch_ptr 0
		.amdhsa_user_sgpr_queue_ptr 0
		.amdhsa_user_sgpr_kernarg_segment_ptr 1
		.amdhsa_user_sgpr_dispatch_id 0
		.amdhsa_user_sgpr_flat_scratch_init 0
		.amdhsa_user_sgpr_private_segment_size 0
		.amdhsa_wavefront_size32 1
		.amdhsa_uses_dynamic_stack 0
		.amdhsa_system_sgpr_private_segment_wavefront_offset 0
		.amdhsa_system_sgpr_workgroup_id_x 1
		.amdhsa_system_sgpr_workgroup_id_y 1
		.amdhsa_system_sgpr_workgroup_id_z 1
		.amdhsa_system_sgpr_workgroup_info 0
		.amdhsa_system_vgpr_workitem_id 1
		.amdhsa_next_free_vgpr 44
		.amdhsa_next_free_sgpr 26
		.amdhsa_reserve_vcc 1
		.amdhsa_reserve_flat_scratch 0
		.amdhsa_float_round_mode_32 0
		.amdhsa_float_round_mode_16_64 0
		.amdhsa_float_denorm_mode_32 3
		.amdhsa_float_denorm_mode_16_64 3
		.amdhsa_dx10_clamp 1
		.amdhsa_ieee_mode 1
		.amdhsa_fp16_overflow 0
		.amdhsa_workgroup_processor_mode 1
		.amdhsa_memory_ordered 1
		.amdhsa_forward_progress 1
		.amdhsa_shared_vgpr_count 0
		.amdhsa_exception_fp_ieee_invalid_op 0
		.amdhsa_exception_fp_denorm_src 0
		.amdhsa_exception_fp_ieee_div_zero 0
		.amdhsa_exception_fp_ieee_overflow 0
		.amdhsa_exception_fp_ieee_underflow 0
		.amdhsa_exception_fp_ieee_inexact 0
		.amdhsa_exception_int_div_zero 0
	.end_amdhsa_kernel
	.section	.text._ZL29rocblas_internal_gemmt_kernelIiLi16ELi32ELi8ELc84ELc67ELc76ELb0ELb0EddPKdPdEviT_T9_T10_S3_lS5_S3_lS4_T11_S3_li,"axG",@progbits,_ZL29rocblas_internal_gemmt_kernelIiLi16ELi32ELi8ELc84ELc67ELc76ELb0ELb0EddPKdPdEviT_T9_T10_S3_lS5_S3_lS4_T11_S3_li,comdat
.Lfunc_end68:
	.size	_ZL29rocblas_internal_gemmt_kernelIiLi16ELi32ELi8ELc84ELc67ELc76ELb0ELb0EddPKdPdEviT_T9_T10_S3_lS5_S3_lS4_T11_S3_li, .Lfunc_end68-_ZL29rocblas_internal_gemmt_kernelIiLi16ELi32ELi8ELc84ELc67ELc76ELb0ELb0EddPKdPdEviT_T9_T10_S3_lS5_S3_lS4_T11_S3_li
                                        ; -- End function
	.set _ZL29rocblas_internal_gemmt_kernelIiLi16ELi32ELi8ELc84ELc67ELc76ELb0ELb0EddPKdPdEviT_T9_T10_S3_lS5_S3_lS4_T11_S3_li.num_vgpr, 44
	.set _ZL29rocblas_internal_gemmt_kernelIiLi16ELi32ELi8ELc84ELc67ELc76ELb0ELb0EddPKdPdEviT_T9_T10_S3_lS5_S3_lS4_T11_S3_li.num_agpr, 0
	.set _ZL29rocblas_internal_gemmt_kernelIiLi16ELi32ELi8ELc84ELc67ELc76ELb0ELb0EddPKdPdEviT_T9_T10_S3_lS5_S3_lS4_T11_S3_li.numbered_sgpr, 26
	.set _ZL29rocblas_internal_gemmt_kernelIiLi16ELi32ELi8ELc84ELc67ELc76ELb0ELb0EddPKdPdEviT_T9_T10_S3_lS5_S3_lS4_T11_S3_li.num_named_barrier, 0
	.set _ZL29rocblas_internal_gemmt_kernelIiLi16ELi32ELi8ELc84ELc67ELc76ELb0ELb0EddPKdPdEviT_T9_T10_S3_lS5_S3_lS4_T11_S3_li.private_seg_size, 0
	.set _ZL29rocblas_internal_gemmt_kernelIiLi16ELi32ELi8ELc84ELc67ELc76ELb0ELb0EddPKdPdEviT_T9_T10_S3_lS5_S3_lS4_T11_S3_li.uses_vcc, 1
	.set _ZL29rocblas_internal_gemmt_kernelIiLi16ELi32ELi8ELc84ELc67ELc76ELb0ELb0EddPKdPdEviT_T9_T10_S3_lS5_S3_lS4_T11_S3_li.uses_flat_scratch, 0
	.set _ZL29rocblas_internal_gemmt_kernelIiLi16ELi32ELi8ELc84ELc67ELc76ELb0ELb0EddPKdPdEviT_T9_T10_S3_lS5_S3_lS4_T11_S3_li.has_dyn_sized_stack, 0
	.set _ZL29rocblas_internal_gemmt_kernelIiLi16ELi32ELi8ELc84ELc67ELc76ELb0ELb0EddPKdPdEviT_T9_T10_S3_lS5_S3_lS4_T11_S3_li.has_recursion, 0
	.set _ZL29rocblas_internal_gemmt_kernelIiLi16ELi32ELi8ELc84ELc67ELc76ELb0ELb0EddPKdPdEviT_T9_T10_S3_lS5_S3_lS4_T11_S3_li.has_indirect_call, 0
	.section	.AMDGPU.csdata,"",@progbits
; Kernel info:
; codeLenInByte = 1644
; TotalNumSgprs: 28
; NumVgprs: 44
; ScratchSize: 0
; MemoryBound: 0
; FloatMode: 240
; IeeeMode: 1
; LDSByteSize: 4096 bytes/workgroup (compile time only)
; SGPRBlocks: 0
; VGPRBlocks: 5
; NumSGPRsForWavesPerEU: 28
; NumVGPRsForWavesPerEU: 44
; Occupancy: 16
; WaveLimiterHint : 0
; COMPUTE_PGM_RSRC2:SCRATCH_EN: 0
; COMPUTE_PGM_RSRC2:USER_SGPR: 6
; COMPUTE_PGM_RSRC2:TRAP_HANDLER: 0
; COMPUTE_PGM_RSRC2:TGID_X_EN: 1
; COMPUTE_PGM_RSRC2:TGID_Y_EN: 1
; COMPUTE_PGM_RSRC2:TGID_Z_EN: 1
; COMPUTE_PGM_RSRC2:TIDIG_COMP_CNT: 1
	.section	.text._ZL29rocblas_internal_gemmt_kernelIiLi16ELi32ELi8ELc67ELc78ELc76ELb0ELb0EddPKdPdEviT_T9_T10_S3_lS5_S3_lS4_T11_S3_li,"axG",@progbits,_ZL29rocblas_internal_gemmt_kernelIiLi16ELi32ELi8ELc67ELc78ELc76ELb0ELb0EddPKdPdEviT_T9_T10_S3_lS5_S3_lS4_T11_S3_li,comdat
	.globl	_ZL29rocblas_internal_gemmt_kernelIiLi16ELi32ELi8ELc67ELc78ELc76ELb0ELb0EddPKdPdEviT_T9_T10_S3_lS5_S3_lS4_T11_S3_li ; -- Begin function _ZL29rocblas_internal_gemmt_kernelIiLi16ELi32ELi8ELc67ELc78ELc76ELb0ELb0EddPKdPdEviT_T9_T10_S3_lS5_S3_lS4_T11_S3_li
	.p2align	8
	.type	_ZL29rocblas_internal_gemmt_kernelIiLi16ELi32ELi8ELc67ELc78ELc76ELb0ELb0EddPKdPdEviT_T9_T10_S3_lS5_S3_lS4_T11_S3_li,@function
_ZL29rocblas_internal_gemmt_kernelIiLi16ELi32ELi8ELc67ELc78ELc76ELb0ELb0EddPKdPdEviT_T9_T10_S3_lS5_S3_lS4_T11_S3_li: ; @_ZL29rocblas_internal_gemmt_kernelIiLi16ELi32ELi8ELc67ELc78ELc76ELb0ELb0EddPKdPdEviT_T9_T10_S3_lS5_S3_lS4_T11_S3_li
; %bb.0:
	s_clause 0x2
	s_load_dwordx4 s[12:15], s[4:5], 0x38
	s_load_dwordx2 s[2:3], s[4:5], 0x0
	s_load_dwordx4 s[16:19], s[4:5], 0x8
	s_waitcnt lgkmcnt(0)
	v_cmp_neq_f64_e64 s0, s[14:15], 1.0
	s_and_b32 vcc_lo, exec_lo, s0
	s_cbranch_vccnz .LBB69_2
; %bb.1:
	v_cmp_neq_f64_e64 s0, s[16:17], 0
	s_cmp_lg_u32 s3, 0
	s_cselect_b32 s1, -1, 0
	s_and_b32 s0, s1, s0
.LBB69_2:
	s_andn2_b32 vcc_lo, exec_lo, s0
	s_cbranch_vccnz .LBB69_26
; %bb.3:
	v_cmp_eq_f64_e64 s0, s[16:17], 0
	s_load_dwordx2 s[10:11], s[4:5], 0x48
	s_lshl_b32 s6, s6, 5
	s_lshl_b32 s7, s7, 5
	s_cmp_lt_i32 s3, 1
	v_mov_b32_e32 v12, 0
	s_cselect_b32 s1, -1, 0
	v_mov_b32_e32 v6, 0
	v_mov_b32_e32 v4, 0
	;; [unrolled: 1-line block ×7, first 2 shown]
	s_mov_b32 s9, 0
	s_or_b32 s0, s0, s1
	s_and_b32 vcc_lo, exec_lo, s0
	s_cbranch_vccnz .LBB69_10
; %bb.4:
	s_load_dword s0, s[4:5], 0x18
	v_lshl_add_u32 v2, v1, 4, v0
	s_clause 0x1
	s_load_dwordx4 s[20:23], s[4:5], 0x20
	s_load_dword s1, s[4:5], 0x30
	v_and_b32_e32 v18, 7, v0
	v_mov_b32_e32 v12, 0
	v_lshlrev_b32_e32 v19, 3, v0
	v_and_b32_e32 v4, 31, v2
	v_lshrrev_b32_e32 v3, 3, v2
	v_lshrrev_b32_e32 v21, 5, v2
	v_lshlrev_b32_e32 v6, 3, v18
	v_lshl_add_u32 v20, v1, 6, 0x800
	v_add_nc_u32_e32 v2, s6, v4
	v_add_nc_u32_e32 v5, s7, v3
	v_or_b32_e32 v7, s6, v4
	v_lshl_or_b32 v8, v3, 6, v6
	v_lshlrev_b32_e32 v4, 3, v4
	v_lshlrev_b32_e32 v9, 3, v21
	v_mov_b32_e32 v13, 0
	v_cmp_gt_i32_e32 vcc_lo, s2, v7
	v_add_nc_u32_e32 v23, 0x800, v8
	s_waitcnt lgkmcnt(0)
	v_mad_i64_i32 v[2:3], null, s0, v2, 0
	v_lshl_or_b32 v22, v21, 8, v4
	v_cmp_gt_i32_e64 s0, s2, v5
	s_mul_i32 s21, s21, s8
	s_mul_hi_u32 s24, s20, s8
	v_mad_i64_i32 v[4:5], null, s1, v5, 0
	v_lshlrev_b64 v[2:3], 3, v[2:3]
	s_mul_i32 s20, s20, s8
	s_add_i32 s21, s24, s21
	s_lshl_b64 s[20:21], s[20:21], 3
	v_add_co_u32 v7, s1, v2, s20
	v_add_co_ci_u32_e64 v8, null, s21, v3, s1
	s_mul_i32 s1, s13, s8
	s_mul_hi_u32 s13, s12, s8
	v_lshlrev_b64 v[2:3], 3, v[4:5]
	s_add_i32 s13, s13, s1
	s_mul_i32 s12, s12, s8
	v_add_co_u32 v4, s1, v7, v9
	s_lshl_b64 s[12:13], s[12:13], 3
	v_add_co_ci_u32_e64 v5, null, 0, v8, s1
	v_add_co_u32 v2, s1, v2, s12
	v_add_co_ci_u32_e64 v3, null, s13, v3, s1
	v_add_co_u32 v8, s1, s18, v4
	;; [unrolled: 2-line block ×3, first 2 shown]
	v_add_co_ci_u32_e64 v11, null, 0, v3, s1
	v_mov_b32_e32 v2, 0
	v_add_co_u32 v10, s1, s22, v10
	v_mov_b32_e32 v4, 0
	v_mov_b32_e32 v6, 0
	;; [unrolled: 1-line block ×5, first 2 shown]
	v_add_co_ci_u32_e64 v11, null, s23, v11, s1
	s_branch .LBB69_6
.LBB69_5:                               ;   in Loop: Header=BB69_6 Depth=1
	s_or_b32 exec_lo, exec_lo, s1
	s_waitcnt vmcnt(0)
	ds_write_b64 v23, v[16:17]
	s_waitcnt lgkmcnt(0)
	s_barrier
	buffer_gl0_inv
	ds_read_b128 v[14:17], v20
	ds_read2_b64 v[24:27], v19 offset1:16
	ds_read_b128 v[28:31], v20 offset:1024
	ds_read_b128 v[32:35], v20 offset:16
	ds_read2_b64 v[36:39], v19 offset0:32 offset1:48
	ds_read_b128 v[40:43], v20 offset:1040
	v_add_co_u32 v8, s1, v8, 64
	v_add_co_ci_u32_e64 v9, null, 0, v9, s1
	v_add_co_u32 v10, s1, v10, 64
	v_add_co_ci_u32_e64 v11, null, 0, v11, s1
	s_add_i32 s9, s9, 8
	s_cmp_lt_i32 s9, s3
	s_waitcnt lgkmcnt(4)
	v_fma_f64 v[12:13], v[24:25], v[14:15], v[12:13]
	v_fma_f64 v[6:7], v[26:27], v[14:15], v[6:7]
	s_waitcnt lgkmcnt(3)
	v_fma_f64 v[14:15], v[24:25], v[28:29], v[4:5]
	v_fma_f64 v[24:25], v[26:27], v[28:29], v[2:3]
	ds_read2_b64 v[2:5], v19 offset0:64 offset1:80
	s_waitcnt lgkmcnt(2)
	v_fma_f64 v[26:27], v[36:37], v[16:17], v[12:13]
	v_fma_f64 v[6:7], v[38:39], v[16:17], v[6:7]
	;; [unrolled: 1-line block ×4, first 2 shown]
	ds_read2_b64 v[12:15], v19 offset0:96 offset1:112
	s_waitcnt lgkmcnt(1)
	v_fma_f64 v[28:29], v[2:3], v[32:33], v[26:27]
	v_fma_f64 v[6:7], v[4:5], v[32:33], v[6:7]
	;; [unrolled: 1-line block ×4, first 2 shown]
	ds_read_b128 v[2:5], v20 offset:32
	ds_read2_b64 v[24:27], v19 offset0:128 offset1:144
	s_waitcnt lgkmcnt(2)
	v_fma_f64 v[40:41], v[12:13], v[34:35], v[28:29]
	v_fma_f64 v[6:7], v[14:15], v[34:35], v[6:7]
	;; [unrolled: 1-line block ×4, first 2 shown]
	ds_read_b128 v[12:15], v20 offset:1056
	ds_read_b128 v[28:31], v20 offset:48
	ds_read2_b64 v[32:35], v19 offset0:160 offset1:176
	ds_read_b128 v[36:39], v20 offset:1072
	s_waitcnt lgkmcnt(4)
	v_fma_f64 v[40:41], v[24:25], v[2:3], v[40:41]
	v_fma_f64 v[2:3], v[26:27], v[2:3], v[6:7]
	s_waitcnt lgkmcnt(3)
	v_fma_f64 v[6:7], v[24:25], v[12:13], v[16:17]
	v_fma_f64 v[12:13], v[26:27], v[12:13], v[42:43]
	ds_read2_b64 v[24:27], v19 offset0:192 offset1:208
	s_waitcnt lgkmcnt(2)
	v_fma_f64 v[40:41], v[32:33], v[4:5], v[40:41]
	v_fma_f64 v[2:3], v[34:35], v[4:5], v[2:3]
	;; [unrolled: 1-line block ×4, first 2 shown]
	ds_read2_b64 v[14:17], v19 offset0:224 offset1:240
	s_waitcnt lgkmcnt(0)
	s_barrier
	buffer_gl0_inv
	v_fma_f64 v[12:13], v[24:25], v[28:29], v[40:41]
	v_fma_f64 v[2:3], v[26:27], v[28:29], v[2:3]
	;; [unrolled: 1-line block ×8, first 2 shown]
	s_cbranch_scc0 .LBB69_10
.LBB69_6:                               ; =>This Inner Loop Header: Depth=1
	v_add_nc_u32_e32 v14, s9, v21
	v_cmp_gt_i32_e64 s1, s3, v14
	v_mov_b32_e32 v14, 0
	v_mov_b32_e32 v15, 0
	s_and_b32 s12, vcc_lo, s1
	s_and_saveexec_b32 s1, s12
	s_cbranch_execz .LBB69_8
; %bb.7:                                ;   in Loop: Header=BB69_6 Depth=1
	global_load_dwordx2 v[14:15], v[8:9], off
.LBB69_8:                               ;   in Loop: Header=BB69_6 Depth=1
	s_or_b32 exec_lo, exec_lo, s1
	v_add_nc_u32_e32 v16, s9, v18
	s_waitcnt vmcnt(0)
	ds_write_b64 v22, v[14:15]
	v_cmp_gt_i32_e64 s1, s3, v16
	v_mov_b32_e32 v16, 0
	v_mov_b32_e32 v17, 0
	s_and_b32 s12, s1, s0
	s_and_saveexec_b32 s1, s12
	s_cbranch_execz .LBB69_5
; %bb.9:                                ;   in Loop: Header=BB69_6 Depth=1
	global_load_dwordx2 v[16:17], v[10:11], off
	s_branch .LBB69_5
.LBB69_10:
	s_clause 0x1
	s_load_dword s3, s[4:5], 0x50
	s_load_dwordx2 s[4:5], s[4:5], 0x58
	v_add_nc_u32_e32 v0, s6, v0
	v_cmp_neq_f64_e64 s6, s[14:15], 0
	v_add_nc_u32_e32 v15, s7, v1
	v_cmp_gt_i32_e64 s0, s2, v0
	v_ashrrev_i32_e32 v1, 31, v0
	v_cmp_le_i32_e32 vcc_lo, v15, v0
	s_waitcnt lgkmcnt(0)
	v_mad_i64_i32 v[8:9], null, v15, s3, 0
	s_mul_i32 s1, s5, s8
	s_mul_hi_u32 s5, s4, s8
	s_mul_i32 s4, s4, s8
	s_add_i32 s5, s5, s1
	v_cndmask_b32_e64 v14, 0, 1, s6
	s_lshl_b64 s[4:5], s[4:5], 3
	v_lshlrev_b64 v[8:9], 3, v[8:9]
	s_add_u32 s4, s10, s4
	s_addc_u32 s5, s11, s5
	s_and_b32 s7, vcc_lo, s0
	v_add_co_u32 v16, s1, s4, v8
	v_add_co_ci_u32_e64 v17, null, s5, v9, s1
	s_and_saveexec_b32 s1, s7
	s_cbranch_execz .LBB69_14
; %bb.11:
	v_mul_f64 v[8:9], s[16:17], v[12:13]
	v_lshlrev_b64 v[10:11], 3, v[0:1]
	v_add_co_u32 v10, vcc_lo, v16, v10
	v_add_co_ci_u32_e64 v11, null, v17, v11, vcc_lo
	s_andn2_b32 vcc_lo, exec_lo, s6
	s_cbranch_vccnz .LBB69_13
; %bb.12:
	global_load_dwordx2 v[12:13], v[10:11], off
	s_waitcnt vmcnt(0)
	v_fma_f64 v[8:9], s[14:15], v[12:13], v[8:9]
.LBB69_13:
	global_store_dwordx2 v[10:11], v[8:9], off
.LBB69_14:
	s_or_b32 exec_lo, exec_lo, s1
	v_add_nc_u32_e32 v8, 16, v0
	v_cmp_le_i32_e32 vcc_lo, v15, v8
	v_cmp_gt_i32_e64 s1, s2, v8
	v_ashrrev_i32_e32 v9, 31, v8
	s_and_b32 s2, vcc_lo, s1
	s_and_saveexec_b32 s6, s2
	s_cbranch_execz .LBB69_18
; %bb.15:
	v_mul_f64 v[6:7], s[16:17], v[6:7]
	v_lshlrev_b64 v[10:11], 3, v[8:9]
	v_cmp_ne_u32_e32 vcc_lo, 1, v14
	v_add_co_u32 v10, s2, v16, v10
	v_add_co_ci_u32_e64 v11, null, v17, v11, s2
	s_cbranch_vccnz .LBB69_17
; %bb.16:
	global_load_dwordx2 v[12:13], v[10:11], off
	s_waitcnt vmcnt(0)
	v_fma_f64 v[6:7], s[14:15], v[12:13], v[6:7]
.LBB69_17:
	global_store_dwordx2 v[10:11], v[6:7], off
.LBB69_18:
	s_or_b32 exec_lo, exec_lo, s6
	v_add_nc_u32_e32 v10, 16, v15
	v_mad_i64_i32 v[6:7], null, v10, s3, 0
	v_cmp_le_i32_e32 vcc_lo, v10, v0
	s_and_b32 s0, vcc_lo, s0
	v_lshlrev_b64 v[6:7], 3, v[6:7]
	v_add_co_u32 v6, s2, s4, v6
	v_add_co_ci_u32_e64 v7, null, s5, v7, s2
	s_and_saveexec_b32 s2, s0
	s_cbranch_execz .LBB69_22
; %bb.19:
	v_mul_f64 v[4:5], s[16:17], v[4:5]
	v_lshlrev_b64 v[0:1], 3, v[0:1]
	v_cmp_ne_u32_e32 vcc_lo, 1, v14
	v_add_co_u32 v0, s0, v6, v0
	v_add_co_ci_u32_e64 v1, null, v7, v1, s0
	s_cbranch_vccnz .LBB69_21
; %bb.20:
	global_load_dwordx2 v[11:12], v[0:1], off
	s_waitcnt vmcnt(0)
	v_fma_f64 v[4:5], s[14:15], v[11:12], v[4:5]
.LBB69_21:
	global_store_dwordx2 v[0:1], v[4:5], off
.LBB69_22:
	s_or_b32 exec_lo, exec_lo, s2
	v_cmp_le_i32_e32 vcc_lo, v10, v8
	s_and_b32 s0, vcc_lo, s1
	s_and_saveexec_b32 s1, s0
	s_cbranch_execz .LBB69_26
; %bb.23:
	v_mul_f64 v[0:1], s[16:17], v[2:3]
	v_lshlrev_b64 v[2:3], 3, v[8:9]
	v_cmp_ne_u32_e32 vcc_lo, 1, v14
	v_add_co_u32 v2, s0, v6, v2
	v_add_co_ci_u32_e64 v3, null, v7, v3, s0
	s_cbranch_vccnz .LBB69_25
; %bb.24:
	global_load_dwordx2 v[4:5], v[2:3], off
	s_waitcnt vmcnt(0)
	v_fma_f64 v[0:1], s[14:15], v[4:5], v[0:1]
.LBB69_25:
	global_store_dwordx2 v[2:3], v[0:1], off
.LBB69_26:
	s_endpgm
	.section	.rodata,"a",@progbits
	.p2align	6, 0x0
	.amdhsa_kernel _ZL29rocblas_internal_gemmt_kernelIiLi16ELi32ELi8ELc67ELc78ELc76ELb0ELb0EddPKdPdEviT_T9_T10_S3_lS5_S3_lS4_T11_S3_li
		.amdhsa_group_segment_fixed_size 4096
		.amdhsa_private_segment_fixed_size 0
		.amdhsa_kernarg_size 100
		.amdhsa_user_sgpr_count 6
		.amdhsa_user_sgpr_private_segment_buffer 1
		.amdhsa_user_sgpr_dispatch_ptr 0
		.amdhsa_user_sgpr_queue_ptr 0
		.amdhsa_user_sgpr_kernarg_segment_ptr 1
		.amdhsa_user_sgpr_dispatch_id 0
		.amdhsa_user_sgpr_flat_scratch_init 0
		.amdhsa_user_sgpr_private_segment_size 0
		.amdhsa_wavefront_size32 1
		.amdhsa_uses_dynamic_stack 0
		.amdhsa_system_sgpr_private_segment_wavefront_offset 0
		.amdhsa_system_sgpr_workgroup_id_x 1
		.amdhsa_system_sgpr_workgroup_id_y 1
		.amdhsa_system_sgpr_workgroup_id_z 1
		.amdhsa_system_sgpr_workgroup_info 0
		.amdhsa_system_vgpr_workitem_id 1
		.amdhsa_next_free_vgpr 44
		.amdhsa_next_free_sgpr 25
		.amdhsa_reserve_vcc 1
		.amdhsa_reserve_flat_scratch 0
		.amdhsa_float_round_mode_32 0
		.amdhsa_float_round_mode_16_64 0
		.amdhsa_float_denorm_mode_32 3
		.amdhsa_float_denorm_mode_16_64 3
		.amdhsa_dx10_clamp 1
		.amdhsa_ieee_mode 1
		.amdhsa_fp16_overflow 0
		.amdhsa_workgroup_processor_mode 1
		.amdhsa_memory_ordered 1
		.amdhsa_forward_progress 1
		.amdhsa_shared_vgpr_count 0
		.amdhsa_exception_fp_ieee_invalid_op 0
		.amdhsa_exception_fp_denorm_src 0
		.amdhsa_exception_fp_ieee_div_zero 0
		.amdhsa_exception_fp_ieee_overflow 0
		.amdhsa_exception_fp_ieee_underflow 0
		.amdhsa_exception_fp_ieee_inexact 0
		.amdhsa_exception_int_div_zero 0
	.end_amdhsa_kernel
	.section	.text._ZL29rocblas_internal_gemmt_kernelIiLi16ELi32ELi8ELc67ELc78ELc76ELb0ELb0EddPKdPdEviT_T9_T10_S3_lS5_S3_lS4_T11_S3_li,"axG",@progbits,_ZL29rocblas_internal_gemmt_kernelIiLi16ELi32ELi8ELc67ELc78ELc76ELb0ELb0EddPKdPdEviT_T9_T10_S3_lS5_S3_lS4_T11_S3_li,comdat
.Lfunc_end69:
	.size	_ZL29rocblas_internal_gemmt_kernelIiLi16ELi32ELi8ELc67ELc78ELc76ELb0ELb0EddPKdPdEviT_T9_T10_S3_lS5_S3_lS4_T11_S3_li, .Lfunc_end69-_ZL29rocblas_internal_gemmt_kernelIiLi16ELi32ELi8ELc67ELc78ELc76ELb0ELb0EddPKdPdEviT_T9_T10_S3_lS5_S3_lS4_T11_S3_li
                                        ; -- End function
	.set _ZL29rocblas_internal_gemmt_kernelIiLi16ELi32ELi8ELc67ELc78ELc76ELb0ELb0EddPKdPdEviT_T9_T10_S3_lS5_S3_lS4_T11_S3_li.num_vgpr, 44
	.set _ZL29rocblas_internal_gemmt_kernelIiLi16ELi32ELi8ELc67ELc78ELc76ELb0ELb0EddPKdPdEviT_T9_T10_S3_lS5_S3_lS4_T11_S3_li.num_agpr, 0
	.set _ZL29rocblas_internal_gemmt_kernelIiLi16ELi32ELi8ELc67ELc78ELc76ELb0ELb0EddPKdPdEviT_T9_T10_S3_lS5_S3_lS4_T11_S3_li.numbered_sgpr, 25
	.set _ZL29rocblas_internal_gemmt_kernelIiLi16ELi32ELi8ELc67ELc78ELc76ELb0ELb0EddPKdPdEviT_T9_T10_S3_lS5_S3_lS4_T11_S3_li.num_named_barrier, 0
	.set _ZL29rocblas_internal_gemmt_kernelIiLi16ELi32ELi8ELc67ELc78ELc76ELb0ELb0EddPKdPdEviT_T9_T10_S3_lS5_S3_lS4_T11_S3_li.private_seg_size, 0
	.set _ZL29rocblas_internal_gemmt_kernelIiLi16ELi32ELi8ELc67ELc78ELc76ELb0ELb0EddPKdPdEviT_T9_T10_S3_lS5_S3_lS4_T11_S3_li.uses_vcc, 1
	.set _ZL29rocblas_internal_gemmt_kernelIiLi16ELi32ELi8ELc67ELc78ELc76ELb0ELb0EddPKdPdEviT_T9_T10_S3_lS5_S3_lS4_T11_S3_li.uses_flat_scratch, 0
	.set _ZL29rocblas_internal_gemmt_kernelIiLi16ELi32ELi8ELc67ELc78ELc76ELb0ELb0EddPKdPdEviT_T9_T10_S3_lS5_S3_lS4_T11_S3_li.has_dyn_sized_stack, 0
	.set _ZL29rocblas_internal_gemmt_kernelIiLi16ELi32ELi8ELc67ELc78ELc76ELb0ELb0EddPKdPdEviT_T9_T10_S3_lS5_S3_lS4_T11_S3_li.has_recursion, 0
	.set _ZL29rocblas_internal_gemmt_kernelIiLi16ELi32ELi8ELc67ELc78ELc76ELb0ELb0EddPKdPdEviT_T9_T10_S3_lS5_S3_lS4_T11_S3_li.has_indirect_call, 0
	.section	.AMDGPU.csdata,"",@progbits
; Kernel info:
; codeLenInByte = 1624
; TotalNumSgprs: 27
; NumVgprs: 44
; ScratchSize: 0
; MemoryBound: 0
; FloatMode: 240
; IeeeMode: 1
; LDSByteSize: 4096 bytes/workgroup (compile time only)
; SGPRBlocks: 0
; VGPRBlocks: 5
; NumSGPRsForWavesPerEU: 27
; NumVGPRsForWavesPerEU: 44
; Occupancy: 16
; WaveLimiterHint : 0
; COMPUTE_PGM_RSRC2:SCRATCH_EN: 0
; COMPUTE_PGM_RSRC2:USER_SGPR: 6
; COMPUTE_PGM_RSRC2:TRAP_HANDLER: 0
; COMPUTE_PGM_RSRC2:TGID_X_EN: 1
; COMPUTE_PGM_RSRC2:TGID_Y_EN: 1
; COMPUTE_PGM_RSRC2:TGID_Z_EN: 1
; COMPUTE_PGM_RSRC2:TIDIG_COMP_CNT: 1
	.section	.text._ZL29rocblas_internal_gemmt_kernelIiLi16ELi32ELi8ELc67ELc84ELc76ELb0ELb0EddPKdPdEviT_T9_T10_S3_lS5_S3_lS4_T11_S3_li,"axG",@progbits,_ZL29rocblas_internal_gemmt_kernelIiLi16ELi32ELi8ELc67ELc84ELc76ELb0ELb0EddPKdPdEviT_T9_T10_S3_lS5_S3_lS4_T11_S3_li,comdat
	.globl	_ZL29rocblas_internal_gemmt_kernelIiLi16ELi32ELi8ELc67ELc84ELc76ELb0ELb0EddPKdPdEviT_T9_T10_S3_lS5_S3_lS4_T11_S3_li ; -- Begin function _ZL29rocblas_internal_gemmt_kernelIiLi16ELi32ELi8ELc67ELc84ELc76ELb0ELb0EddPKdPdEviT_T9_T10_S3_lS5_S3_lS4_T11_S3_li
	.p2align	8
	.type	_ZL29rocblas_internal_gemmt_kernelIiLi16ELi32ELi8ELc67ELc84ELc76ELb0ELb0EddPKdPdEviT_T9_T10_S3_lS5_S3_lS4_T11_S3_li,@function
_ZL29rocblas_internal_gemmt_kernelIiLi16ELi32ELi8ELc67ELc84ELc76ELb0ELb0EddPKdPdEviT_T9_T10_S3_lS5_S3_lS4_T11_S3_li: ; @_ZL29rocblas_internal_gemmt_kernelIiLi16ELi32ELi8ELc67ELc84ELc76ELb0ELb0EddPKdPdEviT_T9_T10_S3_lS5_S3_lS4_T11_S3_li
; %bb.0:
	s_clause 0x2
	s_load_dwordx4 s[12:15], s[4:5], 0x38
	s_load_dwordx2 s[2:3], s[4:5], 0x0
	s_load_dwordx4 s[16:19], s[4:5], 0x8
	s_waitcnt lgkmcnt(0)
	v_cmp_neq_f64_e64 s0, s[14:15], 1.0
	s_and_b32 vcc_lo, exec_lo, s0
	s_cbranch_vccnz .LBB70_2
; %bb.1:
	v_cmp_neq_f64_e64 s0, s[16:17], 0
	s_cmp_lg_u32 s3, 0
	s_cselect_b32 s1, -1, 0
	s_and_b32 s0, s1, s0
.LBB70_2:
	s_andn2_b32 vcc_lo, exec_lo, s0
	s_cbranch_vccnz .LBB70_26
; %bb.3:
	v_cmp_eq_f64_e64 s0, s[16:17], 0
	s_load_dwordx2 s[10:11], s[4:5], 0x48
	s_lshl_b32 s9, s6, 5
	s_lshl_b32 s24, s7, 5
	s_cmp_lt_i32 s3, 1
	v_mov_b32_e32 v12, 0
	s_cselect_b32 s1, -1, 0
	v_mov_b32_e32 v6, 0
	v_mov_b32_e32 v4, 0
	;; [unrolled: 1-line block ×7, first 2 shown]
	s_mov_b32 s25, 0
	s_or_b32 s0, s0, s1
	s_and_b32 vcc_lo, exec_lo, s0
	s_cbranch_vccnz .LBB70_10
; %bb.4:
	s_load_dword s0, s[4:5], 0x18
	v_lshl_add_u32 v2, v1, 4, v0
	s_clause 0x1
	s_load_dwordx4 s[20:23], s[4:5], 0x20
	s_load_dword s6, s[4:5], 0x30
	v_and_b32_e32 v18, 7, v0
	v_mov_b32_e32 v12, 0
	v_lshlrev_b32_e32 v19, 3, v0
	v_and_b32_e32 v3, 31, v2
	v_lshrrev_b32_e32 v4, 3, v2
	v_lshlrev_b32_e32 v5, 3, v18
	v_lshrrev_b32_e32 v21, 5, v2
	v_lshl_add_u32 v20, v1, 6, 0x800
	v_add_nc_u32_e32 v7, s9, v3
	v_add_nc_u32_e32 v2, s24, v4
	v_lshl_or_b32 v8, v4, 6, v5
	v_or_b32_e32 v6, s9, v3
	v_lshlrev_b32_e32 v3, 3, v3
	v_lshlrev_b32_e32 v10, 3, v21
	v_mov_b32_e32 v13, 0
	v_add_nc_u32_e32 v23, 0x800, v8
	v_cmp_gt_i32_e32 vcc_lo, s2, v6
	s_waitcnt lgkmcnt(0)
	v_mad_i64_i32 v[4:5], null, s0, v7, 0
	s_mul_i32 s1, s21, s8
	s_mul_hi_u32 s7, s20, s8
	v_mad_i64_i32 v[6:7], null, s6, v18, 0
	s_mul_i32 s20, s20, s8
	s_add_i32 s21, s7, s1
	v_lshlrev_b64 v[4:5], 3, v[4:5]
	s_lshl_b64 s[20:21], s[20:21], 3
	v_lshl_or_b32 v22, v21, 8, v3
	v_ashrrev_i32_e32 v3, 31, v2
	s_mul_hi_u32 s7, s12, s8
	s_mul_i32 s12, s12, s8
	v_add_co_u32 v8, s1, v4, s20
	v_add_co_ci_u32_e64 v9, null, s21, v5, s1
	s_mul_i32 s1, s13, s8
	v_lshlrev_b64 v[4:5], 3, v[6:7]
	s_add_i32 s13, s7, s1
	v_add_co_u32 v6, s1, v8, v10
	s_lshl_b64 s[12:13], s[12:13], 3
	v_cmp_gt_i32_e64 s0, s2, v2
	v_lshlrev_b64 v[2:3], 3, v[2:3]
	v_add_co_ci_u32_e64 v7, null, 0, v9, s1
	v_add_co_u32 v4, s1, s12, v4
	v_add_co_ci_u32_e64 v5, null, s13, v5, s1
	v_add_co_u32 v8, s1, s18, v6
	;; [unrolled: 2-line block ×3, first 2 shown]
	v_add_co_ci_u32_e64 v11, null, v5, v3, s1
	v_mov_b32_e32 v2, 0
	v_add_co_u32 v10, s1, s22, v10
	v_mov_b32_e32 v4, 0
	v_mov_b32_e32 v6, 0
	;; [unrolled: 1-line block ×5, first 2 shown]
	v_add_co_ci_u32_e64 v11, null, s23, v11, s1
	s_ashr_i32 s7, s6, 31
	s_lshl_b64 s[6:7], s[6:7], 6
	s_branch .LBB70_6
.LBB70_5:                               ;   in Loop: Header=BB70_6 Depth=1
	s_or_b32 exec_lo, exec_lo, s1
	s_waitcnt vmcnt(0)
	ds_write_b64 v23, v[16:17]
	s_waitcnt lgkmcnt(0)
	s_barrier
	buffer_gl0_inv
	ds_read_b128 v[14:17], v20
	ds_read2_b64 v[24:27], v19 offset1:16
	ds_read_b128 v[28:31], v20 offset:1024
	ds_read_b128 v[32:35], v20 offset:16
	ds_read2_b64 v[36:39], v19 offset0:32 offset1:48
	ds_read_b128 v[40:43], v20 offset:1040
	v_add_co_u32 v8, s1, v8, 64
	v_add_co_ci_u32_e64 v9, null, 0, v9, s1
	v_add_co_u32 v10, s1, v10, s6
	v_add_co_ci_u32_e64 v11, null, s7, v11, s1
	s_add_i32 s25, s25, 8
	s_cmp_lt_i32 s25, s3
	s_waitcnt lgkmcnt(4)
	v_fma_f64 v[12:13], v[24:25], v[14:15], v[12:13]
	v_fma_f64 v[6:7], v[26:27], v[14:15], v[6:7]
	s_waitcnt lgkmcnt(3)
	v_fma_f64 v[14:15], v[24:25], v[28:29], v[4:5]
	v_fma_f64 v[24:25], v[26:27], v[28:29], v[2:3]
	ds_read2_b64 v[2:5], v19 offset0:64 offset1:80
	s_waitcnt lgkmcnt(2)
	v_fma_f64 v[26:27], v[36:37], v[16:17], v[12:13]
	v_fma_f64 v[6:7], v[38:39], v[16:17], v[6:7]
	;; [unrolled: 1-line block ×4, first 2 shown]
	ds_read2_b64 v[12:15], v19 offset0:96 offset1:112
	s_waitcnt lgkmcnt(1)
	v_fma_f64 v[28:29], v[2:3], v[32:33], v[26:27]
	v_fma_f64 v[6:7], v[4:5], v[32:33], v[6:7]
	;; [unrolled: 1-line block ×4, first 2 shown]
	ds_read_b128 v[2:5], v20 offset:32
	ds_read2_b64 v[24:27], v19 offset0:128 offset1:144
	s_waitcnt lgkmcnt(2)
	v_fma_f64 v[40:41], v[12:13], v[34:35], v[28:29]
	v_fma_f64 v[6:7], v[14:15], v[34:35], v[6:7]
	;; [unrolled: 1-line block ×4, first 2 shown]
	ds_read_b128 v[12:15], v20 offset:1056
	ds_read_b128 v[28:31], v20 offset:48
	ds_read2_b64 v[32:35], v19 offset0:160 offset1:176
	ds_read_b128 v[36:39], v20 offset:1072
	s_waitcnt lgkmcnt(4)
	v_fma_f64 v[40:41], v[24:25], v[2:3], v[40:41]
	v_fma_f64 v[2:3], v[26:27], v[2:3], v[6:7]
	s_waitcnt lgkmcnt(3)
	v_fma_f64 v[6:7], v[24:25], v[12:13], v[16:17]
	v_fma_f64 v[12:13], v[26:27], v[12:13], v[42:43]
	ds_read2_b64 v[24:27], v19 offset0:192 offset1:208
	s_waitcnt lgkmcnt(2)
	v_fma_f64 v[40:41], v[32:33], v[4:5], v[40:41]
	v_fma_f64 v[2:3], v[34:35], v[4:5], v[2:3]
	;; [unrolled: 1-line block ×4, first 2 shown]
	ds_read2_b64 v[14:17], v19 offset0:224 offset1:240
	s_waitcnt lgkmcnt(0)
	s_barrier
	buffer_gl0_inv
	v_fma_f64 v[12:13], v[24:25], v[28:29], v[40:41]
	v_fma_f64 v[2:3], v[26:27], v[28:29], v[2:3]
	v_fma_f64 v[4:5], v[24:25], v[36:37], v[4:5]
	v_fma_f64 v[24:25], v[26:27], v[36:37], v[6:7]
	v_fma_f64 v[12:13], v[14:15], v[30:31], v[12:13]
	v_fma_f64 v[6:7], v[16:17], v[30:31], v[2:3]
	v_fma_f64 v[4:5], v[14:15], v[38:39], v[4:5]
	v_fma_f64 v[2:3], v[16:17], v[38:39], v[24:25]
	s_cbranch_scc0 .LBB70_10
.LBB70_6:                               ; =>This Inner Loop Header: Depth=1
	v_add_nc_u32_e32 v14, s25, v21
	v_cmp_gt_i32_e64 s1, s3, v14
	v_mov_b32_e32 v14, 0
	v_mov_b32_e32 v15, 0
	s_and_b32 s12, vcc_lo, s1
	s_and_saveexec_b32 s1, s12
	s_cbranch_execz .LBB70_8
; %bb.7:                                ;   in Loop: Header=BB70_6 Depth=1
	global_load_dwordx2 v[14:15], v[8:9], off
.LBB70_8:                               ;   in Loop: Header=BB70_6 Depth=1
	s_or_b32 exec_lo, exec_lo, s1
	v_add_nc_u32_e32 v16, s25, v18
	s_waitcnt vmcnt(0)
	ds_write_b64 v22, v[14:15]
	v_cmp_gt_i32_e64 s1, s3, v16
	v_mov_b32_e32 v16, 0
	v_mov_b32_e32 v17, 0
	s_and_b32 s12, s1, s0
	s_and_saveexec_b32 s1, s12
	s_cbranch_execz .LBB70_5
; %bb.9:                                ;   in Loop: Header=BB70_6 Depth=1
	global_load_dwordx2 v[16:17], v[10:11], off
	s_branch .LBB70_5
.LBB70_10:
	s_clause 0x1
	s_load_dword s3, s[4:5], 0x50
	s_load_dwordx2 s[4:5], s[4:5], 0x58
	v_cmp_neq_f64_e64 s6, s[14:15], 0
	v_add_nc_u32_e32 v15, s24, v1
	v_add_nc_u32_e32 v0, s9, v0
	v_cmp_le_i32_e32 vcc_lo, v15, v0
	v_cmp_gt_i32_e64 s0, s2, v0
	v_ashrrev_i32_e32 v1, 31, v0
	s_waitcnt lgkmcnt(0)
	v_mad_i64_i32 v[8:9], null, v15, s3, 0
	s_mul_i32 s1, s5, s8
	s_mul_hi_u32 s5, s4, s8
	s_mul_i32 s4, s4, s8
	s_add_i32 s5, s5, s1
	v_cndmask_b32_e64 v14, 0, 1, s6
	s_lshl_b64 s[4:5], s[4:5], 3
	v_lshlrev_b64 v[8:9], 3, v[8:9]
	s_add_u32 s4, s10, s4
	s_addc_u32 s5, s11, s5
	s_and_b32 s7, vcc_lo, s0
	v_add_co_u32 v16, s1, s4, v8
	v_add_co_ci_u32_e64 v17, null, s5, v9, s1
	s_and_saveexec_b32 s1, s7
	s_cbranch_execz .LBB70_14
; %bb.11:
	v_mul_f64 v[8:9], s[16:17], v[12:13]
	v_lshlrev_b64 v[10:11], 3, v[0:1]
	v_add_co_u32 v10, vcc_lo, v16, v10
	v_add_co_ci_u32_e64 v11, null, v17, v11, vcc_lo
	s_andn2_b32 vcc_lo, exec_lo, s6
	s_cbranch_vccnz .LBB70_13
; %bb.12:
	global_load_dwordx2 v[12:13], v[10:11], off
	s_waitcnt vmcnt(0)
	v_fma_f64 v[8:9], s[14:15], v[12:13], v[8:9]
.LBB70_13:
	global_store_dwordx2 v[10:11], v[8:9], off
.LBB70_14:
	s_or_b32 exec_lo, exec_lo, s1
	v_add_nc_u32_e32 v8, 16, v0
	v_cmp_le_i32_e32 vcc_lo, v15, v8
	v_cmp_gt_i32_e64 s1, s2, v8
	v_ashrrev_i32_e32 v9, 31, v8
	s_and_b32 s2, vcc_lo, s1
	s_and_saveexec_b32 s6, s2
	s_cbranch_execz .LBB70_18
; %bb.15:
	v_mul_f64 v[6:7], s[16:17], v[6:7]
	v_lshlrev_b64 v[10:11], 3, v[8:9]
	v_cmp_ne_u32_e32 vcc_lo, 1, v14
	v_add_co_u32 v10, s2, v16, v10
	v_add_co_ci_u32_e64 v11, null, v17, v11, s2
	s_cbranch_vccnz .LBB70_17
; %bb.16:
	global_load_dwordx2 v[12:13], v[10:11], off
	s_waitcnt vmcnt(0)
	v_fma_f64 v[6:7], s[14:15], v[12:13], v[6:7]
.LBB70_17:
	global_store_dwordx2 v[10:11], v[6:7], off
.LBB70_18:
	s_or_b32 exec_lo, exec_lo, s6
	v_add_nc_u32_e32 v10, 16, v15
	v_mad_i64_i32 v[6:7], null, v10, s3, 0
	v_cmp_le_i32_e32 vcc_lo, v10, v0
	s_and_b32 s0, vcc_lo, s0
	v_lshlrev_b64 v[6:7], 3, v[6:7]
	v_add_co_u32 v6, s2, s4, v6
	v_add_co_ci_u32_e64 v7, null, s5, v7, s2
	s_and_saveexec_b32 s2, s0
	s_cbranch_execz .LBB70_22
; %bb.19:
	v_mul_f64 v[4:5], s[16:17], v[4:5]
	v_lshlrev_b64 v[0:1], 3, v[0:1]
	v_cmp_ne_u32_e32 vcc_lo, 1, v14
	v_add_co_u32 v0, s0, v6, v0
	v_add_co_ci_u32_e64 v1, null, v7, v1, s0
	s_cbranch_vccnz .LBB70_21
; %bb.20:
	global_load_dwordx2 v[11:12], v[0:1], off
	s_waitcnt vmcnt(0)
	v_fma_f64 v[4:5], s[14:15], v[11:12], v[4:5]
.LBB70_21:
	global_store_dwordx2 v[0:1], v[4:5], off
.LBB70_22:
	s_or_b32 exec_lo, exec_lo, s2
	v_cmp_le_i32_e32 vcc_lo, v10, v8
	s_and_b32 s0, vcc_lo, s1
	s_and_saveexec_b32 s1, s0
	s_cbranch_execz .LBB70_26
; %bb.23:
	v_mul_f64 v[0:1], s[16:17], v[2:3]
	v_lshlrev_b64 v[2:3], 3, v[8:9]
	v_cmp_ne_u32_e32 vcc_lo, 1, v14
	v_add_co_u32 v2, s0, v6, v2
	v_add_co_ci_u32_e64 v3, null, v7, v3, s0
	s_cbranch_vccnz .LBB70_25
; %bb.24:
	global_load_dwordx2 v[4:5], v[2:3], off
	s_waitcnt vmcnt(0)
	v_fma_f64 v[0:1], s[14:15], v[4:5], v[0:1]
.LBB70_25:
	global_store_dwordx2 v[2:3], v[0:1], off
.LBB70_26:
	s_endpgm
	.section	.rodata,"a",@progbits
	.p2align	6, 0x0
	.amdhsa_kernel _ZL29rocblas_internal_gemmt_kernelIiLi16ELi32ELi8ELc67ELc84ELc76ELb0ELb0EddPKdPdEviT_T9_T10_S3_lS5_S3_lS4_T11_S3_li
		.amdhsa_group_segment_fixed_size 4096
		.amdhsa_private_segment_fixed_size 0
		.amdhsa_kernarg_size 100
		.amdhsa_user_sgpr_count 6
		.amdhsa_user_sgpr_private_segment_buffer 1
		.amdhsa_user_sgpr_dispatch_ptr 0
		.amdhsa_user_sgpr_queue_ptr 0
		.amdhsa_user_sgpr_kernarg_segment_ptr 1
		.amdhsa_user_sgpr_dispatch_id 0
		.amdhsa_user_sgpr_flat_scratch_init 0
		.amdhsa_user_sgpr_private_segment_size 0
		.amdhsa_wavefront_size32 1
		.amdhsa_uses_dynamic_stack 0
		.amdhsa_system_sgpr_private_segment_wavefront_offset 0
		.amdhsa_system_sgpr_workgroup_id_x 1
		.amdhsa_system_sgpr_workgroup_id_y 1
		.amdhsa_system_sgpr_workgroup_id_z 1
		.amdhsa_system_sgpr_workgroup_info 0
		.amdhsa_system_vgpr_workitem_id 1
		.amdhsa_next_free_vgpr 44
		.amdhsa_next_free_sgpr 26
		.amdhsa_reserve_vcc 1
		.amdhsa_reserve_flat_scratch 0
		.amdhsa_float_round_mode_32 0
		.amdhsa_float_round_mode_16_64 0
		.amdhsa_float_denorm_mode_32 3
		.amdhsa_float_denorm_mode_16_64 3
		.amdhsa_dx10_clamp 1
		.amdhsa_ieee_mode 1
		.amdhsa_fp16_overflow 0
		.amdhsa_workgroup_processor_mode 1
		.amdhsa_memory_ordered 1
		.amdhsa_forward_progress 1
		.amdhsa_shared_vgpr_count 0
		.amdhsa_exception_fp_ieee_invalid_op 0
		.amdhsa_exception_fp_denorm_src 0
		.amdhsa_exception_fp_ieee_div_zero 0
		.amdhsa_exception_fp_ieee_overflow 0
		.amdhsa_exception_fp_ieee_underflow 0
		.amdhsa_exception_fp_ieee_inexact 0
		.amdhsa_exception_int_div_zero 0
	.end_amdhsa_kernel
	.section	.text._ZL29rocblas_internal_gemmt_kernelIiLi16ELi32ELi8ELc67ELc84ELc76ELb0ELb0EddPKdPdEviT_T9_T10_S3_lS5_S3_lS4_T11_S3_li,"axG",@progbits,_ZL29rocblas_internal_gemmt_kernelIiLi16ELi32ELi8ELc67ELc84ELc76ELb0ELb0EddPKdPdEviT_T9_T10_S3_lS5_S3_lS4_T11_S3_li,comdat
.Lfunc_end70:
	.size	_ZL29rocblas_internal_gemmt_kernelIiLi16ELi32ELi8ELc67ELc84ELc76ELb0ELb0EddPKdPdEviT_T9_T10_S3_lS5_S3_lS4_T11_S3_li, .Lfunc_end70-_ZL29rocblas_internal_gemmt_kernelIiLi16ELi32ELi8ELc67ELc84ELc76ELb0ELb0EddPKdPdEviT_T9_T10_S3_lS5_S3_lS4_T11_S3_li
                                        ; -- End function
	.set _ZL29rocblas_internal_gemmt_kernelIiLi16ELi32ELi8ELc67ELc84ELc76ELb0ELb0EddPKdPdEviT_T9_T10_S3_lS5_S3_lS4_T11_S3_li.num_vgpr, 44
	.set _ZL29rocblas_internal_gemmt_kernelIiLi16ELi32ELi8ELc67ELc84ELc76ELb0ELb0EddPKdPdEviT_T9_T10_S3_lS5_S3_lS4_T11_S3_li.num_agpr, 0
	.set _ZL29rocblas_internal_gemmt_kernelIiLi16ELi32ELi8ELc67ELc84ELc76ELb0ELb0EddPKdPdEviT_T9_T10_S3_lS5_S3_lS4_T11_S3_li.numbered_sgpr, 26
	.set _ZL29rocblas_internal_gemmt_kernelIiLi16ELi32ELi8ELc67ELc84ELc76ELb0ELb0EddPKdPdEviT_T9_T10_S3_lS5_S3_lS4_T11_S3_li.num_named_barrier, 0
	.set _ZL29rocblas_internal_gemmt_kernelIiLi16ELi32ELi8ELc67ELc84ELc76ELb0ELb0EddPKdPdEviT_T9_T10_S3_lS5_S3_lS4_T11_S3_li.private_seg_size, 0
	.set _ZL29rocblas_internal_gemmt_kernelIiLi16ELi32ELi8ELc67ELc84ELc76ELb0ELb0EddPKdPdEviT_T9_T10_S3_lS5_S3_lS4_T11_S3_li.uses_vcc, 1
	.set _ZL29rocblas_internal_gemmt_kernelIiLi16ELi32ELi8ELc67ELc84ELc76ELb0ELb0EddPKdPdEviT_T9_T10_S3_lS5_S3_lS4_T11_S3_li.uses_flat_scratch, 0
	.set _ZL29rocblas_internal_gemmt_kernelIiLi16ELi32ELi8ELc67ELc84ELc76ELb0ELb0EddPKdPdEviT_T9_T10_S3_lS5_S3_lS4_T11_S3_li.has_dyn_sized_stack, 0
	.set _ZL29rocblas_internal_gemmt_kernelIiLi16ELi32ELi8ELc67ELc84ELc76ELb0ELb0EddPKdPdEviT_T9_T10_S3_lS5_S3_lS4_T11_S3_li.has_recursion, 0
	.set _ZL29rocblas_internal_gemmt_kernelIiLi16ELi32ELi8ELc67ELc84ELc76ELb0ELb0EddPKdPdEviT_T9_T10_S3_lS5_S3_lS4_T11_S3_li.has_indirect_call, 0
	.section	.AMDGPU.csdata,"",@progbits
; Kernel info:
; codeLenInByte = 1644
; TotalNumSgprs: 28
; NumVgprs: 44
; ScratchSize: 0
; MemoryBound: 0
; FloatMode: 240
; IeeeMode: 1
; LDSByteSize: 4096 bytes/workgroup (compile time only)
; SGPRBlocks: 0
; VGPRBlocks: 5
; NumSGPRsForWavesPerEU: 28
; NumVGPRsForWavesPerEU: 44
; Occupancy: 16
; WaveLimiterHint : 0
; COMPUTE_PGM_RSRC2:SCRATCH_EN: 0
; COMPUTE_PGM_RSRC2:USER_SGPR: 6
; COMPUTE_PGM_RSRC2:TRAP_HANDLER: 0
; COMPUTE_PGM_RSRC2:TGID_X_EN: 1
; COMPUTE_PGM_RSRC2:TGID_Y_EN: 1
; COMPUTE_PGM_RSRC2:TGID_Z_EN: 1
; COMPUTE_PGM_RSRC2:TIDIG_COMP_CNT: 1
	.section	.text._ZL29rocblas_internal_gemmt_kernelIiLi16ELi32ELi8ELc67ELc67ELc76ELb0ELb0EddPKdPdEviT_T9_T10_S3_lS5_S3_lS4_T11_S3_li,"axG",@progbits,_ZL29rocblas_internal_gemmt_kernelIiLi16ELi32ELi8ELc67ELc67ELc76ELb0ELb0EddPKdPdEviT_T9_T10_S3_lS5_S3_lS4_T11_S3_li,comdat
	.globl	_ZL29rocblas_internal_gemmt_kernelIiLi16ELi32ELi8ELc67ELc67ELc76ELb0ELb0EddPKdPdEviT_T9_T10_S3_lS5_S3_lS4_T11_S3_li ; -- Begin function _ZL29rocblas_internal_gemmt_kernelIiLi16ELi32ELi8ELc67ELc67ELc76ELb0ELb0EddPKdPdEviT_T9_T10_S3_lS5_S3_lS4_T11_S3_li
	.p2align	8
	.type	_ZL29rocblas_internal_gemmt_kernelIiLi16ELi32ELi8ELc67ELc67ELc76ELb0ELb0EddPKdPdEviT_T9_T10_S3_lS5_S3_lS4_T11_S3_li,@function
_ZL29rocblas_internal_gemmt_kernelIiLi16ELi32ELi8ELc67ELc67ELc76ELb0ELb0EddPKdPdEviT_T9_T10_S3_lS5_S3_lS4_T11_S3_li: ; @_ZL29rocblas_internal_gemmt_kernelIiLi16ELi32ELi8ELc67ELc67ELc76ELb0ELb0EddPKdPdEviT_T9_T10_S3_lS5_S3_lS4_T11_S3_li
; %bb.0:
	s_clause 0x2
	s_load_dwordx4 s[12:15], s[4:5], 0x38
	s_load_dwordx2 s[2:3], s[4:5], 0x0
	s_load_dwordx4 s[16:19], s[4:5], 0x8
	s_waitcnt lgkmcnt(0)
	v_cmp_neq_f64_e64 s0, s[14:15], 1.0
	s_and_b32 vcc_lo, exec_lo, s0
	s_cbranch_vccnz .LBB71_2
; %bb.1:
	v_cmp_neq_f64_e64 s0, s[16:17], 0
	s_cmp_lg_u32 s3, 0
	s_cselect_b32 s1, -1, 0
	s_and_b32 s0, s1, s0
.LBB71_2:
	s_andn2_b32 vcc_lo, exec_lo, s0
	s_cbranch_vccnz .LBB71_26
; %bb.3:
	v_cmp_eq_f64_e64 s0, s[16:17], 0
	s_load_dwordx2 s[10:11], s[4:5], 0x48
	s_lshl_b32 s9, s6, 5
	s_lshl_b32 s24, s7, 5
	s_cmp_lt_i32 s3, 1
	v_mov_b32_e32 v12, 0
	s_cselect_b32 s1, -1, 0
	v_mov_b32_e32 v6, 0
	v_mov_b32_e32 v4, 0
	;; [unrolled: 1-line block ×7, first 2 shown]
	s_mov_b32 s25, 0
	s_or_b32 s0, s0, s1
	s_and_b32 vcc_lo, exec_lo, s0
	s_cbranch_vccnz .LBB71_10
; %bb.4:
	s_load_dword s0, s[4:5], 0x18
	v_lshl_add_u32 v2, v1, 4, v0
	s_clause 0x1
	s_load_dwordx4 s[20:23], s[4:5], 0x20
	s_load_dword s6, s[4:5], 0x30
	v_and_b32_e32 v18, 7, v0
	v_mov_b32_e32 v12, 0
	v_lshlrev_b32_e32 v19, 3, v0
	v_and_b32_e32 v3, 31, v2
	v_lshrrev_b32_e32 v4, 3, v2
	v_lshlrev_b32_e32 v5, 3, v18
	v_lshrrev_b32_e32 v21, 5, v2
	v_lshl_add_u32 v20, v1, 6, 0x800
	v_add_nc_u32_e32 v7, s9, v3
	v_add_nc_u32_e32 v2, s24, v4
	v_lshl_or_b32 v8, v4, 6, v5
	v_or_b32_e32 v6, s9, v3
	v_lshlrev_b32_e32 v3, 3, v3
	v_lshlrev_b32_e32 v10, 3, v21
	v_mov_b32_e32 v13, 0
	v_add_nc_u32_e32 v23, 0x800, v8
	v_cmp_gt_i32_e32 vcc_lo, s2, v6
	s_waitcnt lgkmcnt(0)
	v_mad_i64_i32 v[4:5], null, s0, v7, 0
	s_mul_i32 s1, s21, s8
	s_mul_hi_u32 s7, s20, s8
	v_mad_i64_i32 v[6:7], null, s6, v18, 0
	s_mul_i32 s20, s20, s8
	s_add_i32 s21, s7, s1
	v_lshlrev_b64 v[4:5], 3, v[4:5]
	s_lshl_b64 s[20:21], s[20:21], 3
	v_lshl_or_b32 v22, v21, 8, v3
	v_ashrrev_i32_e32 v3, 31, v2
	s_mul_hi_u32 s7, s12, s8
	s_mul_i32 s12, s12, s8
	v_add_co_u32 v8, s1, v4, s20
	v_add_co_ci_u32_e64 v9, null, s21, v5, s1
	s_mul_i32 s1, s13, s8
	v_lshlrev_b64 v[4:5], 3, v[6:7]
	s_add_i32 s13, s7, s1
	v_add_co_u32 v6, s1, v8, v10
	s_lshl_b64 s[12:13], s[12:13], 3
	v_cmp_gt_i32_e64 s0, s2, v2
	v_lshlrev_b64 v[2:3], 3, v[2:3]
	v_add_co_ci_u32_e64 v7, null, 0, v9, s1
	v_add_co_u32 v4, s1, s12, v4
	v_add_co_ci_u32_e64 v5, null, s13, v5, s1
	v_add_co_u32 v8, s1, s18, v6
	;; [unrolled: 2-line block ×3, first 2 shown]
	v_add_co_ci_u32_e64 v11, null, v5, v3, s1
	v_mov_b32_e32 v2, 0
	v_add_co_u32 v10, s1, s22, v10
	v_mov_b32_e32 v4, 0
	v_mov_b32_e32 v6, 0
	;; [unrolled: 1-line block ×5, first 2 shown]
	v_add_co_ci_u32_e64 v11, null, s23, v11, s1
	s_ashr_i32 s7, s6, 31
	s_lshl_b64 s[6:7], s[6:7], 6
	s_branch .LBB71_6
.LBB71_5:                               ;   in Loop: Header=BB71_6 Depth=1
	s_or_b32 exec_lo, exec_lo, s1
	s_waitcnt vmcnt(0)
	ds_write_b64 v23, v[16:17]
	s_waitcnt lgkmcnt(0)
	s_barrier
	buffer_gl0_inv
	ds_read_b128 v[14:17], v20
	ds_read2_b64 v[24:27], v19 offset1:16
	ds_read_b128 v[28:31], v20 offset:1024
	ds_read_b128 v[32:35], v20 offset:16
	ds_read2_b64 v[36:39], v19 offset0:32 offset1:48
	ds_read_b128 v[40:43], v20 offset:1040
	v_add_co_u32 v8, s1, v8, 64
	v_add_co_ci_u32_e64 v9, null, 0, v9, s1
	v_add_co_u32 v10, s1, v10, s6
	v_add_co_ci_u32_e64 v11, null, s7, v11, s1
	s_add_i32 s25, s25, 8
	s_cmp_lt_i32 s25, s3
	s_waitcnt lgkmcnt(4)
	v_fma_f64 v[12:13], v[24:25], v[14:15], v[12:13]
	v_fma_f64 v[6:7], v[26:27], v[14:15], v[6:7]
	s_waitcnt lgkmcnt(3)
	v_fma_f64 v[14:15], v[24:25], v[28:29], v[4:5]
	v_fma_f64 v[24:25], v[26:27], v[28:29], v[2:3]
	ds_read2_b64 v[2:5], v19 offset0:64 offset1:80
	s_waitcnt lgkmcnt(2)
	v_fma_f64 v[26:27], v[36:37], v[16:17], v[12:13]
	v_fma_f64 v[6:7], v[38:39], v[16:17], v[6:7]
	;; [unrolled: 1-line block ×4, first 2 shown]
	ds_read2_b64 v[12:15], v19 offset0:96 offset1:112
	s_waitcnt lgkmcnt(1)
	v_fma_f64 v[28:29], v[2:3], v[32:33], v[26:27]
	v_fma_f64 v[6:7], v[4:5], v[32:33], v[6:7]
	;; [unrolled: 1-line block ×4, first 2 shown]
	ds_read_b128 v[2:5], v20 offset:32
	ds_read2_b64 v[24:27], v19 offset0:128 offset1:144
	s_waitcnt lgkmcnt(2)
	v_fma_f64 v[40:41], v[12:13], v[34:35], v[28:29]
	v_fma_f64 v[6:7], v[14:15], v[34:35], v[6:7]
	v_fma_f64 v[16:17], v[12:13], v[42:43], v[16:17]
	v_fma_f64 v[42:43], v[14:15], v[42:43], v[30:31]
	ds_read_b128 v[12:15], v20 offset:1056
	ds_read_b128 v[28:31], v20 offset:48
	ds_read2_b64 v[32:35], v19 offset0:160 offset1:176
	ds_read_b128 v[36:39], v20 offset:1072
	s_waitcnt lgkmcnt(4)
	v_fma_f64 v[40:41], v[24:25], v[2:3], v[40:41]
	v_fma_f64 v[2:3], v[26:27], v[2:3], v[6:7]
	s_waitcnt lgkmcnt(3)
	v_fma_f64 v[6:7], v[24:25], v[12:13], v[16:17]
	v_fma_f64 v[12:13], v[26:27], v[12:13], v[42:43]
	ds_read2_b64 v[24:27], v19 offset0:192 offset1:208
	s_waitcnt lgkmcnt(2)
	v_fma_f64 v[40:41], v[32:33], v[4:5], v[40:41]
	v_fma_f64 v[2:3], v[34:35], v[4:5], v[2:3]
	;; [unrolled: 1-line block ×4, first 2 shown]
	ds_read2_b64 v[14:17], v19 offset0:224 offset1:240
	s_waitcnt lgkmcnt(0)
	s_barrier
	buffer_gl0_inv
	v_fma_f64 v[12:13], v[24:25], v[28:29], v[40:41]
	v_fma_f64 v[2:3], v[26:27], v[28:29], v[2:3]
	;; [unrolled: 1-line block ×8, first 2 shown]
	s_cbranch_scc0 .LBB71_10
.LBB71_6:                               ; =>This Inner Loop Header: Depth=1
	v_add_nc_u32_e32 v14, s25, v21
	v_cmp_gt_i32_e64 s1, s3, v14
	v_mov_b32_e32 v14, 0
	v_mov_b32_e32 v15, 0
	s_and_b32 s12, vcc_lo, s1
	s_and_saveexec_b32 s1, s12
	s_cbranch_execz .LBB71_8
; %bb.7:                                ;   in Loop: Header=BB71_6 Depth=1
	global_load_dwordx2 v[14:15], v[8:9], off
.LBB71_8:                               ;   in Loop: Header=BB71_6 Depth=1
	s_or_b32 exec_lo, exec_lo, s1
	v_add_nc_u32_e32 v16, s25, v18
	s_waitcnt vmcnt(0)
	ds_write_b64 v22, v[14:15]
	v_cmp_gt_i32_e64 s1, s3, v16
	v_mov_b32_e32 v16, 0
	v_mov_b32_e32 v17, 0
	s_and_b32 s12, s1, s0
	s_and_saveexec_b32 s1, s12
	s_cbranch_execz .LBB71_5
; %bb.9:                                ;   in Loop: Header=BB71_6 Depth=1
	global_load_dwordx2 v[16:17], v[10:11], off
	s_branch .LBB71_5
.LBB71_10:
	s_clause 0x1
	s_load_dword s3, s[4:5], 0x50
	s_load_dwordx2 s[4:5], s[4:5], 0x58
	v_cmp_neq_f64_e64 s6, s[14:15], 0
	v_add_nc_u32_e32 v15, s24, v1
	v_add_nc_u32_e32 v0, s9, v0
	v_cmp_le_i32_e32 vcc_lo, v15, v0
	v_cmp_gt_i32_e64 s0, s2, v0
	v_ashrrev_i32_e32 v1, 31, v0
	s_waitcnt lgkmcnt(0)
	v_mad_i64_i32 v[8:9], null, v15, s3, 0
	s_mul_i32 s1, s5, s8
	s_mul_hi_u32 s5, s4, s8
	s_mul_i32 s4, s4, s8
	s_add_i32 s5, s5, s1
	v_cndmask_b32_e64 v14, 0, 1, s6
	s_lshl_b64 s[4:5], s[4:5], 3
	v_lshlrev_b64 v[8:9], 3, v[8:9]
	s_add_u32 s4, s10, s4
	s_addc_u32 s5, s11, s5
	s_and_b32 s7, vcc_lo, s0
	v_add_co_u32 v16, s1, s4, v8
	v_add_co_ci_u32_e64 v17, null, s5, v9, s1
	s_and_saveexec_b32 s1, s7
	s_cbranch_execz .LBB71_14
; %bb.11:
	v_mul_f64 v[8:9], s[16:17], v[12:13]
	v_lshlrev_b64 v[10:11], 3, v[0:1]
	v_add_co_u32 v10, vcc_lo, v16, v10
	v_add_co_ci_u32_e64 v11, null, v17, v11, vcc_lo
	s_andn2_b32 vcc_lo, exec_lo, s6
	s_cbranch_vccnz .LBB71_13
; %bb.12:
	global_load_dwordx2 v[12:13], v[10:11], off
	s_waitcnt vmcnt(0)
	v_fma_f64 v[8:9], s[14:15], v[12:13], v[8:9]
.LBB71_13:
	global_store_dwordx2 v[10:11], v[8:9], off
.LBB71_14:
	s_or_b32 exec_lo, exec_lo, s1
	v_add_nc_u32_e32 v8, 16, v0
	v_cmp_le_i32_e32 vcc_lo, v15, v8
	v_cmp_gt_i32_e64 s1, s2, v8
	v_ashrrev_i32_e32 v9, 31, v8
	s_and_b32 s2, vcc_lo, s1
	s_and_saveexec_b32 s6, s2
	s_cbranch_execz .LBB71_18
; %bb.15:
	v_mul_f64 v[6:7], s[16:17], v[6:7]
	v_lshlrev_b64 v[10:11], 3, v[8:9]
	v_cmp_ne_u32_e32 vcc_lo, 1, v14
	v_add_co_u32 v10, s2, v16, v10
	v_add_co_ci_u32_e64 v11, null, v17, v11, s2
	s_cbranch_vccnz .LBB71_17
; %bb.16:
	global_load_dwordx2 v[12:13], v[10:11], off
	s_waitcnt vmcnt(0)
	v_fma_f64 v[6:7], s[14:15], v[12:13], v[6:7]
.LBB71_17:
	global_store_dwordx2 v[10:11], v[6:7], off
.LBB71_18:
	s_or_b32 exec_lo, exec_lo, s6
	v_add_nc_u32_e32 v10, 16, v15
	v_mad_i64_i32 v[6:7], null, v10, s3, 0
	v_cmp_le_i32_e32 vcc_lo, v10, v0
	s_and_b32 s0, vcc_lo, s0
	v_lshlrev_b64 v[6:7], 3, v[6:7]
	v_add_co_u32 v6, s2, s4, v6
	v_add_co_ci_u32_e64 v7, null, s5, v7, s2
	s_and_saveexec_b32 s2, s0
	s_cbranch_execz .LBB71_22
; %bb.19:
	v_mul_f64 v[4:5], s[16:17], v[4:5]
	v_lshlrev_b64 v[0:1], 3, v[0:1]
	v_cmp_ne_u32_e32 vcc_lo, 1, v14
	v_add_co_u32 v0, s0, v6, v0
	v_add_co_ci_u32_e64 v1, null, v7, v1, s0
	s_cbranch_vccnz .LBB71_21
; %bb.20:
	global_load_dwordx2 v[11:12], v[0:1], off
	s_waitcnt vmcnt(0)
	v_fma_f64 v[4:5], s[14:15], v[11:12], v[4:5]
.LBB71_21:
	global_store_dwordx2 v[0:1], v[4:5], off
.LBB71_22:
	s_or_b32 exec_lo, exec_lo, s2
	v_cmp_le_i32_e32 vcc_lo, v10, v8
	s_and_b32 s0, vcc_lo, s1
	s_and_saveexec_b32 s1, s0
	s_cbranch_execz .LBB71_26
; %bb.23:
	v_mul_f64 v[0:1], s[16:17], v[2:3]
	v_lshlrev_b64 v[2:3], 3, v[8:9]
	v_cmp_ne_u32_e32 vcc_lo, 1, v14
	v_add_co_u32 v2, s0, v6, v2
	v_add_co_ci_u32_e64 v3, null, v7, v3, s0
	s_cbranch_vccnz .LBB71_25
; %bb.24:
	global_load_dwordx2 v[4:5], v[2:3], off
	s_waitcnt vmcnt(0)
	v_fma_f64 v[0:1], s[14:15], v[4:5], v[0:1]
.LBB71_25:
	global_store_dwordx2 v[2:3], v[0:1], off
.LBB71_26:
	s_endpgm
	.section	.rodata,"a",@progbits
	.p2align	6, 0x0
	.amdhsa_kernel _ZL29rocblas_internal_gemmt_kernelIiLi16ELi32ELi8ELc67ELc67ELc76ELb0ELb0EddPKdPdEviT_T9_T10_S3_lS5_S3_lS4_T11_S3_li
		.amdhsa_group_segment_fixed_size 4096
		.amdhsa_private_segment_fixed_size 0
		.amdhsa_kernarg_size 100
		.amdhsa_user_sgpr_count 6
		.amdhsa_user_sgpr_private_segment_buffer 1
		.amdhsa_user_sgpr_dispatch_ptr 0
		.amdhsa_user_sgpr_queue_ptr 0
		.amdhsa_user_sgpr_kernarg_segment_ptr 1
		.amdhsa_user_sgpr_dispatch_id 0
		.amdhsa_user_sgpr_flat_scratch_init 0
		.amdhsa_user_sgpr_private_segment_size 0
		.amdhsa_wavefront_size32 1
		.amdhsa_uses_dynamic_stack 0
		.amdhsa_system_sgpr_private_segment_wavefront_offset 0
		.amdhsa_system_sgpr_workgroup_id_x 1
		.amdhsa_system_sgpr_workgroup_id_y 1
		.amdhsa_system_sgpr_workgroup_id_z 1
		.amdhsa_system_sgpr_workgroup_info 0
		.amdhsa_system_vgpr_workitem_id 1
		.amdhsa_next_free_vgpr 44
		.amdhsa_next_free_sgpr 26
		.amdhsa_reserve_vcc 1
		.amdhsa_reserve_flat_scratch 0
		.amdhsa_float_round_mode_32 0
		.amdhsa_float_round_mode_16_64 0
		.amdhsa_float_denorm_mode_32 3
		.amdhsa_float_denorm_mode_16_64 3
		.amdhsa_dx10_clamp 1
		.amdhsa_ieee_mode 1
		.amdhsa_fp16_overflow 0
		.amdhsa_workgroup_processor_mode 1
		.amdhsa_memory_ordered 1
		.amdhsa_forward_progress 1
		.amdhsa_shared_vgpr_count 0
		.amdhsa_exception_fp_ieee_invalid_op 0
		.amdhsa_exception_fp_denorm_src 0
		.amdhsa_exception_fp_ieee_div_zero 0
		.amdhsa_exception_fp_ieee_overflow 0
		.amdhsa_exception_fp_ieee_underflow 0
		.amdhsa_exception_fp_ieee_inexact 0
		.amdhsa_exception_int_div_zero 0
	.end_amdhsa_kernel
	.section	.text._ZL29rocblas_internal_gemmt_kernelIiLi16ELi32ELi8ELc67ELc67ELc76ELb0ELb0EddPKdPdEviT_T9_T10_S3_lS5_S3_lS4_T11_S3_li,"axG",@progbits,_ZL29rocblas_internal_gemmt_kernelIiLi16ELi32ELi8ELc67ELc67ELc76ELb0ELb0EddPKdPdEviT_T9_T10_S3_lS5_S3_lS4_T11_S3_li,comdat
.Lfunc_end71:
	.size	_ZL29rocblas_internal_gemmt_kernelIiLi16ELi32ELi8ELc67ELc67ELc76ELb0ELb0EddPKdPdEviT_T9_T10_S3_lS5_S3_lS4_T11_S3_li, .Lfunc_end71-_ZL29rocblas_internal_gemmt_kernelIiLi16ELi32ELi8ELc67ELc67ELc76ELb0ELb0EddPKdPdEviT_T9_T10_S3_lS5_S3_lS4_T11_S3_li
                                        ; -- End function
	.set _ZL29rocblas_internal_gemmt_kernelIiLi16ELi32ELi8ELc67ELc67ELc76ELb0ELb0EddPKdPdEviT_T9_T10_S3_lS5_S3_lS4_T11_S3_li.num_vgpr, 44
	.set _ZL29rocblas_internal_gemmt_kernelIiLi16ELi32ELi8ELc67ELc67ELc76ELb0ELb0EddPKdPdEviT_T9_T10_S3_lS5_S3_lS4_T11_S3_li.num_agpr, 0
	.set _ZL29rocblas_internal_gemmt_kernelIiLi16ELi32ELi8ELc67ELc67ELc76ELb0ELb0EddPKdPdEviT_T9_T10_S3_lS5_S3_lS4_T11_S3_li.numbered_sgpr, 26
	.set _ZL29rocblas_internal_gemmt_kernelIiLi16ELi32ELi8ELc67ELc67ELc76ELb0ELb0EddPKdPdEviT_T9_T10_S3_lS5_S3_lS4_T11_S3_li.num_named_barrier, 0
	.set _ZL29rocblas_internal_gemmt_kernelIiLi16ELi32ELi8ELc67ELc67ELc76ELb0ELb0EddPKdPdEviT_T9_T10_S3_lS5_S3_lS4_T11_S3_li.private_seg_size, 0
	.set _ZL29rocblas_internal_gemmt_kernelIiLi16ELi32ELi8ELc67ELc67ELc76ELb0ELb0EddPKdPdEviT_T9_T10_S3_lS5_S3_lS4_T11_S3_li.uses_vcc, 1
	.set _ZL29rocblas_internal_gemmt_kernelIiLi16ELi32ELi8ELc67ELc67ELc76ELb0ELb0EddPKdPdEviT_T9_T10_S3_lS5_S3_lS4_T11_S3_li.uses_flat_scratch, 0
	.set _ZL29rocblas_internal_gemmt_kernelIiLi16ELi32ELi8ELc67ELc67ELc76ELb0ELb0EddPKdPdEviT_T9_T10_S3_lS5_S3_lS4_T11_S3_li.has_dyn_sized_stack, 0
	.set _ZL29rocblas_internal_gemmt_kernelIiLi16ELi32ELi8ELc67ELc67ELc76ELb0ELb0EddPKdPdEviT_T9_T10_S3_lS5_S3_lS4_T11_S3_li.has_recursion, 0
	.set _ZL29rocblas_internal_gemmt_kernelIiLi16ELi32ELi8ELc67ELc67ELc76ELb0ELb0EddPKdPdEviT_T9_T10_S3_lS5_S3_lS4_T11_S3_li.has_indirect_call, 0
	.section	.AMDGPU.csdata,"",@progbits
; Kernel info:
; codeLenInByte = 1644
; TotalNumSgprs: 28
; NumVgprs: 44
; ScratchSize: 0
; MemoryBound: 0
; FloatMode: 240
; IeeeMode: 1
; LDSByteSize: 4096 bytes/workgroup (compile time only)
; SGPRBlocks: 0
; VGPRBlocks: 5
; NumSGPRsForWavesPerEU: 28
; NumVGPRsForWavesPerEU: 44
; Occupancy: 16
; WaveLimiterHint : 0
; COMPUTE_PGM_RSRC2:SCRATCH_EN: 0
; COMPUTE_PGM_RSRC2:USER_SGPR: 6
; COMPUTE_PGM_RSRC2:TRAP_HANDLER: 0
; COMPUTE_PGM_RSRC2:TGID_X_EN: 1
; COMPUTE_PGM_RSRC2:TGID_Y_EN: 1
; COMPUTE_PGM_RSRC2:TGID_Z_EN: 1
; COMPUTE_PGM_RSRC2:TIDIG_COMP_CNT: 1
	.section	.text._ZL29rocblas_internal_gemmt_kernelIiLi16ELi32ELi8ELc78ELc78ELc85ELb0ELb0E19rocblas_complex_numIfEPKS1_S3_PS1_EviT_T9_T10_S5_lS7_S5_lS6_T11_S5_li,"axG",@progbits,_ZL29rocblas_internal_gemmt_kernelIiLi16ELi32ELi8ELc78ELc78ELc85ELb0ELb0E19rocblas_complex_numIfEPKS1_S3_PS1_EviT_T9_T10_S5_lS7_S5_lS6_T11_S5_li,comdat
	.globl	_ZL29rocblas_internal_gemmt_kernelIiLi16ELi32ELi8ELc78ELc78ELc85ELb0ELb0E19rocblas_complex_numIfEPKS1_S3_PS1_EviT_T9_T10_S5_lS7_S5_lS6_T11_S5_li ; -- Begin function _ZL29rocblas_internal_gemmt_kernelIiLi16ELi32ELi8ELc78ELc78ELc85ELb0ELb0E19rocblas_complex_numIfEPKS1_S3_PS1_EviT_T9_T10_S5_lS7_S5_lS6_T11_S5_li
	.p2align	8
	.type	_ZL29rocblas_internal_gemmt_kernelIiLi16ELi32ELi8ELc78ELc78ELc85ELb0ELb0E19rocblas_complex_numIfEPKS1_S3_PS1_EviT_T9_T10_S5_lS7_S5_lS6_T11_S5_li,@function
_ZL29rocblas_internal_gemmt_kernelIiLi16ELi32ELi8ELc78ELc78ELc85ELb0ELb0E19rocblas_complex_numIfEPKS1_S3_PS1_EviT_T9_T10_S5_lS7_S5_lS6_T11_S5_li: ; @_ZL29rocblas_internal_gemmt_kernelIiLi16ELi32ELi8ELc78ELc78ELc85ELb0ELb0E19rocblas_complex_numIfEPKS1_S3_PS1_EviT_T9_T10_S5_lS7_S5_lS6_T11_S5_li
; %bb.0:
	s_clause 0x1
	s_load_dwordx4 s[12:15], s[4:5], 0x38
	s_load_dwordx4 s[0:3], s[4:5], 0x8
	s_waitcnt lgkmcnt(0)
	s_load_dwordx2 s[10:11], s[14:15], 0x0
	s_load_dwordx2 s[20:21], s[4:5], 0x0
	;; [unrolled: 1-line block ×3, first 2 shown]
	s_waitcnt lgkmcnt(0)
	s_and_b32 s0, s11, 0x7fffffff
	v_cmp_eq_f32_e64 s1, s10, 1.0
	s_cmp_eq_u32 s0, 0
	s_mov_b32 s0, 0
	s_cselect_b32 s9, -1, 0
	s_and_b32 s1, s1, s9
	s_andn2_b32 vcc_lo, exec_lo, s1
	s_mov_b32 s1, -1
	s_cbranch_vccnz .LBB72_4
; %bb.1:
	s_cmp_lg_u32 s21, 0
	s_cbranch_scc0 .LBB72_3
; %bb.2:
	v_cmp_neq_f32_e64 s0, s14, 0
	v_cmp_neq_f32_e64 s1, s15, 0
	s_or_b32 s0, s0, s1
.LBB72_3:
	s_mov_b32 s1, s0
.LBB72_4:
	s_and_b32 vcc_lo, exec_lo, s1
	s_cbranch_vccz .LBB72_32
; %bb.5:
	s_load_dwordx2 s[22:23], s[4:5], 0x48
	v_cmp_eq_f32_e64 s0, s14, 0
	v_cmp_eq_f32_e64 s1, s15, 0
	s_lshl_b32 s24, s6, 5
	s_lshl_b32 s25, s7, 5
	v_mov_b32_e32 v20, 0
	v_mov_b32_e32 v21, 0
	s_and_b32 s0, s0, s1
	s_cmp_lt_i32 s21, 1
	v_mov_b32_e32 v18, 0
	s_cselect_b32 s1, -1, 0
	v_mov_b32_e32 v19, 0
	v_mov_b32_e32 v16, 0
	;; [unrolled: 1-line block ×5, first 2 shown]
	s_or_b32 s0, s0, s1
	s_mov_b32 s26, 0
	s_and_b32 vcc_lo, exec_lo, s0
	s_cbranch_vccnz .LBB72_16
; %bb.6:
	s_load_dword s6, s[4:5], 0x18
	v_lshl_add_u32 v2, v1, 4, v0
	s_clause 0x1
	s_load_dwordx4 s[16:19], s[4:5], 0x20
	s_load_dword s1, s[4:5], 0x30
	v_and_b32_e32 v8, 7, v0
	v_lshlrev_b32_e32 v9, 3, v0
	v_lshl_add_u32 v10, v1, 6, 0x800
	v_and_b32_e32 v3, 31, v2
	v_lshrrev_b32_e32 v4, 3, v2
	v_lshlrev_b32_e32 v14, 3, v8
	v_lshrrev_b32_e32 v11, 5, v2
	v_mov_b32_e32 v17, 0
	v_or_b32_e32 v5, s24, v3
	v_add_nc_u32_e32 v7, s25, v4
	v_lshl_or_b32 v13, v4, 6, v14
	v_lshlrev_b32_e32 v6, 3, v3
	v_add_nc_u32_e32 v2, s24, v3
	v_cmp_gt_i32_e32 vcc_lo, s20, v5
	v_cmp_gt_i32_e64 s0, s20, v7
	v_add_nc_u32_e32 v13, 0x800, v13
	v_lshl_or_b32 v12, v11, 8, v6
	s_waitcnt lgkmcnt(0)
	v_mad_i64_i32 v[4:5], null, v11, s6, 0
	s_mul_i32 s17, s17, s8
	s_mul_hi_u32 s27, s16, s8
	v_mad_i64_i32 v[6:7], null, s1, v7, 0
	v_ashrrev_i32_e32 v3, 31, v2
	s_mul_i32 s16, s16, s8
	v_lshlrev_b64 v[4:5], 3, v[4:5]
	s_add_i32 s17, s27, s17
	v_mov_b32_e32 v19, 0
	s_lshl_b64 s[16:17], s[16:17], 3
	v_lshlrev_b64 v[2:3], 3, v[2:3]
	v_mov_b32_e32 v18, 0
	v_add_co_u32 v15, s1, v4, s16
	v_add_co_ci_u32_e64 v16, null, s17, v5, s1
	s_mul_i32 s1, s13, s8
	s_mul_hi_u32 s13, s12, s8
	v_lshlrev_b64 v[4:5], 3, v[6:7]
	s_add_i32 s13, s13, s1
	s_mul_i32 s12, s12, s8
	v_add_co_u32 v2, s1, v15, v2
	s_lshl_b64 s[12:13], s[12:13], 3
	v_add_co_ci_u32_e64 v3, null, v16, v3, s1
	v_add_co_u32 v4, s1, v4, s12
	v_add_co_ci_u32_e64 v5, null, s13, v5, s1
	v_add_co_u32 v2, s1, s2, v2
	;; [unrolled: 2-line block ×3, first 2 shown]
	v_add_co_ci_u32_e64 v5, null, 0, v5, s1
	v_mov_b32_e32 v4, 0
	v_add_co_u32 v6, s1, s18, v6
	v_add_co_ci_u32_e64 v7, null, s19, v5, s1
	v_mov_b32_e32 v15, 0
	v_mov_b32_e32 v14, 0
	;; [unrolled: 1-line block ×5, first 2 shown]
	s_ashr_i32 s7, s6, 31
	s_xor_b32 s1, vcc_lo, -1
	s_lshl_b64 s[2:3], s[6:7], 6
	s_xor_b32 s0, s0, -1
	s_branch .LBB72_8
.LBB72_7:                               ;   in Loop: Header=BB72_8 Depth=1
	s_or_b32 exec_lo, exec_lo, s6
	s_waitcnt lgkmcnt(0)
	s_barrier
	buffer_gl0_inv
	ds_read_b128 v[22:25], v10
	ds_read2_b64 v[26:29], v9 offset1:16
	ds_read_b128 v[30:33], v10 offset:1024
	ds_read_b128 v[34:37], v10 offset:16
	;; [unrolled: 1-line block ×4, first 2 shown]
	ds_read2_b64 v[46:49], v9 offset0:32 offset1:48
	ds_read_b128 v[50:53], v10 offset:1040
	v_add_co_u32 v2, vcc_lo, v2, s2
	v_add_co_ci_u32_e64 v3, null, s3, v3, vcc_lo
	v_add_co_u32 v6, vcc_lo, v6, 64
	v_add_co_ci_u32_e64 v7, null, 0, v7, vcc_lo
	s_add_i32 s26, s26, 8
	s_cmp_lt_i32 s26, s21
	s_waitcnt lgkmcnt(6)
	v_mul_f32_e32 v5, v23, v27
	v_mul_f32_e32 v54, v22, v27
	;; [unrolled: 1-line block ×4, first 2 shown]
	s_waitcnt lgkmcnt(5)
	v_mul_f32_e32 v57, v31, v27
	v_mul_f32_e32 v27, v30, v27
	v_mul_f32_e32 v58, v31, v29
	v_fma_f32 v5, v22, v26, -v5
	v_fmac_f32_e32 v54, v23, v26
	v_fma_f32 v22, v22, v28, -v55
	v_fmac_f32_e32 v56, v23, v28
	;; [unrolled: 2-line block ×3, first 2 shown]
	v_mul_f32_e32 v29, v30, v29
	v_fma_f32 v26, v30, v28, -v58
	v_add_f32_e32 v5, v20, v5
	v_add_f32_e32 v20, v21, v54
	;; [unrolled: 1-line block ×6, first 2 shown]
	s_waitcnt lgkmcnt(1)
	v_mul_f32_e32 v30, v25, v47
	ds_read2_b64 v[16:19], v9 offset0:64 offset1:80
	v_fmac_f32_e32 v29, v31, v28
	v_add_f32_e32 v14, v14, v26
	v_mul_f32_e32 v26, v24, v47
	v_fma_f32 v28, v24, v46, -v30
	v_mul_f32_e32 v30, v25, v49
	v_add_f32_e32 v15, v15, v29
	v_mul_f32_e32 v29, v24, v49
	v_fmac_f32_e32 v26, v25, v46
	v_add_f32_e32 v5, v5, v28
	v_fma_f32 v24, v24, v48, -v30
	v_mul_f32_e32 v28, v33, v47
	v_fmac_f32_e32 v29, v25, v48
	v_add_f32_e32 v26, v20, v26
	v_mul_f32_e32 v20, v32, v47
	v_add_f32_e32 v24, v21, v24
	v_fma_f32 v21, v32, v46, -v28
	v_mul_f32_e32 v25, v33, v49
	v_add_f32_e32 v28, v22, v29
	v_fmac_f32_e32 v20, v33, v46
	v_mul_f32_e32 v29, v32, v49
	v_add_f32_e32 v30, v23, v21
	v_fma_f32 v21, v32, v48, -v25
	s_waitcnt lgkmcnt(0)
	v_mul_f32_e32 v22, v35, v17
	v_add_f32_e32 v25, v27, v20
	v_fmac_f32_e32 v29, v33, v48
	v_mul_f32_e32 v27, v34, v17
	v_add_f32_e32 v14, v14, v21
	v_fma_f32 v31, v34, v16, -v22
	v_mul_f32_e32 v32, v35, v19
	ds_read2_b64 v[20:23], v9 offset0:96 offset1:112
	v_fmac_f32_e32 v27, v35, v16
	v_add_f32_e32 v29, v15, v29
	v_add_f32_e32 v5, v5, v31
	v_mul_f32_e32 v15, v34, v19
	v_fma_f32 v31, v34, v18, -v32
	v_add_f32_e32 v26, v26, v27
	v_mul_f32_e32 v27, v51, v17
	v_mul_f32_e32 v17, v50, v17
	v_fmac_f32_e32 v15, v35, v18
	v_add_f32_e32 v24, v24, v31
	v_mul_f32_e32 v31, v51, v19
	v_mul_f32_e32 v19, v50, v19
	v_fmac_f32_e32 v17, v51, v16
	v_add_f32_e32 v28, v28, v15
	v_fma_f32 v27, v50, v16, -v27
	v_fma_f32 v15, v50, v18, -v31
	v_fmac_f32_e32 v19, v51, v18
	v_add_f32_e32 v31, v25, v17
	s_waitcnt lgkmcnt(0)
	v_mul_f32_e32 v18, v37, v21
	v_add_f32_e32 v32, v14, v15
	ds_read2_b64 v[14:17], v9 offset0:128 offset1:144
	v_add_f32_e32 v30, v30, v27
	v_mul_f32_e32 v25, v36, v21
	v_fma_f32 v18, v36, v20, -v18
	v_mul_f32_e32 v27, v37, v23
	v_add_f32_e32 v29, v29, v19
	v_mul_f32_e32 v19, v36, v23
	v_fmac_f32_e32 v25, v37, v20
	v_add_f32_e32 v5, v5, v18
	v_mul_f32_e32 v18, v53, v21
	v_fma_f32 v27, v36, v22, -v27
	v_fmac_f32_e32 v19, v37, v22
	v_mul_f32_e32 v21, v52, v21
	v_mul_f32_e32 v35, v53, v23
	v_fma_f32 v18, v52, v20, -v18
	v_add_f32_e32 v33, v26, v25
	v_add_f32_e32 v34, v24, v27
	ds_read_b128 v[24:27], v10 offset:1056
	v_add_f32_e32 v36, v28, v19
	v_fmac_f32_e32 v21, v53, v20
	v_mul_f32_e32 v23, v52, v23
	v_fma_f32 v19, v52, v22, -v35
	v_add_f32_e32 v35, v30, v18
	s_waitcnt lgkmcnt(1)
	v_mul_f32_e32 v18, v39, v15
	v_add_f32_e32 v37, v31, v21
	v_fmac_f32_e32 v23, v53, v22
	v_add_f32_e32 v22, v32, v19
	v_mul_f32_e32 v32, v38, v15
	v_fma_f32 v28, v38, v14, -v18
	ds_read2_b64 v[18:21], v9 offset0:160 offset1:176
	v_mul_f32_e32 v30, v39, v17
	v_mul_f32_e32 v46, v38, v17
	v_fmac_f32_e32 v32, v39, v14
	v_add_f32_e32 v23, v29, v23
	v_add_f32_e32 v5, v5, v28
	v_fma_f32 v38, v38, v16, -v30
	ds_read_b128 v[28:31], v10 offset:1072
	s_waitcnt lgkmcnt(2)
	v_mul_f32_e32 v47, v25, v15
	v_add_f32_e32 v32, v33, v32
	v_mul_f32_e32 v15, v24, v15
	v_add_f32_e32 v33, v34, v38
	v_mul_f32_e32 v38, v25, v17
	v_fmac_f32_e32 v46, v39, v16
	v_fma_f32 v34, v24, v14, -v47
	v_fmac_f32_e32 v15, v25, v14
	v_mul_f32_e32 v39, v24, v17
	v_fma_f32 v14, v24, v16, -v38
	v_add_f32_e32 v36, v36, v46
	v_add_f32_e32 v34, v35, v34
	s_waitcnt lgkmcnt(1)
	v_mul_f32_e32 v17, v41, v19
	v_add_f32_e32 v24, v37, v15
	v_fmac_f32_e32 v39, v25, v16
	v_mul_f32_e32 v25, v40, v19
	v_add_f32_e32 v22, v22, v14
	v_fma_f32 v35, v40, v18, -v17
	ds_read2_b64 v[14:17], v9 offset0:192 offset1:208
	v_mul_f32_e32 v37, v41, v21
	v_fmac_f32_e32 v25, v41, v18
	v_add_f32_e32 v38, v23, v39
	v_add_f32_e32 v5, v5, v35
	v_mul_f32_e32 v23, v40, v21
	v_fma_f32 v35, v40, v20, -v37
	v_add_f32_e32 v32, v32, v25
	v_mul_f32_e32 v25, v27, v19
	v_mul_f32_e32 v19, v26, v19
	v_fmac_f32_e32 v23, v41, v20
	v_add_f32_e32 v33, v33, v35
	v_mul_f32_e32 v35, v27, v21
	v_fma_f32 v25, v26, v18, -v25
	v_fmac_f32_e32 v19, v27, v18
	v_add_f32_e32 v18, v36, v23
	v_mul_f32_e32 v21, v26, v21
	v_fma_f32 v23, v26, v20, -v35
	v_add_f32_e32 v26, v34, v25
	v_add_f32_e32 v19, v24, v19
	s_waitcnt lgkmcnt(0)
	v_mul_f32_e32 v34, v43, v15
	v_fmac_f32_e32 v21, v27, v20
	v_add_f32_e32 v20, v22, v23
	ds_read2_b64 v[22:25], v9 offset0:224 offset1:240
	v_mul_f32_e32 v27, v42, v15
	v_fma_f32 v34, v42, v14, -v34
	v_mul_f32_e32 v35, v43, v17
	v_mul_f32_e32 v36, v42, v17
	v_add_f32_e32 v21, v38, v21
	v_fmac_f32_e32 v27, v43, v14
	v_add_f32_e32 v5, v5, v34
	v_mul_f32_e32 v34, v29, v15
	v_fma_f32 v35, v42, v16, -v35
	v_fmac_f32_e32 v36, v43, v16
	v_add_f32_e32 v27, v32, v27
	v_mul_f32_e32 v15, v28, v15
	v_fma_f32 v32, v28, v14, -v34
	v_mul_f32_e32 v34, v29, v17
	v_add_f32_e32 v33, v33, v35
	v_add_f32_e32 v35, v18, v36
	v_fmac_f32_e32 v15, v29, v14
	v_add_f32_e32 v14, v26, v32
	v_mul_f32_e32 v17, v28, v17
	v_fma_f32 v18, v28, v16, -v34
	s_waitcnt lgkmcnt(0)
	v_mul_f32_e32 v26, v45, v23
	v_mul_f32_e32 v28, v44, v23
	v_add_f32_e32 v15, v19, v15
	v_fmac_f32_e32 v17, v29, v16
	v_add_f32_e32 v29, v20, v18
	v_fma_f32 v16, v44, v22, -v26
	v_mul_f32_e32 v18, v45, v25
	v_mul_f32_e32 v19, v44, v25
	v_add_f32_e32 v26, v21, v17
	v_mul_f32_e32 v17, v30, v23
	v_add_f32_e32 v20, v5, v16
	v_fma_f32 v5, v44, v24, -v18
	v_mul_f32_e32 v16, v31, v23
	v_mul_f32_e32 v23, v31, v25
	;; [unrolled: 1-line block ×3, first 2 shown]
	v_fmac_f32_e32 v28, v45, v22
	v_fmac_f32_e32 v19, v45, v24
	v_add_f32_e32 v18, v33, v5
	v_fma_f32 v5, v30, v22, -v16
	v_fmac_f32_e32 v17, v31, v22
	v_fma_f32 v22, v30, v24, -v23
	v_fmac_f32_e32 v25, v31, v24
	v_add_f32_e32 v21, v27, v28
	v_add_f32_e32 v19, v35, v19
	;; [unrolled: 1-line block ×6, first 2 shown]
	s_barrier
	buffer_gl0_inv
	s_cbranch_scc0 .LBB72_16
.LBB72_8:                               ; =>This Inner Loop Header: Depth=1
	v_add_nc_u32_e32 v5, s26, v11
	v_cmp_le_i32_e32 vcc_lo, s21, v5
	s_or_b32 s6, s1, vcc_lo
	s_and_saveexec_b32 s7, s6
	s_xor_b32 s6, exec_lo, s7
; %bb.9:                                ;   in Loop: Header=BB72_8 Depth=1
	v_mov_b32_e32 v5, v4
	ds_write_b64 v12, v[4:5]
; %bb.10:                               ;   in Loop: Header=BB72_8 Depth=1
	s_andn2_saveexec_b32 s6, s6
	s_cbranch_execz .LBB72_12
; %bb.11:                               ;   in Loop: Header=BB72_8 Depth=1
	global_load_dwordx2 v[22:23], v[2:3], off
	s_waitcnt vmcnt(0)
	ds_write_b64 v12, v[22:23]
.LBB72_12:                              ;   in Loop: Header=BB72_8 Depth=1
	s_or_b32 exec_lo, exec_lo, s6
	v_add_nc_u32_e32 v5, s26, v8
	v_cmp_le_i32_e32 vcc_lo, s21, v5
	s_or_b32 s6, vcc_lo, s0
	s_and_saveexec_b32 s7, s6
	s_xor_b32 s6, exec_lo, s7
; %bb.13:                               ;   in Loop: Header=BB72_8 Depth=1
	v_mov_b32_e32 v5, v4
	ds_write_b64 v13, v[4:5]
; %bb.14:                               ;   in Loop: Header=BB72_8 Depth=1
	s_andn2_saveexec_b32 s6, s6
	s_cbranch_execz .LBB72_7
; %bb.15:                               ;   in Loop: Header=BB72_8 Depth=1
	global_load_dwordx2 v[22:23], v[6:7], off
	s_waitcnt vmcnt(0)
	ds_write_b64 v13, v[22:23]
	s_branch .LBB72_7
.LBB72_16:
	s_clause 0x1
	s_load_dword s2, s[4:5], 0x50
	s_load_dwordx2 s[4:5], s[4:5], 0x58
	v_add_nc_u32_e32 v9, s25, v1
	v_add_nc_u32_e32 v0, s24, v0
	v_cmp_neq_f32_e64 s6, s10, 0
	v_cmp_gt_i32_e64 s0, s20, v9
	v_cmp_le_i32_e32 vcc_lo, v0, v9
	s_waitcnt lgkmcnt(0)
	v_mad_i64_i32 v[1:2], null, v9, s2, 0
	s_mul_i32 s1, s5, s8
	s_mul_hi_u32 s3, s4, s8
	s_mul_i32 s4, s4, s8
	s_add_i32 s5, s3, s1
	s_lshl_b64 s[4:5], s[4:5], 3
	v_lshlrev_b64 v[2:3], 3, v[1:2]
	s_add_u32 s3, s22, s4
	s_addc_u32 s4, s23, s5
	s_xor_b32 s5, s9, -1
	v_ashrrev_i32_e32 v1, 31, v0
	s_or_b32 s5, s6, s5
	v_add_co_u32 v6, s1, s3, v2
	v_add_co_ci_u32_e64 v7, null, s4, v3, s1
	v_cndmask_b32_e64 v8, 0, 1, s5
	s_and_b32 s6, s0, vcc_lo
	s_and_saveexec_b32 s1, s6
	s_cbranch_execz .LBB72_20
; %bb.17:
	v_lshlrev_b64 v[4:5], 3, v[0:1]
	v_mul_f32_e32 v2, s15, v21
	v_mul_f32_e32 v3, s14, v21
	v_fma_f32 v2, v20, s14, -v2
	v_add_co_u32 v4, vcc_lo, v6, v4
	v_fmac_f32_e32 v3, s15, v20
	v_add_co_ci_u32_e64 v5, null, v7, v5, vcc_lo
	s_andn2_b32 vcc_lo, exec_lo, s5
	s_cbranch_vccnz .LBB72_19
; %bb.18:
	global_load_dwordx2 v[10:11], v[4:5], off
	s_waitcnt vmcnt(0)
	v_mul_f32_e32 v12, s11, v11
	v_mul_f32_e32 v11, s10, v11
	v_fma_f32 v12, v10, s10, -v12
	v_fmac_f32_e32 v11, s11, v10
	v_add_f32_e32 v2, v2, v12
	v_add_f32_e32 v3, v3, v11
.LBB72_19:
	global_store_dwordx2 v[4:5], v[2:3], off
.LBB72_20:
	s_or_b32 exec_lo, exec_lo, s1
	v_add_nc_u32_e32 v2, 16, v0
	v_cmp_le_i32_e32 vcc_lo, v2, v9
	v_ashrrev_i32_e32 v3, 31, v2
	s_and_b32 s0, s0, vcc_lo
	s_and_saveexec_b32 s1, s0
	s_cbranch_execz .LBB72_24
; %bb.21:
	v_lshlrev_b64 v[10:11], 3, v[2:3]
	v_mul_f32_e32 v4, s15, v19
	v_mul_f32_e32 v5, s14, v19
	v_cmp_ne_u32_e32 vcc_lo, 1, v8
	v_fma_f32 v4, v18, s14, -v4
	v_add_co_u32 v6, s0, v6, v10
	v_fmac_f32_e32 v5, s15, v18
	v_add_co_ci_u32_e64 v7, null, v7, v11, s0
	s_cbranch_vccnz .LBB72_23
; %bb.22:
	global_load_dwordx2 v[10:11], v[6:7], off
	s_waitcnt vmcnt(0)
	v_mul_f32_e32 v12, s11, v11
	v_mul_f32_e32 v11, s10, v11
	v_fma_f32 v12, v10, s10, -v12
	v_fmac_f32_e32 v11, s11, v10
	v_add_f32_e32 v4, v4, v12
	v_add_f32_e32 v5, v5, v11
.LBB72_23:
	global_store_dwordx2 v[6:7], v[4:5], off
.LBB72_24:
	s_or_b32 exec_lo, exec_lo, s1
	v_add_nc_u32_e32 v9, 16, v9
	v_mad_i64_i32 v[4:5], null, v9, s2, 0
	v_cmp_gt_i32_e64 s0, s20, v9
	v_cmp_le_i32_e32 vcc_lo, v0, v9
	v_lshlrev_b64 v[4:5], 3, v[4:5]
	v_add_co_u32 v6, s1, s3, v4
	v_add_co_ci_u32_e64 v7, null, s4, v5, s1
	s_and_b32 s1, s0, vcc_lo
	s_and_saveexec_b32 s2, s1
	s_cbranch_execz .LBB72_28
; %bb.25:
	v_lshlrev_b64 v[0:1], 3, v[0:1]
	v_mul_f32_e32 v4, s15, v17
	v_mul_f32_e32 v5, s14, v17
	v_cmp_ne_u32_e32 vcc_lo, 1, v8
	v_fma_f32 v4, v16, s14, -v4
	v_add_co_u32 v0, s1, v6, v0
	v_fmac_f32_e32 v5, s15, v16
	v_add_co_ci_u32_e64 v1, null, v7, v1, s1
	s_cbranch_vccnz .LBB72_27
; %bb.26:
	global_load_dwordx2 v[10:11], v[0:1], off
	s_waitcnt vmcnt(0)
	v_mul_f32_e32 v12, s11, v11
	v_mul_f32_e32 v11, s10, v11
	v_fma_f32 v12, v10, s10, -v12
	v_fmac_f32_e32 v11, s11, v10
	v_add_f32_e32 v4, v4, v12
	v_add_f32_e32 v5, v5, v11
.LBB72_27:
	global_store_dwordx2 v[0:1], v[4:5], off
.LBB72_28:
	s_or_b32 exec_lo, exec_lo, s2
	v_cmp_le_i32_e32 vcc_lo, v2, v9
	s_and_b32 s0, s0, vcc_lo
	s_and_saveexec_b32 s1, s0
	s_cbranch_execz .LBB72_32
; %bb.29:
	v_lshlrev_b64 v[2:3], 3, v[2:3]
	v_mul_f32_e32 v0, s15, v15
	v_mul_f32_e32 v1, s14, v15
	v_cmp_ne_u32_e32 vcc_lo, 1, v8
	v_fma_f32 v0, v14, s14, -v0
	v_add_co_u32 v2, s0, v6, v2
	v_fmac_f32_e32 v1, s15, v14
	v_add_co_ci_u32_e64 v3, null, v7, v3, s0
	s_cbranch_vccnz .LBB72_31
; %bb.30:
	global_load_dwordx2 v[4:5], v[2:3], off
	s_waitcnt vmcnt(0)
	v_mul_f32_e32 v6, s11, v5
	v_mul_f32_e32 v5, s10, v5
	v_fma_f32 v6, v4, s10, -v6
	v_fmac_f32_e32 v5, s11, v4
	v_add_f32_e32 v0, v0, v6
	v_add_f32_e32 v1, v1, v5
.LBB72_31:
	global_store_dwordx2 v[2:3], v[0:1], off
.LBB72_32:
	s_endpgm
	.section	.rodata,"a",@progbits
	.p2align	6, 0x0
	.amdhsa_kernel _ZL29rocblas_internal_gemmt_kernelIiLi16ELi32ELi8ELc78ELc78ELc85ELb0ELb0E19rocblas_complex_numIfEPKS1_S3_PS1_EviT_T9_T10_S5_lS7_S5_lS6_T11_S5_li
		.amdhsa_group_segment_fixed_size 4096
		.amdhsa_private_segment_fixed_size 0
		.amdhsa_kernarg_size 100
		.amdhsa_user_sgpr_count 6
		.amdhsa_user_sgpr_private_segment_buffer 1
		.amdhsa_user_sgpr_dispatch_ptr 0
		.amdhsa_user_sgpr_queue_ptr 0
		.amdhsa_user_sgpr_kernarg_segment_ptr 1
		.amdhsa_user_sgpr_dispatch_id 0
		.amdhsa_user_sgpr_flat_scratch_init 0
		.amdhsa_user_sgpr_private_segment_size 0
		.amdhsa_wavefront_size32 1
		.amdhsa_uses_dynamic_stack 0
		.amdhsa_system_sgpr_private_segment_wavefront_offset 0
		.amdhsa_system_sgpr_workgroup_id_x 1
		.amdhsa_system_sgpr_workgroup_id_y 1
		.amdhsa_system_sgpr_workgroup_id_z 1
		.amdhsa_system_sgpr_workgroup_info 0
		.amdhsa_system_vgpr_workitem_id 1
		.amdhsa_next_free_vgpr 59
		.amdhsa_next_free_sgpr 28
		.amdhsa_reserve_vcc 1
		.amdhsa_reserve_flat_scratch 0
		.amdhsa_float_round_mode_32 0
		.amdhsa_float_round_mode_16_64 0
		.amdhsa_float_denorm_mode_32 3
		.amdhsa_float_denorm_mode_16_64 3
		.amdhsa_dx10_clamp 1
		.amdhsa_ieee_mode 1
		.amdhsa_fp16_overflow 0
		.amdhsa_workgroup_processor_mode 1
		.amdhsa_memory_ordered 1
		.amdhsa_forward_progress 1
		.amdhsa_shared_vgpr_count 0
		.amdhsa_exception_fp_ieee_invalid_op 0
		.amdhsa_exception_fp_denorm_src 0
		.amdhsa_exception_fp_ieee_div_zero 0
		.amdhsa_exception_fp_ieee_overflow 0
		.amdhsa_exception_fp_ieee_underflow 0
		.amdhsa_exception_fp_ieee_inexact 0
		.amdhsa_exception_int_div_zero 0
	.end_amdhsa_kernel
	.section	.text._ZL29rocblas_internal_gemmt_kernelIiLi16ELi32ELi8ELc78ELc78ELc85ELb0ELb0E19rocblas_complex_numIfEPKS1_S3_PS1_EviT_T9_T10_S5_lS7_S5_lS6_T11_S5_li,"axG",@progbits,_ZL29rocblas_internal_gemmt_kernelIiLi16ELi32ELi8ELc78ELc78ELc85ELb0ELb0E19rocblas_complex_numIfEPKS1_S3_PS1_EviT_T9_T10_S5_lS7_S5_lS6_T11_S5_li,comdat
.Lfunc_end72:
	.size	_ZL29rocblas_internal_gemmt_kernelIiLi16ELi32ELi8ELc78ELc78ELc85ELb0ELb0E19rocblas_complex_numIfEPKS1_S3_PS1_EviT_T9_T10_S5_lS7_S5_lS6_T11_S5_li, .Lfunc_end72-_ZL29rocblas_internal_gemmt_kernelIiLi16ELi32ELi8ELc78ELc78ELc85ELb0ELb0E19rocblas_complex_numIfEPKS1_S3_PS1_EviT_T9_T10_S5_lS7_S5_lS6_T11_S5_li
                                        ; -- End function
	.set _ZL29rocblas_internal_gemmt_kernelIiLi16ELi32ELi8ELc78ELc78ELc85ELb0ELb0E19rocblas_complex_numIfEPKS1_S3_PS1_EviT_T9_T10_S5_lS7_S5_lS6_T11_S5_li.num_vgpr, 59
	.set _ZL29rocblas_internal_gemmt_kernelIiLi16ELi32ELi8ELc78ELc78ELc85ELb0ELb0E19rocblas_complex_numIfEPKS1_S3_PS1_EviT_T9_T10_S5_lS7_S5_lS6_T11_S5_li.num_agpr, 0
	.set _ZL29rocblas_internal_gemmt_kernelIiLi16ELi32ELi8ELc78ELc78ELc85ELb0ELb0E19rocblas_complex_numIfEPKS1_S3_PS1_EviT_T9_T10_S5_lS7_S5_lS6_T11_S5_li.numbered_sgpr, 28
	.set _ZL29rocblas_internal_gemmt_kernelIiLi16ELi32ELi8ELc78ELc78ELc85ELb0ELb0E19rocblas_complex_numIfEPKS1_S3_PS1_EviT_T9_T10_S5_lS7_S5_lS6_T11_S5_li.num_named_barrier, 0
	.set _ZL29rocblas_internal_gemmt_kernelIiLi16ELi32ELi8ELc78ELc78ELc85ELb0ELb0E19rocblas_complex_numIfEPKS1_S3_PS1_EviT_T9_T10_S5_lS7_S5_lS6_T11_S5_li.private_seg_size, 0
	.set _ZL29rocblas_internal_gemmt_kernelIiLi16ELi32ELi8ELc78ELc78ELc85ELb0ELb0E19rocblas_complex_numIfEPKS1_S3_PS1_EviT_T9_T10_S5_lS7_S5_lS6_T11_S5_li.uses_vcc, 1
	.set _ZL29rocblas_internal_gemmt_kernelIiLi16ELi32ELi8ELc78ELc78ELc85ELb0ELb0E19rocblas_complex_numIfEPKS1_S3_PS1_EviT_T9_T10_S5_lS7_S5_lS6_T11_S5_li.uses_flat_scratch, 0
	.set _ZL29rocblas_internal_gemmt_kernelIiLi16ELi32ELi8ELc78ELc78ELc85ELb0ELb0E19rocblas_complex_numIfEPKS1_S3_PS1_EviT_T9_T10_S5_lS7_S5_lS6_T11_S5_li.has_dyn_sized_stack, 0
	.set _ZL29rocblas_internal_gemmt_kernelIiLi16ELi32ELi8ELc78ELc78ELc85ELb0ELb0E19rocblas_complex_numIfEPKS1_S3_PS1_EviT_T9_T10_S5_lS7_S5_lS6_T11_S5_li.has_recursion, 0
	.set _ZL29rocblas_internal_gemmt_kernelIiLi16ELi32ELi8ELc78ELc78ELc85ELb0ELb0E19rocblas_complex_numIfEPKS1_S3_PS1_EviT_T9_T10_S5_lS7_S5_lS6_T11_S5_li.has_indirect_call, 0
	.section	.AMDGPU.csdata,"",@progbits
; Kernel info:
; codeLenInByte = 2520
; TotalNumSgprs: 30
; NumVgprs: 59
; ScratchSize: 0
; MemoryBound: 1
; FloatMode: 240
; IeeeMode: 1
; LDSByteSize: 4096 bytes/workgroup (compile time only)
; SGPRBlocks: 0
; VGPRBlocks: 7
; NumSGPRsForWavesPerEU: 30
; NumVGPRsForWavesPerEU: 59
; Occupancy: 16
; WaveLimiterHint : 0
; COMPUTE_PGM_RSRC2:SCRATCH_EN: 0
; COMPUTE_PGM_RSRC2:USER_SGPR: 6
; COMPUTE_PGM_RSRC2:TRAP_HANDLER: 0
; COMPUTE_PGM_RSRC2:TGID_X_EN: 1
; COMPUTE_PGM_RSRC2:TGID_Y_EN: 1
; COMPUTE_PGM_RSRC2:TGID_Z_EN: 1
; COMPUTE_PGM_RSRC2:TIDIG_COMP_CNT: 1
	.section	.text._ZL29rocblas_internal_gemmt_kernelIiLi16ELi32ELi8ELc78ELc84ELc85ELb0ELb0E19rocblas_complex_numIfEPKS1_S3_PS1_EviT_T9_T10_S5_lS7_S5_lS6_T11_S5_li,"axG",@progbits,_ZL29rocblas_internal_gemmt_kernelIiLi16ELi32ELi8ELc78ELc84ELc85ELb0ELb0E19rocblas_complex_numIfEPKS1_S3_PS1_EviT_T9_T10_S5_lS7_S5_lS6_T11_S5_li,comdat
	.globl	_ZL29rocblas_internal_gemmt_kernelIiLi16ELi32ELi8ELc78ELc84ELc85ELb0ELb0E19rocblas_complex_numIfEPKS1_S3_PS1_EviT_T9_T10_S5_lS7_S5_lS6_T11_S5_li ; -- Begin function _ZL29rocblas_internal_gemmt_kernelIiLi16ELi32ELi8ELc78ELc84ELc85ELb0ELb0E19rocblas_complex_numIfEPKS1_S3_PS1_EviT_T9_T10_S5_lS7_S5_lS6_T11_S5_li
	.p2align	8
	.type	_ZL29rocblas_internal_gemmt_kernelIiLi16ELi32ELi8ELc78ELc84ELc85ELb0ELb0E19rocblas_complex_numIfEPKS1_S3_PS1_EviT_T9_T10_S5_lS7_S5_lS6_T11_S5_li,@function
_ZL29rocblas_internal_gemmt_kernelIiLi16ELi32ELi8ELc78ELc84ELc85ELb0ELb0E19rocblas_complex_numIfEPKS1_S3_PS1_EviT_T9_T10_S5_lS7_S5_lS6_T11_S5_li: ; @_ZL29rocblas_internal_gemmt_kernelIiLi16ELi32ELi8ELc78ELc84ELc85ELb0ELb0E19rocblas_complex_numIfEPKS1_S3_PS1_EviT_T9_T10_S5_lS7_S5_lS6_T11_S5_li
; %bb.0:
	s_clause 0x1
	s_load_dwordx4 s[12:15], s[4:5], 0x38
	s_load_dwordx4 s[0:3], s[4:5], 0x8
	s_waitcnt lgkmcnt(0)
	s_load_dwordx2 s[10:11], s[14:15], 0x0
	s_load_dwordx2 s[20:21], s[4:5], 0x0
	;; [unrolled: 1-line block ×3, first 2 shown]
	s_waitcnt lgkmcnt(0)
	s_and_b32 s0, s11, 0x7fffffff
	v_cmp_eq_f32_e64 s1, s10, 1.0
	s_cmp_eq_u32 s0, 0
	s_mov_b32 s0, 0
	s_cselect_b32 s9, -1, 0
	s_and_b32 s1, s1, s9
	s_andn2_b32 vcc_lo, exec_lo, s1
	s_mov_b32 s1, -1
	s_cbranch_vccnz .LBB73_4
; %bb.1:
	s_cmp_lg_u32 s21, 0
	s_cbranch_scc0 .LBB73_3
; %bb.2:
	v_cmp_neq_f32_e64 s0, s14, 0
	v_cmp_neq_f32_e64 s1, s15, 0
	s_or_b32 s0, s0, s1
.LBB73_3:
	s_mov_b32 s1, s0
.LBB73_4:
	s_and_b32 vcc_lo, exec_lo, s1
	s_cbranch_vccz .LBB73_32
; %bb.5:
	s_load_dwordx2 s[22:23], s[4:5], 0x48
	v_cmp_eq_f32_e64 s0, s14, 0
	v_cmp_eq_f32_e64 s1, s15, 0
	s_lshl_b32 s24, s6, 5
	s_lshl_b32 s25, s7, 5
	v_mov_b32_e32 v20, 0
	v_mov_b32_e32 v21, 0
	s_and_b32 s0, s0, s1
	s_cmp_lt_i32 s21, 1
	v_mov_b32_e32 v18, 0
	s_cselect_b32 s1, -1, 0
	v_mov_b32_e32 v19, 0
	v_mov_b32_e32 v16, 0
	;; [unrolled: 1-line block ×5, first 2 shown]
	s_or_b32 s0, s0, s1
	s_mov_b32 s26, 0
	s_and_b32 vcc_lo, exec_lo, s0
	s_cbranch_vccnz .LBB73_16
; %bb.6:
	s_clause 0x1
	s_load_dword s28, s[4:5], 0x18
	s_load_dword s6, s[4:5], 0x30
	v_lshl_add_u32 v2, v1, 4, v0
	s_load_dwordx4 s[16:19], s[4:5], 0x20
	v_and_b32_e32 v8, 7, v0
	s_mul_i32 s13, s13, s8
	s_mul_hi_u32 s27, s12, s8
	v_and_b32_e32 v6, 31, v2
	v_lshrrev_b32_e32 v3, 3, v2
	v_lshlrev_b32_e32 v4, 3, v8
	v_lshrrev_b32_e32 v9, 5, v2
	s_add_i32 s13, s27, s13
	v_or_b32_e32 v5, s24, v6
	v_add_nc_u32_e32 v2, s25, v3
	v_lshl_or_b32 v3, v3, 6, v4
	v_lshlrev_b32_e32 v7, 3, v6
	v_add_nc_u32_e32 v6, s24, v6
	v_cmp_gt_i32_e32 vcc_lo, s20, v5
	s_mul_i32 s12, s12, s8
	v_add_nc_u32_e32 v11, 0x800, v3
	s_waitcnt lgkmcnt(0)
	v_mad_i64_i32 v[4:5], null, v9, s28, 0
	v_mad_i64_i32 v[14:15], null, s6, v8, 0
	s_mul_i32 s1, s17, s8
	s_mul_hi_u32 s17, s16, s8
	v_lshl_or_b32 v10, v9, 8, v7
	v_ashrrev_i32_e32 v7, 31, v6
	v_lshlrev_b64 v[4:5], 3, v[4:5]
	s_add_i32 s17, s17, s1
	s_mul_i32 s16, s16, s8
	v_ashrrev_i32_e32 v3, 31, v2
	s_lshl_b64 s[16:17], s[16:17], 3
	v_lshlrev_b64 v[6:7], 3, v[6:7]
	v_add_co_u32 v16, s1, v4, s16
	v_add_co_ci_u32_e64 v17, null, s17, v5, s1
	v_lshlrev_b64 v[4:5], 3, v[14:15]
	v_add_co_u32 v6, s1, v16, v6
	s_lshl_b64 s[12:13], s[12:13], 3
	v_add_co_ci_u32_e64 v7, null, v17, v7, s1
	v_add_co_u32 v14, s1, s12, v4
	v_add_co_ci_u32_e64 v15, null, s13, v5, s1
	v_lshlrev_b64 v[4:5], 3, v[2:3]
	v_cmp_gt_i32_e64 s0, s20, v2
	v_add_co_u32 v2, s1, s2, v6
	v_add_co_ci_u32_e64 v3, null, s3, v7, s1
	v_add_co_u32 v4, s1, v14, v4
	v_add_co_ci_u32_e64 v5, null, v15, v5, s1
	v_lshlrev_b32_e32 v12, 3, v0
	v_add_co_u32 v4, s1, s18, v4
	v_lshl_add_u32 v13, v1, 6, 0x800
	v_add_co_ci_u32_e64 v5, null, s19, v5, s1
	v_mov_b32_e32 v6, 0
	v_mov_b32_e32 v15, 0
	;; [unrolled: 1-line block ×9, first 2 shown]
	s_ashr_i32 s29, s28, 31
	s_ashr_i32 s7, s6, 31
	s_lshl_b64 s[2:3], s[28:29], 6
	s_lshl_b64 s[6:7], s[6:7], 6
	s_xor_b32 s1, vcc_lo, -1
	s_xor_b32 s0, s0, -1
	s_branch .LBB73_8
.LBB73_7:                               ;   in Loop: Header=BB73_8 Depth=1
	s_or_b32 exec_lo, exec_lo, s12
	s_waitcnt lgkmcnt(0)
	s_barrier
	buffer_gl0_inv
	ds_read_b128 v[22:25], v13
	ds_read2_b64 v[26:29], v12 offset1:16
	ds_read_b128 v[30:33], v13 offset:1024
	ds_read_b128 v[34:37], v13 offset:16
	;; [unrolled: 1-line block ×4, first 2 shown]
	ds_read2_b64 v[46:49], v12 offset0:32 offset1:48
	ds_read_b128 v[50:53], v13 offset:1040
	v_add_co_u32 v2, vcc_lo, v2, s2
	v_add_co_ci_u32_e64 v3, null, s3, v3, vcc_lo
	v_add_co_u32 v4, vcc_lo, v4, s6
	v_add_co_ci_u32_e64 v5, null, s7, v5, vcc_lo
	s_add_i32 s26, s26, 8
	s_cmp_lt_i32 s26, s21
	s_waitcnt lgkmcnt(6)
	v_mul_f32_e32 v7, v23, v27
	v_mul_f32_e32 v54, v22, v27
	;; [unrolled: 1-line block ×4, first 2 shown]
	s_waitcnt lgkmcnt(5)
	v_mul_f32_e32 v57, v31, v27
	v_mul_f32_e32 v27, v30, v27
	;; [unrolled: 1-line block ×3, first 2 shown]
	v_fma_f32 v7, v22, v26, -v7
	v_fmac_f32_e32 v54, v23, v26
	v_fma_f32 v22, v22, v28, -v55
	v_fmac_f32_e32 v56, v23, v28
	;; [unrolled: 2-line block ×3, first 2 shown]
	v_mul_f32_e32 v29, v30, v29
	v_fma_f32 v26, v30, v28, -v58
	v_add_f32_e32 v7, v20, v7
	v_add_f32_e32 v20, v21, v54
	;; [unrolled: 1-line block ×6, first 2 shown]
	s_waitcnt lgkmcnt(1)
	v_mul_f32_e32 v30, v25, v47
	ds_read2_b64 v[16:19], v12 offset0:64 offset1:80
	v_fmac_f32_e32 v29, v31, v28
	v_add_f32_e32 v14, v14, v26
	v_mul_f32_e32 v26, v24, v47
	v_fma_f32 v28, v24, v46, -v30
	v_mul_f32_e32 v30, v25, v49
	v_add_f32_e32 v15, v15, v29
	v_mul_f32_e32 v29, v24, v49
	v_fmac_f32_e32 v26, v25, v46
	v_add_f32_e32 v7, v7, v28
	v_fma_f32 v24, v24, v48, -v30
	v_mul_f32_e32 v28, v33, v47
	v_fmac_f32_e32 v29, v25, v48
	v_add_f32_e32 v26, v20, v26
	v_mul_f32_e32 v20, v32, v47
	v_add_f32_e32 v24, v21, v24
	v_fma_f32 v21, v32, v46, -v28
	v_mul_f32_e32 v25, v33, v49
	v_add_f32_e32 v28, v22, v29
	v_fmac_f32_e32 v20, v33, v46
	v_mul_f32_e32 v29, v32, v49
	v_add_f32_e32 v30, v23, v21
	v_fma_f32 v21, v32, v48, -v25
	s_waitcnt lgkmcnt(0)
	v_mul_f32_e32 v22, v35, v17
	v_add_f32_e32 v25, v27, v20
	v_fmac_f32_e32 v29, v33, v48
	v_mul_f32_e32 v27, v34, v17
	v_add_f32_e32 v14, v14, v21
	v_fma_f32 v31, v34, v16, -v22
	v_mul_f32_e32 v32, v35, v19
	ds_read2_b64 v[20:23], v12 offset0:96 offset1:112
	v_fmac_f32_e32 v27, v35, v16
	v_add_f32_e32 v29, v15, v29
	v_add_f32_e32 v7, v7, v31
	v_mul_f32_e32 v15, v34, v19
	v_fma_f32 v31, v34, v18, -v32
	v_add_f32_e32 v26, v26, v27
	v_mul_f32_e32 v27, v51, v17
	v_mul_f32_e32 v17, v50, v17
	v_fmac_f32_e32 v15, v35, v18
	v_add_f32_e32 v24, v24, v31
	v_mul_f32_e32 v31, v51, v19
	v_mul_f32_e32 v19, v50, v19
	v_fmac_f32_e32 v17, v51, v16
	v_add_f32_e32 v28, v28, v15
	v_fma_f32 v27, v50, v16, -v27
	v_fma_f32 v15, v50, v18, -v31
	v_fmac_f32_e32 v19, v51, v18
	v_add_f32_e32 v31, v25, v17
	s_waitcnt lgkmcnt(0)
	v_mul_f32_e32 v18, v37, v21
	v_add_f32_e32 v32, v14, v15
	ds_read2_b64 v[14:17], v12 offset0:128 offset1:144
	v_add_f32_e32 v30, v30, v27
	v_mul_f32_e32 v25, v36, v21
	v_fma_f32 v18, v36, v20, -v18
	v_mul_f32_e32 v27, v37, v23
	v_add_f32_e32 v29, v29, v19
	v_mul_f32_e32 v19, v36, v23
	v_fmac_f32_e32 v25, v37, v20
	v_add_f32_e32 v7, v7, v18
	v_mul_f32_e32 v18, v53, v21
	v_fma_f32 v27, v36, v22, -v27
	v_fmac_f32_e32 v19, v37, v22
	v_mul_f32_e32 v21, v52, v21
	v_mul_f32_e32 v35, v53, v23
	v_fma_f32 v18, v52, v20, -v18
	v_add_f32_e32 v33, v26, v25
	v_add_f32_e32 v34, v24, v27
	ds_read_b128 v[24:27], v13 offset:1056
	v_add_f32_e32 v36, v28, v19
	v_fmac_f32_e32 v21, v53, v20
	v_mul_f32_e32 v23, v52, v23
	v_fma_f32 v19, v52, v22, -v35
	v_add_f32_e32 v35, v30, v18
	s_waitcnt lgkmcnt(1)
	v_mul_f32_e32 v18, v39, v15
	v_add_f32_e32 v37, v31, v21
	v_fmac_f32_e32 v23, v53, v22
	v_add_f32_e32 v22, v32, v19
	v_mul_f32_e32 v32, v38, v15
	v_fma_f32 v28, v38, v14, -v18
	ds_read2_b64 v[18:21], v12 offset0:160 offset1:176
	v_mul_f32_e32 v30, v39, v17
	v_mul_f32_e32 v46, v38, v17
	v_fmac_f32_e32 v32, v39, v14
	v_add_f32_e32 v23, v29, v23
	v_add_f32_e32 v7, v7, v28
	v_fma_f32 v38, v38, v16, -v30
	ds_read_b128 v[28:31], v13 offset:1072
	s_waitcnt lgkmcnt(2)
	v_mul_f32_e32 v47, v25, v15
	v_add_f32_e32 v32, v33, v32
	v_mul_f32_e32 v15, v24, v15
	v_add_f32_e32 v33, v34, v38
	v_mul_f32_e32 v38, v25, v17
	v_fmac_f32_e32 v46, v39, v16
	v_fma_f32 v34, v24, v14, -v47
	v_fmac_f32_e32 v15, v25, v14
	v_mul_f32_e32 v39, v24, v17
	v_fma_f32 v14, v24, v16, -v38
	v_add_f32_e32 v36, v36, v46
	v_add_f32_e32 v34, v35, v34
	s_waitcnt lgkmcnt(1)
	v_mul_f32_e32 v17, v41, v19
	v_add_f32_e32 v24, v37, v15
	v_fmac_f32_e32 v39, v25, v16
	v_mul_f32_e32 v25, v40, v19
	v_add_f32_e32 v22, v22, v14
	v_fma_f32 v35, v40, v18, -v17
	ds_read2_b64 v[14:17], v12 offset0:192 offset1:208
	v_mul_f32_e32 v37, v41, v21
	v_fmac_f32_e32 v25, v41, v18
	v_add_f32_e32 v38, v23, v39
	v_add_f32_e32 v7, v7, v35
	v_mul_f32_e32 v23, v40, v21
	v_fma_f32 v35, v40, v20, -v37
	v_add_f32_e32 v32, v32, v25
	v_mul_f32_e32 v25, v27, v19
	v_mul_f32_e32 v19, v26, v19
	v_fmac_f32_e32 v23, v41, v20
	v_add_f32_e32 v33, v33, v35
	v_mul_f32_e32 v35, v27, v21
	v_fma_f32 v25, v26, v18, -v25
	v_fmac_f32_e32 v19, v27, v18
	v_add_f32_e32 v18, v36, v23
	v_mul_f32_e32 v21, v26, v21
	v_fma_f32 v23, v26, v20, -v35
	v_add_f32_e32 v26, v34, v25
	v_add_f32_e32 v19, v24, v19
	s_waitcnt lgkmcnt(0)
	v_mul_f32_e32 v34, v43, v15
	v_fmac_f32_e32 v21, v27, v20
	v_add_f32_e32 v20, v22, v23
	ds_read2_b64 v[22:25], v12 offset0:224 offset1:240
	v_mul_f32_e32 v27, v42, v15
	v_fma_f32 v34, v42, v14, -v34
	v_mul_f32_e32 v35, v43, v17
	v_mul_f32_e32 v36, v42, v17
	v_add_f32_e32 v21, v38, v21
	v_fmac_f32_e32 v27, v43, v14
	v_add_f32_e32 v7, v7, v34
	v_mul_f32_e32 v34, v29, v15
	v_fma_f32 v35, v42, v16, -v35
	v_fmac_f32_e32 v36, v43, v16
	v_add_f32_e32 v27, v32, v27
	v_mul_f32_e32 v15, v28, v15
	v_fma_f32 v32, v28, v14, -v34
	v_mul_f32_e32 v34, v29, v17
	v_add_f32_e32 v33, v33, v35
	v_add_f32_e32 v35, v18, v36
	v_fmac_f32_e32 v15, v29, v14
	v_add_f32_e32 v14, v26, v32
	v_mul_f32_e32 v17, v28, v17
	v_fma_f32 v18, v28, v16, -v34
	s_waitcnt lgkmcnt(0)
	v_mul_f32_e32 v26, v45, v23
	v_mul_f32_e32 v28, v44, v23
	v_add_f32_e32 v15, v19, v15
	v_fmac_f32_e32 v17, v29, v16
	v_add_f32_e32 v29, v20, v18
	v_fma_f32 v16, v44, v22, -v26
	v_mul_f32_e32 v18, v45, v25
	v_mul_f32_e32 v19, v44, v25
	v_add_f32_e32 v26, v21, v17
	v_mul_f32_e32 v17, v30, v23
	v_add_f32_e32 v20, v7, v16
	v_fma_f32 v7, v44, v24, -v18
	v_mul_f32_e32 v16, v31, v23
	v_mul_f32_e32 v23, v31, v25
	v_mul_f32_e32 v25, v30, v25
	v_fmac_f32_e32 v28, v45, v22
	v_fmac_f32_e32 v19, v45, v24
	v_add_f32_e32 v18, v33, v7
	v_fma_f32 v7, v30, v22, -v16
	v_fmac_f32_e32 v17, v31, v22
	v_fma_f32 v22, v30, v24, -v23
	v_fmac_f32_e32 v25, v31, v24
	v_add_f32_e32 v21, v27, v28
	v_add_f32_e32 v19, v35, v19
	;; [unrolled: 1-line block ×6, first 2 shown]
	s_barrier
	buffer_gl0_inv
	s_cbranch_scc0 .LBB73_16
.LBB73_8:                               ; =>This Inner Loop Header: Depth=1
	v_add_nc_u32_e32 v7, s26, v9
	v_cmp_le_i32_e32 vcc_lo, s21, v7
	s_or_b32 s12, s1, vcc_lo
	s_and_saveexec_b32 s13, s12
	s_xor_b32 s12, exec_lo, s13
; %bb.9:                                ;   in Loop: Header=BB73_8 Depth=1
	v_mov_b32_e32 v7, v6
	ds_write_b64 v10, v[6:7]
; %bb.10:                               ;   in Loop: Header=BB73_8 Depth=1
	s_andn2_saveexec_b32 s12, s12
	s_cbranch_execz .LBB73_12
; %bb.11:                               ;   in Loop: Header=BB73_8 Depth=1
	global_load_dwordx2 v[22:23], v[2:3], off
	s_waitcnt vmcnt(0)
	ds_write_b64 v10, v[22:23]
.LBB73_12:                              ;   in Loop: Header=BB73_8 Depth=1
	s_or_b32 exec_lo, exec_lo, s12
	v_add_nc_u32_e32 v7, s26, v8
	v_cmp_le_i32_e32 vcc_lo, s21, v7
	s_or_b32 s12, vcc_lo, s0
	s_and_saveexec_b32 s13, s12
	s_xor_b32 s12, exec_lo, s13
; %bb.13:                               ;   in Loop: Header=BB73_8 Depth=1
	v_mov_b32_e32 v7, v6
	ds_write_b64 v11, v[6:7]
; %bb.14:                               ;   in Loop: Header=BB73_8 Depth=1
	s_andn2_saveexec_b32 s12, s12
	s_cbranch_execz .LBB73_7
; %bb.15:                               ;   in Loop: Header=BB73_8 Depth=1
	global_load_dwordx2 v[22:23], v[4:5], off
	s_waitcnt vmcnt(0)
	ds_write_b64 v11, v[22:23]
	s_branch .LBB73_7
.LBB73_16:
	s_clause 0x1
	s_load_dword s2, s[4:5], 0x50
	s_load_dwordx2 s[4:5], s[4:5], 0x58
	v_add_nc_u32_e32 v9, s25, v1
	v_add_nc_u32_e32 v0, s24, v0
	v_cmp_neq_f32_e64 s6, s10, 0
	v_cmp_gt_i32_e64 s0, s20, v9
	v_cmp_le_i32_e32 vcc_lo, v0, v9
	s_waitcnt lgkmcnt(0)
	v_mad_i64_i32 v[1:2], null, v9, s2, 0
	s_mul_i32 s1, s5, s8
	s_mul_hi_u32 s3, s4, s8
	s_mul_i32 s4, s4, s8
	s_add_i32 s5, s3, s1
	s_lshl_b64 s[4:5], s[4:5], 3
	v_lshlrev_b64 v[2:3], 3, v[1:2]
	s_add_u32 s3, s22, s4
	s_addc_u32 s4, s23, s5
	s_xor_b32 s5, s9, -1
	v_ashrrev_i32_e32 v1, 31, v0
	s_or_b32 s5, s6, s5
	v_add_co_u32 v6, s1, s3, v2
	v_add_co_ci_u32_e64 v7, null, s4, v3, s1
	v_cndmask_b32_e64 v8, 0, 1, s5
	s_and_b32 s6, s0, vcc_lo
	s_and_saveexec_b32 s1, s6
	s_cbranch_execz .LBB73_20
; %bb.17:
	v_lshlrev_b64 v[4:5], 3, v[0:1]
	v_mul_f32_e32 v2, s15, v21
	v_mul_f32_e32 v3, s14, v21
	v_fma_f32 v2, v20, s14, -v2
	v_add_co_u32 v4, vcc_lo, v6, v4
	v_fmac_f32_e32 v3, s15, v20
	v_add_co_ci_u32_e64 v5, null, v7, v5, vcc_lo
	s_andn2_b32 vcc_lo, exec_lo, s5
	s_cbranch_vccnz .LBB73_19
; %bb.18:
	global_load_dwordx2 v[10:11], v[4:5], off
	s_waitcnt vmcnt(0)
	v_mul_f32_e32 v12, s11, v11
	v_mul_f32_e32 v11, s10, v11
	v_fma_f32 v12, v10, s10, -v12
	v_fmac_f32_e32 v11, s11, v10
	v_add_f32_e32 v2, v2, v12
	v_add_f32_e32 v3, v3, v11
.LBB73_19:
	global_store_dwordx2 v[4:5], v[2:3], off
.LBB73_20:
	s_or_b32 exec_lo, exec_lo, s1
	v_add_nc_u32_e32 v2, 16, v0
	v_cmp_le_i32_e32 vcc_lo, v2, v9
	v_ashrrev_i32_e32 v3, 31, v2
	s_and_b32 s0, s0, vcc_lo
	s_and_saveexec_b32 s1, s0
	s_cbranch_execz .LBB73_24
; %bb.21:
	v_lshlrev_b64 v[10:11], 3, v[2:3]
	v_mul_f32_e32 v4, s15, v19
	v_mul_f32_e32 v5, s14, v19
	v_cmp_ne_u32_e32 vcc_lo, 1, v8
	v_fma_f32 v4, v18, s14, -v4
	v_add_co_u32 v6, s0, v6, v10
	v_fmac_f32_e32 v5, s15, v18
	v_add_co_ci_u32_e64 v7, null, v7, v11, s0
	s_cbranch_vccnz .LBB73_23
; %bb.22:
	global_load_dwordx2 v[10:11], v[6:7], off
	s_waitcnt vmcnt(0)
	v_mul_f32_e32 v12, s11, v11
	v_mul_f32_e32 v11, s10, v11
	v_fma_f32 v12, v10, s10, -v12
	v_fmac_f32_e32 v11, s11, v10
	v_add_f32_e32 v4, v4, v12
	v_add_f32_e32 v5, v5, v11
.LBB73_23:
	global_store_dwordx2 v[6:7], v[4:5], off
.LBB73_24:
	s_or_b32 exec_lo, exec_lo, s1
	v_add_nc_u32_e32 v9, 16, v9
	v_mad_i64_i32 v[4:5], null, v9, s2, 0
	v_cmp_gt_i32_e64 s0, s20, v9
	v_cmp_le_i32_e32 vcc_lo, v0, v9
	v_lshlrev_b64 v[4:5], 3, v[4:5]
	v_add_co_u32 v6, s1, s3, v4
	v_add_co_ci_u32_e64 v7, null, s4, v5, s1
	s_and_b32 s1, s0, vcc_lo
	s_and_saveexec_b32 s2, s1
	s_cbranch_execz .LBB73_28
; %bb.25:
	v_lshlrev_b64 v[0:1], 3, v[0:1]
	v_mul_f32_e32 v4, s15, v17
	v_mul_f32_e32 v5, s14, v17
	v_cmp_ne_u32_e32 vcc_lo, 1, v8
	v_fma_f32 v4, v16, s14, -v4
	v_add_co_u32 v0, s1, v6, v0
	v_fmac_f32_e32 v5, s15, v16
	v_add_co_ci_u32_e64 v1, null, v7, v1, s1
	s_cbranch_vccnz .LBB73_27
; %bb.26:
	global_load_dwordx2 v[10:11], v[0:1], off
	s_waitcnt vmcnt(0)
	v_mul_f32_e32 v12, s11, v11
	v_mul_f32_e32 v11, s10, v11
	v_fma_f32 v12, v10, s10, -v12
	v_fmac_f32_e32 v11, s11, v10
	v_add_f32_e32 v4, v4, v12
	v_add_f32_e32 v5, v5, v11
.LBB73_27:
	global_store_dwordx2 v[0:1], v[4:5], off
.LBB73_28:
	s_or_b32 exec_lo, exec_lo, s2
	v_cmp_le_i32_e32 vcc_lo, v2, v9
	s_and_b32 s0, s0, vcc_lo
	s_and_saveexec_b32 s1, s0
	s_cbranch_execz .LBB73_32
; %bb.29:
	v_lshlrev_b64 v[2:3], 3, v[2:3]
	v_mul_f32_e32 v0, s15, v15
	v_mul_f32_e32 v1, s14, v15
	v_cmp_ne_u32_e32 vcc_lo, 1, v8
	v_fma_f32 v0, v14, s14, -v0
	v_add_co_u32 v2, s0, v6, v2
	v_fmac_f32_e32 v1, s15, v14
	v_add_co_ci_u32_e64 v3, null, v7, v3, s0
	s_cbranch_vccnz .LBB73_31
; %bb.30:
	global_load_dwordx2 v[4:5], v[2:3], off
	s_waitcnt vmcnt(0)
	v_mul_f32_e32 v6, s11, v5
	v_mul_f32_e32 v5, s10, v5
	v_fma_f32 v6, v4, s10, -v6
	v_fmac_f32_e32 v5, s11, v4
	v_add_f32_e32 v0, v0, v6
	v_add_f32_e32 v1, v1, v5
.LBB73_31:
	global_store_dwordx2 v[2:3], v[0:1], off
.LBB73_32:
	s_endpgm
	.section	.rodata,"a",@progbits
	.p2align	6, 0x0
	.amdhsa_kernel _ZL29rocblas_internal_gemmt_kernelIiLi16ELi32ELi8ELc78ELc84ELc85ELb0ELb0E19rocblas_complex_numIfEPKS1_S3_PS1_EviT_T9_T10_S5_lS7_S5_lS6_T11_S5_li
		.amdhsa_group_segment_fixed_size 4096
		.amdhsa_private_segment_fixed_size 0
		.amdhsa_kernarg_size 100
		.amdhsa_user_sgpr_count 6
		.amdhsa_user_sgpr_private_segment_buffer 1
		.amdhsa_user_sgpr_dispatch_ptr 0
		.amdhsa_user_sgpr_queue_ptr 0
		.amdhsa_user_sgpr_kernarg_segment_ptr 1
		.amdhsa_user_sgpr_dispatch_id 0
		.amdhsa_user_sgpr_flat_scratch_init 0
		.amdhsa_user_sgpr_private_segment_size 0
		.amdhsa_wavefront_size32 1
		.amdhsa_uses_dynamic_stack 0
		.amdhsa_system_sgpr_private_segment_wavefront_offset 0
		.amdhsa_system_sgpr_workgroup_id_x 1
		.amdhsa_system_sgpr_workgroup_id_y 1
		.amdhsa_system_sgpr_workgroup_id_z 1
		.amdhsa_system_sgpr_workgroup_info 0
		.amdhsa_system_vgpr_workitem_id 1
		.amdhsa_next_free_vgpr 59
		.amdhsa_next_free_sgpr 30
		.amdhsa_reserve_vcc 1
		.amdhsa_reserve_flat_scratch 0
		.amdhsa_float_round_mode_32 0
		.amdhsa_float_round_mode_16_64 0
		.amdhsa_float_denorm_mode_32 3
		.amdhsa_float_denorm_mode_16_64 3
		.amdhsa_dx10_clamp 1
		.amdhsa_ieee_mode 1
		.amdhsa_fp16_overflow 0
		.amdhsa_workgroup_processor_mode 1
		.amdhsa_memory_ordered 1
		.amdhsa_forward_progress 1
		.amdhsa_shared_vgpr_count 0
		.amdhsa_exception_fp_ieee_invalid_op 0
		.amdhsa_exception_fp_denorm_src 0
		.amdhsa_exception_fp_ieee_div_zero 0
		.amdhsa_exception_fp_ieee_overflow 0
		.amdhsa_exception_fp_ieee_underflow 0
		.amdhsa_exception_fp_ieee_inexact 0
		.amdhsa_exception_int_div_zero 0
	.end_amdhsa_kernel
	.section	.text._ZL29rocblas_internal_gemmt_kernelIiLi16ELi32ELi8ELc78ELc84ELc85ELb0ELb0E19rocblas_complex_numIfEPKS1_S3_PS1_EviT_T9_T10_S5_lS7_S5_lS6_T11_S5_li,"axG",@progbits,_ZL29rocblas_internal_gemmt_kernelIiLi16ELi32ELi8ELc78ELc84ELc85ELb0ELb0E19rocblas_complex_numIfEPKS1_S3_PS1_EviT_T9_T10_S5_lS7_S5_lS6_T11_S5_li,comdat
.Lfunc_end73:
	.size	_ZL29rocblas_internal_gemmt_kernelIiLi16ELi32ELi8ELc78ELc84ELc85ELb0ELb0E19rocblas_complex_numIfEPKS1_S3_PS1_EviT_T9_T10_S5_lS7_S5_lS6_T11_S5_li, .Lfunc_end73-_ZL29rocblas_internal_gemmt_kernelIiLi16ELi32ELi8ELc78ELc84ELc85ELb0ELb0E19rocblas_complex_numIfEPKS1_S3_PS1_EviT_T9_T10_S5_lS7_S5_lS6_T11_S5_li
                                        ; -- End function
	.set _ZL29rocblas_internal_gemmt_kernelIiLi16ELi32ELi8ELc78ELc84ELc85ELb0ELb0E19rocblas_complex_numIfEPKS1_S3_PS1_EviT_T9_T10_S5_lS7_S5_lS6_T11_S5_li.num_vgpr, 59
	.set _ZL29rocblas_internal_gemmt_kernelIiLi16ELi32ELi8ELc78ELc84ELc85ELb0ELb0E19rocblas_complex_numIfEPKS1_S3_PS1_EviT_T9_T10_S5_lS7_S5_lS6_T11_S5_li.num_agpr, 0
	.set _ZL29rocblas_internal_gemmt_kernelIiLi16ELi32ELi8ELc78ELc84ELc85ELb0ELb0E19rocblas_complex_numIfEPKS1_S3_PS1_EviT_T9_T10_S5_lS7_S5_lS6_T11_S5_li.numbered_sgpr, 30
	.set _ZL29rocblas_internal_gemmt_kernelIiLi16ELi32ELi8ELc78ELc84ELc85ELb0ELb0E19rocblas_complex_numIfEPKS1_S3_PS1_EviT_T9_T10_S5_lS7_S5_lS6_T11_S5_li.num_named_barrier, 0
	.set _ZL29rocblas_internal_gemmt_kernelIiLi16ELi32ELi8ELc78ELc84ELc85ELb0ELb0E19rocblas_complex_numIfEPKS1_S3_PS1_EviT_T9_T10_S5_lS7_S5_lS6_T11_S5_li.private_seg_size, 0
	.set _ZL29rocblas_internal_gemmt_kernelIiLi16ELi32ELi8ELc78ELc84ELc85ELb0ELb0E19rocblas_complex_numIfEPKS1_S3_PS1_EviT_T9_T10_S5_lS7_S5_lS6_T11_S5_li.uses_vcc, 1
	.set _ZL29rocblas_internal_gemmt_kernelIiLi16ELi32ELi8ELc78ELc84ELc85ELb0ELb0E19rocblas_complex_numIfEPKS1_S3_PS1_EviT_T9_T10_S5_lS7_S5_lS6_T11_S5_li.uses_flat_scratch, 0
	.set _ZL29rocblas_internal_gemmt_kernelIiLi16ELi32ELi8ELc78ELc84ELc85ELb0ELb0E19rocblas_complex_numIfEPKS1_S3_PS1_EviT_T9_T10_S5_lS7_S5_lS6_T11_S5_li.has_dyn_sized_stack, 0
	.set _ZL29rocblas_internal_gemmt_kernelIiLi16ELi32ELi8ELc78ELc84ELc85ELb0ELb0E19rocblas_complex_numIfEPKS1_S3_PS1_EviT_T9_T10_S5_lS7_S5_lS6_T11_S5_li.has_recursion, 0
	.set _ZL29rocblas_internal_gemmt_kernelIiLi16ELi32ELi8ELc78ELc84ELc85ELb0ELb0E19rocblas_complex_numIfEPKS1_S3_PS1_EviT_T9_T10_S5_lS7_S5_lS6_T11_S5_li.has_indirect_call, 0
	.section	.AMDGPU.csdata,"",@progbits
; Kernel info:
; codeLenInByte = 2540
; TotalNumSgprs: 32
; NumVgprs: 59
; ScratchSize: 0
; MemoryBound: 1
; FloatMode: 240
; IeeeMode: 1
; LDSByteSize: 4096 bytes/workgroup (compile time only)
; SGPRBlocks: 0
; VGPRBlocks: 7
; NumSGPRsForWavesPerEU: 32
; NumVGPRsForWavesPerEU: 59
; Occupancy: 16
; WaveLimiterHint : 0
; COMPUTE_PGM_RSRC2:SCRATCH_EN: 0
; COMPUTE_PGM_RSRC2:USER_SGPR: 6
; COMPUTE_PGM_RSRC2:TRAP_HANDLER: 0
; COMPUTE_PGM_RSRC2:TGID_X_EN: 1
; COMPUTE_PGM_RSRC2:TGID_Y_EN: 1
; COMPUTE_PGM_RSRC2:TGID_Z_EN: 1
; COMPUTE_PGM_RSRC2:TIDIG_COMP_CNT: 1
	.section	.text._ZL29rocblas_internal_gemmt_kernelIiLi16ELi32ELi8ELc78ELc67ELc85ELb0ELb1E19rocblas_complex_numIfEPKS1_S3_PS1_EviT_T9_T10_S5_lS7_S5_lS6_T11_S5_li,"axG",@progbits,_ZL29rocblas_internal_gemmt_kernelIiLi16ELi32ELi8ELc78ELc67ELc85ELb0ELb1E19rocblas_complex_numIfEPKS1_S3_PS1_EviT_T9_T10_S5_lS7_S5_lS6_T11_S5_li,comdat
	.globl	_ZL29rocblas_internal_gemmt_kernelIiLi16ELi32ELi8ELc78ELc67ELc85ELb0ELb1E19rocblas_complex_numIfEPKS1_S3_PS1_EviT_T9_T10_S5_lS7_S5_lS6_T11_S5_li ; -- Begin function _ZL29rocblas_internal_gemmt_kernelIiLi16ELi32ELi8ELc78ELc67ELc85ELb0ELb1E19rocblas_complex_numIfEPKS1_S3_PS1_EviT_T9_T10_S5_lS7_S5_lS6_T11_S5_li
	.p2align	8
	.type	_ZL29rocblas_internal_gemmt_kernelIiLi16ELi32ELi8ELc78ELc67ELc85ELb0ELb1E19rocblas_complex_numIfEPKS1_S3_PS1_EviT_T9_T10_S5_lS7_S5_lS6_T11_S5_li,@function
_ZL29rocblas_internal_gemmt_kernelIiLi16ELi32ELi8ELc78ELc67ELc85ELb0ELb1E19rocblas_complex_numIfEPKS1_S3_PS1_EviT_T9_T10_S5_lS7_S5_lS6_T11_S5_li: ; @_ZL29rocblas_internal_gemmt_kernelIiLi16ELi32ELi8ELc78ELc67ELc85ELb0ELb1E19rocblas_complex_numIfEPKS1_S3_PS1_EviT_T9_T10_S5_lS7_S5_lS6_T11_S5_li
; %bb.0:
	s_clause 0x1
	s_load_dwordx4 s[12:15], s[4:5], 0x38
	s_load_dwordx4 s[0:3], s[4:5], 0x8
	s_waitcnt lgkmcnt(0)
	s_load_dwordx2 s[10:11], s[14:15], 0x0
	s_load_dwordx2 s[20:21], s[4:5], 0x0
	;; [unrolled: 1-line block ×3, first 2 shown]
	s_waitcnt lgkmcnt(0)
	s_and_b32 s0, s11, 0x7fffffff
	v_cmp_eq_f32_e64 s1, s10, 1.0
	s_cmp_eq_u32 s0, 0
	s_mov_b32 s0, 0
	s_cselect_b32 s9, -1, 0
	s_and_b32 s1, s1, s9
	s_andn2_b32 vcc_lo, exec_lo, s1
	s_mov_b32 s1, -1
	s_cbranch_vccnz .LBB74_4
; %bb.1:
	s_cmp_lg_u32 s21, 0
	s_cbranch_scc0 .LBB74_3
; %bb.2:
	v_cmp_neq_f32_e64 s0, s14, 0
	v_cmp_neq_f32_e64 s1, s15, 0
	s_or_b32 s0, s0, s1
.LBB74_3:
	s_mov_b32 s1, s0
.LBB74_4:
	s_and_b32 vcc_lo, exec_lo, s1
	s_cbranch_vccz .LBB74_32
; %bb.5:
	s_load_dwordx2 s[22:23], s[4:5], 0x48
	v_cmp_eq_f32_e64 s0, s14, 0
	v_cmp_eq_f32_e64 s1, s15, 0
	s_lshl_b32 s26, s6, 5
	s_lshl_b32 s27, s7, 5
	v_mov_b32_e32 v20, 0
	v_mov_b32_e32 v21, 0
	s_and_b32 s0, s0, s1
	s_cmp_lt_i32 s21, 1
	v_mov_b32_e32 v18, 0
	s_cselect_b32 s1, -1, 0
	v_mov_b32_e32 v19, 0
	v_mov_b32_e32 v16, 0
	;; [unrolled: 1-line block ×5, first 2 shown]
	s_or_b32 s0, s0, s1
	s_mov_b32 s28, 0
	s_and_b32 vcc_lo, exec_lo, s0
	s_cbranch_vccnz .LBB74_16
; %bb.6:
	s_load_dword s24, s[4:5], 0x18
	v_lshl_add_u32 v2, v1, 4, v0
	s_clause 0x1
	s_load_dwordx4 s[16:19], s[4:5], 0x20
	s_load_dword s6, s[4:5], 0x30
	v_and_b32_e32 v8, 7, v0
	v_lshlrev_b32_e32 v9, 3, v0
	v_lshl_add_u32 v10, v1, 6, 0x800
	v_and_b32_e32 v3, 31, v2
	v_lshrrev_b32_e32 v4, 3, v2
	v_lshlrev_b32_e32 v5, 3, v8
	v_lshrrev_b32_e32 v11, 5, v2
	v_mov_b32_e32 v19, 0
	v_or_b32_e32 v6, s26, v3
	v_add_nc_u32_e32 v2, s27, v4
	v_lshl_or_b32 v13, v4, 6, v5
	v_add_nc_u32_e32 v4, s26, v3
	v_lshlrev_b32_e32 v7, 3, v3
	v_cmp_gt_i32_e32 vcc_lo, s20, v6
	v_ashrrev_i32_e32 v3, 31, v2
	v_cmp_gt_i32_e64 s0, s20, v2
	v_add_nc_u32_e32 v13, 0x800, v13
	s_waitcnt lgkmcnt(0)
	v_mad_i64_i32 v[5:6], null, v11, s24, 0
	s_mul_i32 s1, s17, s8
	s_mul_hi_u32 s17, s16, s8
	v_mad_i64_i32 v[14:15], null, s6, v8, 0
	s_mul_i32 s16, s16, s8
	s_add_i32 s17, s17, s1
	v_lshlrev_b64 v[5:6], 3, v[5:6]
	s_lshl_b64 s[16:17], s[16:17], 3
	v_lshl_or_b32 v12, v11, 8, v7
	v_lshlrev_b64 v[2:3], 3, v[2:3]
	v_mov_b32_e32 v18, 0
	v_mov_b32_e32 v21, 0
	v_add_co_u32 v16, s1, v5, s16
	v_ashrrev_i32_e32 v5, 31, v4
	v_add_co_ci_u32_e64 v17, null, s17, v6, s1
	s_mul_i32 s1, s13, s8
	s_mul_hi_u32 s13, s12, s8
	v_lshlrev_b64 v[6:7], 3, v[14:15]
	s_add_i32 s13, s13, s1
	s_mul_i32 s12, s12, s8
	v_lshlrev_b64 v[4:5], 3, v[4:5]
	s_lshl_b64 s[12:13], s[12:13], 3
	v_mov_b32_e32 v15, 0
	v_add_co_u32 v6, s1, s12, v6
	v_add_co_ci_u32_e64 v7, null, s13, v7, s1
	v_add_co_u32 v4, s1, v16, v4
	v_add_co_ci_u32_e64 v5, null, v17, v5, s1
	;; [unrolled: 2-line block ×5, first 2 shown]
	v_mov_b32_e32 v6, 0
	v_add_co_u32 v4, s1, v4, 4
	v_add_co_ci_u32_e64 v5, null, 0, v5, s1
	v_mov_b32_e32 v14, 0
	v_mov_b32_e32 v17, 0
	;; [unrolled: 1-line block ×4, first 2 shown]
	s_ashr_i32 s25, s24, 31
	s_ashr_i32 s7, s6, 31
	s_lshl_b64 s[2:3], s[24:25], 6
	s_lshl_b64 s[6:7], s[6:7], 6
	s_xor_b32 s1, vcc_lo, -1
	s_xor_b32 s0, s0, -1
	s_branch .LBB74_8
.LBB74_7:                               ;   in Loop: Header=BB74_8 Depth=1
	s_or_b32 exec_lo, exec_lo, s12
	ds_write_b32 v13, v7 offset:4
	s_waitcnt lgkmcnt(0)
	s_barrier
	buffer_gl0_inv
	ds_read_b128 v[22:25], v10
	ds_read2_b64 v[26:29], v9 offset1:16
	ds_read_b128 v[30:33], v10 offset:1024
	ds_read_b128 v[34:37], v10 offset:16
	;; [unrolled: 1-line block ×4, first 2 shown]
	ds_read2_b64 v[46:49], v9 offset0:32 offset1:48
	ds_read_b128 v[50:53], v10 offset:1040
	v_add_co_u32 v2, vcc_lo, v2, s2
	v_add_co_ci_u32_e64 v3, null, s3, v3, vcc_lo
	v_add_co_u32 v4, vcc_lo, v4, s6
	v_add_co_ci_u32_e64 v5, null, s7, v5, vcc_lo
	s_add_i32 s28, s28, 8
	s_cmp_lt_i32 s28, s21
	s_waitcnt lgkmcnt(6)
	v_mul_f32_e32 v7, v23, v27
	v_mul_f32_e32 v54, v22, v27
	;; [unrolled: 1-line block ×4, first 2 shown]
	s_waitcnt lgkmcnt(5)
	v_mul_f32_e32 v57, v31, v27
	v_mul_f32_e32 v27, v30, v27
	v_mul_f32_e32 v58, v31, v29
	v_fma_f32 v7, v22, v26, -v7
	v_fmac_f32_e32 v54, v23, v26
	v_fma_f32 v22, v22, v28, -v55
	v_fmac_f32_e32 v56, v23, v28
	;; [unrolled: 2-line block ×3, first 2 shown]
	v_mul_f32_e32 v29, v30, v29
	v_fma_f32 v26, v30, v28, -v58
	v_add_f32_e32 v7, v20, v7
	v_add_f32_e32 v20, v21, v54
	;; [unrolled: 1-line block ×6, first 2 shown]
	s_waitcnt lgkmcnt(1)
	v_mul_f32_e32 v30, v25, v47
	ds_read2_b64 v[16:19], v9 offset0:64 offset1:80
	v_fmac_f32_e32 v29, v31, v28
	v_add_f32_e32 v14, v14, v26
	v_mul_f32_e32 v26, v24, v47
	v_fma_f32 v28, v24, v46, -v30
	v_mul_f32_e32 v30, v25, v49
	v_add_f32_e32 v15, v15, v29
	v_mul_f32_e32 v29, v24, v49
	v_fmac_f32_e32 v26, v25, v46
	v_add_f32_e32 v7, v7, v28
	v_fma_f32 v24, v24, v48, -v30
	v_mul_f32_e32 v28, v33, v47
	v_fmac_f32_e32 v29, v25, v48
	v_add_f32_e32 v26, v20, v26
	v_mul_f32_e32 v20, v32, v47
	v_add_f32_e32 v24, v21, v24
	v_fma_f32 v21, v32, v46, -v28
	v_mul_f32_e32 v25, v33, v49
	v_add_f32_e32 v28, v22, v29
	v_fmac_f32_e32 v20, v33, v46
	v_mul_f32_e32 v29, v32, v49
	v_add_f32_e32 v30, v23, v21
	v_fma_f32 v21, v32, v48, -v25
	s_waitcnt lgkmcnt(0)
	v_mul_f32_e32 v22, v35, v17
	v_add_f32_e32 v25, v27, v20
	v_fmac_f32_e32 v29, v33, v48
	v_mul_f32_e32 v27, v34, v17
	v_add_f32_e32 v14, v14, v21
	v_fma_f32 v31, v34, v16, -v22
	v_mul_f32_e32 v32, v35, v19
	ds_read2_b64 v[20:23], v9 offset0:96 offset1:112
	v_fmac_f32_e32 v27, v35, v16
	v_add_f32_e32 v29, v15, v29
	v_add_f32_e32 v7, v7, v31
	v_mul_f32_e32 v15, v34, v19
	v_fma_f32 v31, v34, v18, -v32
	v_add_f32_e32 v26, v26, v27
	v_mul_f32_e32 v27, v51, v17
	v_mul_f32_e32 v17, v50, v17
	v_fmac_f32_e32 v15, v35, v18
	v_add_f32_e32 v24, v24, v31
	v_mul_f32_e32 v31, v51, v19
	v_mul_f32_e32 v19, v50, v19
	v_fmac_f32_e32 v17, v51, v16
	v_add_f32_e32 v28, v28, v15
	v_fma_f32 v27, v50, v16, -v27
	v_fma_f32 v15, v50, v18, -v31
	v_fmac_f32_e32 v19, v51, v18
	v_add_f32_e32 v31, v25, v17
	s_waitcnt lgkmcnt(0)
	v_mul_f32_e32 v18, v37, v21
	v_add_f32_e32 v32, v14, v15
	ds_read2_b64 v[14:17], v9 offset0:128 offset1:144
	v_add_f32_e32 v30, v30, v27
	v_mul_f32_e32 v25, v36, v21
	v_fma_f32 v18, v36, v20, -v18
	v_mul_f32_e32 v27, v37, v23
	v_add_f32_e32 v29, v29, v19
	v_mul_f32_e32 v19, v36, v23
	v_fmac_f32_e32 v25, v37, v20
	v_add_f32_e32 v7, v7, v18
	v_mul_f32_e32 v18, v53, v21
	v_fma_f32 v27, v36, v22, -v27
	v_fmac_f32_e32 v19, v37, v22
	v_mul_f32_e32 v21, v52, v21
	v_mul_f32_e32 v35, v53, v23
	v_fma_f32 v18, v52, v20, -v18
	v_add_f32_e32 v33, v26, v25
	v_add_f32_e32 v34, v24, v27
	ds_read_b128 v[24:27], v10 offset:1056
	v_add_f32_e32 v36, v28, v19
	v_fmac_f32_e32 v21, v53, v20
	v_mul_f32_e32 v23, v52, v23
	v_fma_f32 v19, v52, v22, -v35
	v_add_f32_e32 v35, v30, v18
	s_waitcnt lgkmcnt(1)
	v_mul_f32_e32 v18, v39, v15
	v_add_f32_e32 v37, v31, v21
	v_fmac_f32_e32 v23, v53, v22
	v_add_f32_e32 v22, v32, v19
	v_mul_f32_e32 v32, v38, v15
	v_fma_f32 v28, v38, v14, -v18
	ds_read2_b64 v[18:21], v9 offset0:160 offset1:176
	v_mul_f32_e32 v30, v39, v17
	v_mul_f32_e32 v46, v38, v17
	v_fmac_f32_e32 v32, v39, v14
	v_add_f32_e32 v23, v29, v23
	v_add_f32_e32 v7, v7, v28
	v_fma_f32 v38, v38, v16, -v30
	ds_read_b128 v[28:31], v10 offset:1072
	s_waitcnt lgkmcnt(2)
	v_mul_f32_e32 v47, v25, v15
	v_add_f32_e32 v32, v33, v32
	v_mul_f32_e32 v15, v24, v15
	v_add_f32_e32 v33, v34, v38
	v_mul_f32_e32 v38, v25, v17
	v_fmac_f32_e32 v46, v39, v16
	v_fma_f32 v34, v24, v14, -v47
	v_fmac_f32_e32 v15, v25, v14
	v_mul_f32_e32 v39, v24, v17
	v_fma_f32 v14, v24, v16, -v38
	v_add_f32_e32 v36, v36, v46
	v_add_f32_e32 v34, v35, v34
	s_waitcnt lgkmcnt(1)
	v_mul_f32_e32 v17, v41, v19
	v_add_f32_e32 v24, v37, v15
	v_fmac_f32_e32 v39, v25, v16
	v_mul_f32_e32 v25, v40, v19
	v_add_f32_e32 v22, v22, v14
	v_fma_f32 v35, v40, v18, -v17
	ds_read2_b64 v[14:17], v9 offset0:192 offset1:208
	v_mul_f32_e32 v37, v41, v21
	v_fmac_f32_e32 v25, v41, v18
	v_add_f32_e32 v38, v23, v39
	v_add_f32_e32 v7, v7, v35
	v_mul_f32_e32 v23, v40, v21
	v_fma_f32 v35, v40, v20, -v37
	v_add_f32_e32 v32, v32, v25
	v_mul_f32_e32 v25, v27, v19
	v_mul_f32_e32 v19, v26, v19
	v_fmac_f32_e32 v23, v41, v20
	v_add_f32_e32 v33, v33, v35
	v_mul_f32_e32 v35, v27, v21
	v_fma_f32 v25, v26, v18, -v25
	v_fmac_f32_e32 v19, v27, v18
	v_add_f32_e32 v18, v36, v23
	v_mul_f32_e32 v21, v26, v21
	v_fma_f32 v23, v26, v20, -v35
	v_add_f32_e32 v26, v34, v25
	v_add_f32_e32 v19, v24, v19
	s_waitcnt lgkmcnt(0)
	v_mul_f32_e32 v34, v43, v15
	v_fmac_f32_e32 v21, v27, v20
	v_add_f32_e32 v20, v22, v23
	ds_read2_b64 v[22:25], v9 offset0:224 offset1:240
	v_mul_f32_e32 v27, v42, v15
	v_fma_f32 v34, v42, v14, -v34
	v_mul_f32_e32 v35, v43, v17
	v_mul_f32_e32 v36, v42, v17
	v_add_f32_e32 v21, v38, v21
	v_fmac_f32_e32 v27, v43, v14
	v_add_f32_e32 v7, v7, v34
	v_mul_f32_e32 v34, v29, v15
	v_fma_f32 v35, v42, v16, -v35
	v_fmac_f32_e32 v36, v43, v16
	v_add_f32_e32 v27, v32, v27
	v_mul_f32_e32 v15, v28, v15
	v_fma_f32 v32, v28, v14, -v34
	v_mul_f32_e32 v34, v29, v17
	v_add_f32_e32 v33, v33, v35
	v_add_f32_e32 v35, v18, v36
	v_fmac_f32_e32 v15, v29, v14
	v_add_f32_e32 v14, v26, v32
	v_mul_f32_e32 v17, v28, v17
	v_fma_f32 v18, v28, v16, -v34
	s_waitcnt lgkmcnt(0)
	v_mul_f32_e32 v26, v45, v23
	v_mul_f32_e32 v28, v44, v23
	v_add_f32_e32 v15, v19, v15
	v_fmac_f32_e32 v17, v29, v16
	v_add_f32_e32 v29, v20, v18
	v_fma_f32 v16, v44, v22, -v26
	v_mul_f32_e32 v18, v45, v25
	v_mul_f32_e32 v19, v44, v25
	v_add_f32_e32 v26, v21, v17
	v_mul_f32_e32 v17, v30, v23
	v_add_f32_e32 v20, v7, v16
	v_fma_f32 v7, v44, v24, -v18
	v_mul_f32_e32 v16, v31, v23
	v_mul_f32_e32 v23, v31, v25
	;; [unrolled: 1-line block ×3, first 2 shown]
	v_fmac_f32_e32 v28, v45, v22
	v_fmac_f32_e32 v19, v45, v24
	v_add_f32_e32 v18, v33, v7
	v_fma_f32 v7, v30, v22, -v16
	v_fmac_f32_e32 v17, v31, v22
	v_fma_f32 v22, v30, v24, -v23
	v_fmac_f32_e32 v25, v31, v24
	v_add_f32_e32 v21, v27, v28
	v_add_f32_e32 v19, v35, v19
	;; [unrolled: 1-line block ×6, first 2 shown]
	s_barrier
	buffer_gl0_inv
	s_cbranch_scc0 .LBB74_16
.LBB74_8:                               ; =>This Inner Loop Header: Depth=1
	v_add_nc_u32_e32 v7, s28, v11
	v_cmp_le_i32_e32 vcc_lo, s21, v7
	s_or_b32 s12, s1, vcc_lo
	s_and_saveexec_b32 s13, s12
	s_xor_b32 s12, exec_lo, s13
; %bb.9:                                ;   in Loop: Header=BB74_8 Depth=1
	v_mov_b32_e32 v7, v6
	ds_write_b64 v12, v[6:7]
; %bb.10:                               ;   in Loop: Header=BB74_8 Depth=1
	s_andn2_saveexec_b32 s12, s12
	s_cbranch_execz .LBB74_12
; %bb.11:                               ;   in Loop: Header=BB74_8 Depth=1
	global_load_dwordx2 v[22:23], v[2:3], off
	s_waitcnt vmcnt(0)
	ds_write_b64 v12, v[22:23]
.LBB74_12:                              ;   in Loop: Header=BB74_8 Depth=1
	s_or_b32 exec_lo, exec_lo, s12
	v_add_nc_u32_e32 v7, s28, v8
	v_cmp_le_i32_e32 vcc_lo, s21, v7
	s_or_b32 s12, vcc_lo, s0
	s_and_saveexec_b32 s13, s12
	s_xor_b32 s12, exec_lo, s13
; %bb.13:                               ;   in Loop: Header=BB74_8 Depth=1
	ds_write_b32 v13, v6
; %bb.14:                               ;   in Loop: Header=BB74_8 Depth=1
	s_or_saveexec_b32 s12, s12
	v_mov_b32_e32 v7, 0
	s_xor_b32 exec_lo, exec_lo, s12
	s_cbranch_execz .LBB74_7
; %bb.15:                               ;   in Loop: Header=BB74_8 Depth=1
	global_load_dwordx2 v[22:23], v[4:5], off offset:-4
	s_waitcnt vmcnt(0)
	v_xor_b32_e32 v7, 0x80000000, v23
	ds_write_b32 v13, v22
	s_branch .LBB74_7
.LBB74_16:
	s_clause 0x1
	s_load_dword s2, s[4:5], 0x50
	s_load_dwordx2 s[4:5], s[4:5], 0x58
	v_add_nc_u32_e32 v9, s27, v1
	v_add_nc_u32_e32 v0, s26, v0
	v_cmp_neq_f32_e64 s6, s10, 0
	v_cmp_gt_i32_e64 s0, s20, v9
	v_cmp_le_i32_e32 vcc_lo, v0, v9
	s_waitcnt lgkmcnt(0)
	v_mad_i64_i32 v[1:2], null, v9, s2, 0
	s_mul_i32 s1, s5, s8
	s_mul_hi_u32 s3, s4, s8
	s_mul_i32 s4, s4, s8
	s_add_i32 s5, s3, s1
	s_lshl_b64 s[4:5], s[4:5], 3
	v_lshlrev_b64 v[2:3], 3, v[1:2]
	s_add_u32 s3, s22, s4
	s_addc_u32 s4, s23, s5
	s_xor_b32 s5, s9, -1
	v_ashrrev_i32_e32 v1, 31, v0
	s_or_b32 s5, s6, s5
	v_add_co_u32 v6, s1, s3, v2
	v_add_co_ci_u32_e64 v7, null, s4, v3, s1
	v_cndmask_b32_e64 v8, 0, 1, s5
	s_and_b32 s6, s0, vcc_lo
	s_and_saveexec_b32 s1, s6
	s_cbranch_execz .LBB74_20
; %bb.17:
	v_lshlrev_b64 v[4:5], 3, v[0:1]
	v_mul_f32_e32 v2, s15, v21
	v_mul_f32_e32 v3, s14, v21
	v_fma_f32 v2, v20, s14, -v2
	v_add_co_u32 v4, vcc_lo, v6, v4
	v_fmac_f32_e32 v3, s15, v20
	v_add_co_ci_u32_e64 v5, null, v7, v5, vcc_lo
	s_andn2_b32 vcc_lo, exec_lo, s5
	s_cbranch_vccnz .LBB74_19
; %bb.18:
	global_load_dwordx2 v[10:11], v[4:5], off
	s_waitcnt vmcnt(0)
	v_mul_f32_e32 v12, s11, v11
	v_mul_f32_e32 v11, s10, v11
	v_fma_f32 v12, v10, s10, -v12
	v_fmac_f32_e32 v11, s11, v10
	v_add_f32_e32 v2, v2, v12
	v_add_f32_e32 v3, v3, v11
.LBB74_19:
	global_store_dwordx2 v[4:5], v[2:3], off
.LBB74_20:
	s_or_b32 exec_lo, exec_lo, s1
	v_add_nc_u32_e32 v2, 16, v0
	v_cmp_le_i32_e32 vcc_lo, v2, v9
	v_ashrrev_i32_e32 v3, 31, v2
	s_and_b32 s0, s0, vcc_lo
	s_and_saveexec_b32 s1, s0
	s_cbranch_execz .LBB74_24
; %bb.21:
	v_lshlrev_b64 v[10:11], 3, v[2:3]
	v_mul_f32_e32 v4, s15, v19
	v_mul_f32_e32 v5, s14, v19
	v_cmp_ne_u32_e32 vcc_lo, 1, v8
	v_fma_f32 v4, v18, s14, -v4
	v_add_co_u32 v6, s0, v6, v10
	v_fmac_f32_e32 v5, s15, v18
	v_add_co_ci_u32_e64 v7, null, v7, v11, s0
	s_cbranch_vccnz .LBB74_23
; %bb.22:
	global_load_dwordx2 v[10:11], v[6:7], off
	s_waitcnt vmcnt(0)
	v_mul_f32_e32 v12, s11, v11
	v_mul_f32_e32 v11, s10, v11
	v_fma_f32 v12, v10, s10, -v12
	v_fmac_f32_e32 v11, s11, v10
	v_add_f32_e32 v4, v4, v12
	v_add_f32_e32 v5, v5, v11
.LBB74_23:
	global_store_dwordx2 v[6:7], v[4:5], off
.LBB74_24:
	s_or_b32 exec_lo, exec_lo, s1
	v_add_nc_u32_e32 v9, 16, v9
	v_mad_i64_i32 v[4:5], null, v9, s2, 0
	v_cmp_gt_i32_e64 s0, s20, v9
	v_cmp_le_i32_e32 vcc_lo, v0, v9
	v_lshlrev_b64 v[4:5], 3, v[4:5]
	v_add_co_u32 v6, s1, s3, v4
	v_add_co_ci_u32_e64 v7, null, s4, v5, s1
	s_and_b32 s1, s0, vcc_lo
	s_and_saveexec_b32 s2, s1
	s_cbranch_execz .LBB74_28
; %bb.25:
	v_lshlrev_b64 v[0:1], 3, v[0:1]
	v_mul_f32_e32 v4, s15, v17
	v_mul_f32_e32 v5, s14, v17
	v_cmp_ne_u32_e32 vcc_lo, 1, v8
	v_fma_f32 v4, v16, s14, -v4
	v_add_co_u32 v0, s1, v6, v0
	v_fmac_f32_e32 v5, s15, v16
	v_add_co_ci_u32_e64 v1, null, v7, v1, s1
	s_cbranch_vccnz .LBB74_27
; %bb.26:
	global_load_dwordx2 v[10:11], v[0:1], off
	s_waitcnt vmcnt(0)
	v_mul_f32_e32 v12, s11, v11
	v_mul_f32_e32 v11, s10, v11
	v_fma_f32 v12, v10, s10, -v12
	v_fmac_f32_e32 v11, s11, v10
	v_add_f32_e32 v4, v4, v12
	v_add_f32_e32 v5, v5, v11
.LBB74_27:
	global_store_dwordx2 v[0:1], v[4:5], off
.LBB74_28:
	s_or_b32 exec_lo, exec_lo, s2
	v_cmp_le_i32_e32 vcc_lo, v2, v9
	s_and_b32 s0, s0, vcc_lo
	s_and_saveexec_b32 s1, s0
	s_cbranch_execz .LBB74_32
; %bb.29:
	v_lshlrev_b64 v[2:3], 3, v[2:3]
	v_mul_f32_e32 v0, s15, v15
	v_mul_f32_e32 v1, s14, v15
	v_cmp_ne_u32_e32 vcc_lo, 1, v8
	v_fma_f32 v0, v14, s14, -v0
	v_add_co_u32 v2, s0, v6, v2
	v_fmac_f32_e32 v1, s15, v14
	v_add_co_ci_u32_e64 v3, null, v7, v3, s0
	s_cbranch_vccnz .LBB74_31
; %bb.30:
	global_load_dwordx2 v[4:5], v[2:3], off
	s_waitcnt vmcnt(0)
	v_mul_f32_e32 v6, s11, v5
	v_mul_f32_e32 v5, s10, v5
	v_fma_f32 v6, v4, s10, -v6
	v_fmac_f32_e32 v5, s11, v4
	v_add_f32_e32 v0, v0, v6
	v_add_f32_e32 v1, v1, v5
.LBB74_31:
	global_store_dwordx2 v[2:3], v[0:1], off
.LBB74_32:
	s_endpgm
	.section	.rodata,"a",@progbits
	.p2align	6, 0x0
	.amdhsa_kernel _ZL29rocblas_internal_gemmt_kernelIiLi16ELi32ELi8ELc78ELc67ELc85ELb0ELb1E19rocblas_complex_numIfEPKS1_S3_PS1_EviT_T9_T10_S5_lS7_S5_lS6_T11_S5_li
		.amdhsa_group_segment_fixed_size 4096
		.amdhsa_private_segment_fixed_size 0
		.amdhsa_kernarg_size 100
		.amdhsa_user_sgpr_count 6
		.amdhsa_user_sgpr_private_segment_buffer 1
		.amdhsa_user_sgpr_dispatch_ptr 0
		.amdhsa_user_sgpr_queue_ptr 0
		.amdhsa_user_sgpr_kernarg_segment_ptr 1
		.amdhsa_user_sgpr_dispatch_id 0
		.amdhsa_user_sgpr_flat_scratch_init 0
		.amdhsa_user_sgpr_private_segment_size 0
		.amdhsa_wavefront_size32 1
		.amdhsa_uses_dynamic_stack 0
		.amdhsa_system_sgpr_private_segment_wavefront_offset 0
		.amdhsa_system_sgpr_workgroup_id_x 1
		.amdhsa_system_sgpr_workgroup_id_y 1
		.amdhsa_system_sgpr_workgroup_id_z 1
		.amdhsa_system_sgpr_workgroup_info 0
		.amdhsa_system_vgpr_workitem_id 1
		.amdhsa_next_free_vgpr 59
		.amdhsa_next_free_sgpr 29
		.amdhsa_reserve_vcc 1
		.amdhsa_reserve_flat_scratch 0
		.amdhsa_float_round_mode_32 0
		.amdhsa_float_round_mode_16_64 0
		.amdhsa_float_denorm_mode_32 3
		.amdhsa_float_denorm_mode_16_64 3
		.amdhsa_dx10_clamp 1
		.amdhsa_ieee_mode 1
		.amdhsa_fp16_overflow 0
		.amdhsa_workgroup_processor_mode 1
		.amdhsa_memory_ordered 1
		.amdhsa_forward_progress 1
		.amdhsa_shared_vgpr_count 0
		.amdhsa_exception_fp_ieee_invalid_op 0
		.amdhsa_exception_fp_denorm_src 0
		.amdhsa_exception_fp_ieee_div_zero 0
		.amdhsa_exception_fp_ieee_overflow 0
		.amdhsa_exception_fp_ieee_underflow 0
		.amdhsa_exception_fp_ieee_inexact 0
		.amdhsa_exception_int_div_zero 0
	.end_amdhsa_kernel
	.section	.text._ZL29rocblas_internal_gemmt_kernelIiLi16ELi32ELi8ELc78ELc67ELc85ELb0ELb1E19rocblas_complex_numIfEPKS1_S3_PS1_EviT_T9_T10_S5_lS7_S5_lS6_T11_S5_li,"axG",@progbits,_ZL29rocblas_internal_gemmt_kernelIiLi16ELi32ELi8ELc78ELc67ELc85ELb0ELb1E19rocblas_complex_numIfEPKS1_S3_PS1_EviT_T9_T10_S5_lS7_S5_lS6_T11_S5_li,comdat
.Lfunc_end74:
	.size	_ZL29rocblas_internal_gemmt_kernelIiLi16ELi32ELi8ELc78ELc67ELc85ELb0ELb1E19rocblas_complex_numIfEPKS1_S3_PS1_EviT_T9_T10_S5_lS7_S5_lS6_T11_S5_li, .Lfunc_end74-_ZL29rocblas_internal_gemmt_kernelIiLi16ELi32ELi8ELc78ELc67ELc85ELb0ELb1E19rocblas_complex_numIfEPKS1_S3_PS1_EviT_T9_T10_S5_lS7_S5_lS6_T11_S5_li
                                        ; -- End function
	.set _ZL29rocblas_internal_gemmt_kernelIiLi16ELi32ELi8ELc78ELc67ELc85ELb0ELb1E19rocblas_complex_numIfEPKS1_S3_PS1_EviT_T9_T10_S5_lS7_S5_lS6_T11_S5_li.num_vgpr, 59
	.set _ZL29rocblas_internal_gemmt_kernelIiLi16ELi32ELi8ELc78ELc67ELc85ELb0ELb1E19rocblas_complex_numIfEPKS1_S3_PS1_EviT_T9_T10_S5_lS7_S5_lS6_T11_S5_li.num_agpr, 0
	.set _ZL29rocblas_internal_gemmt_kernelIiLi16ELi32ELi8ELc78ELc67ELc85ELb0ELb1E19rocblas_complex_numIfEPKS1_S3_PS1_EviT_T9_T10_S5_lS7_S5_lS6_T11_S5_li.numbered_sgpr, 29
	.set _ZL29rocblas_internal_gemmt_kernelIiLi16ELi32ELi8ELc78ELc67ELc85ELb0ELb1E19rocblas_complex_numIfEPKS1_S3_PS1_EviT_T9_T10_S5_lS7_S5_lS6_T11_S5_li.num_named_barrier, 0
	.set _ZL29rocblas_internal_gemmt_kernelIiLi16ELi32ELi8ELc78ELc67ELc85ELb0ELb1E19rocblas_complex_numIfEPKS1_S3_PS1_EviT_T9_T10_S5_lS7_S5_lS6_T11_S5_li.private_seg_size, 0
	.set _ZL29rocblas_internal_gemmt_kernelIiLi16ELi32ELi8ELc78ELc67ELc85ELb0ELb1E19rocblas_complex_numIfEPKS1_S3_PS1_EviT_T9_T10_S5_lS7_S5_lS6_T11_S5_li.uses_vcc, 1
	.set _ZL29rocblas_internal_gemmt_kernelIiLi16ELi32ELi8ELc78ELc67ELc85ELb0ELb1E19rocblas_complex_numIfEPKS1_S3_PS1_EviT_T9_T10_S5_lS7_S5_lS6_T11_S5_li.uses_flat_scratch, 0
	.set _ZL29rocblas_internal_gemmt_kernelIiLi16ELi32ELi8ELc78ELc67ELc85ELb0ELb1E19rocblas_complex_numIfEPKS1_S3_PS1_EviT_T9_T10_S5_lS7_S5_lS6_T11_S5_li.has_dyn_sized_stack, 0
	.set _ZL29rocblas_internal_gemmt_kernelIiLi16ELi32ELi8ELc78ELc67ELc85ELb0ELb1E19rocblas_complex_numIfEPKS1_S3_PS1_EviT_T9_T10_S5_lS7_S5_lS6_T11_S5_li.has_recursion, 0
	.set _ZL29rocblas_internal_gemmt_kernelIiLi16ELi32ELi8ELc78ELc67ELc85ELb0ELb1E19rocblas_complex_numIfEPKS1_S3_PS1_EviT_T9_T10_S5_lS7_S5_lS6_T11_S5_li.has_indirect_call, 0
	.section	.AMDGPU.csdata,"",@progbits
; Kernel info:
; codeLenInByte = 2576
; TotalNumSgprs: 31
; NumVgprs: 59
; ScratchSize: 0
; MemoryBound: 1
; FloatMode: 240
; IeeeMode: 1
; LDSByteSize: 4096 bytes/workgroup (compile time only)
; SGPRBlocks: 0
; VGPRBlocks: 7
; NumSGPRsForWavesPerEU: 31
; NumVGPRsForWavesPerEU: 59
; Occupancy: 16
; WaveLimiterHint : 0
; COMPUTE_PGM_RSRC2:SCRATCH_EN: 0
; COMPUTE_PGM_RSRC2:USER_SGPR: 6
; COMPUTE_PGM_RSRC2:TRAP_HANDLER: 0
; COMPUTE_PGM_RSRC2:TGID_X_EN: 1
; COMPUTE_PGM_RSRC2:TGID_Y_EN: 1
; COMPUTE_PGM_RSRC2:TGID_Z_EN: 1
; COMPUTE_PGM_RSRC2:TIDIG_COMP_CNT: 1
	.section	.text._ZL29rocblas_internal_gemmt_kernelIiLi16ELi32ELi8ELc84ELc78ELc85ELb0ELb0E19rocblas_complex_numIfEPKS1_S3_PS1_EviT_T9_T10_S5_lS7_S5_lS6_T11_S5_li,"axG",@progbits,_ZL29rocblas_internal_gemmt_kernelIiLi16ELi32ELi8ELc84ELc78ELc85ELb0ELb0E19rocblas_complex_numIfEPKS1_S3_PS1_EviT_T9_T10_S5_lS7_S5_lS6_T11_S5_li,comdat
	.globl	_ZL29rocblas_internal_gemmt_kernelIiLi16ELi32ELi8ELc84ELc78ELc85ELb0ELb0E19rocblas_complex_numIfEPKS1_S3_PS1_EviT_T9_T10_S5_lS7_S5_lS6_T11_S5_li ; -- Begin function _ZL29rocblas_internal_gemmt_kernelIiLi16ELi32ELi8ELc84ELc78ELc85ELb0ELb0E19rocblas_complex_numIfEPKS1_S3_PS1_EviT_T9_T10_S5_lS7_S5_lS6_T11_S5_li
	.p2align	8
	.type	_ZL29rocblas_internal_gemmt_kernelIiLi16ELi32ELi8ELc84ELc78ELc85ELb0ELb0E19rocblas_complex_numIfEPKS1_S3_PS1_EviT_T9_T10_S5_lS7_S5_lS6_T11_S5_li,@function
_ZL29rocblas_internal_gemmt_kernelIiLi16ELi32ELi8ELc84ELc78ELc85ELb0ELb0E19rocblas_complex_numIfEPKS1_S3_PS1_EviT_T9_T10_S5_lS7_S5_lS6_T11_S5_li: ; @_ZL29rocblas_internal_gemmt_kernelIiLi16ELi32ELi8ELc84ELc78ELc85ELb0ELb0E19rocblas_complex_numIfEPKS1_S3_PS1_EviT_T9_T10_S5_lS7_S5_lS6_T11_S5_li
; %bb.0:
	s_clause 0x1
	s_load_dwordx4 s[12:15], s[4:5], 0x38
	s_load_dwordx4 s[0:3], s[4:5], 0x8
	s_waitcnt lgkmcnt(0)
	s_load_dwordx2 s[10:11], s[14:15], 0x0
	s_load_dwordx2 s[20:21], s[4:5], 0x0
	;; [unrolled: 1-line block ×3, first 2 shown]
	s_waitcnt lgkmcnt(0)
	s_and_b32 s0, s11, 0x7fffffff
	v_cmp_eq_f32_e64 s1, s10, 1.0
	s_cmp_eq_u32 s0, 0
	s_mov_b32 s0, 0
	s_cselect_b32 s9, -1, 0
	s_and_b32 s1, s1, s9
	s_andn2_b32 vcc_lo, exec_lo, s1
	s_mov_b32 s1, -1
	s_cbranch_vccnz .LBB75_4
; %bb.1:
	s_cmp_lg_u32 s21, 0
	s_cbranch_scc0 .LBB75_3
; %bb.2:
	v_cmp_neq_f32_e64 s0, s14, 0
	v_cmp_neq_f32_e64 s1, s15, 0
	s_or_b32 s0, s0, s1
.LBB75_3:
	s_mov_b32 s1, s0
.LBB75_4:
	s_and_b32 vcc_lo, exec_lo, s1
	s_cbranch_vccz .LBB75_32
; %bb.5:
	s_load_dwordx2 s[22:23], s[4:5], 0x48
	v_cmp_eq_f32_e64 s0, s14, 0
	v_cmp_eq_f32_e64 s1, s15, 0
	s_lshl_b32 s6, s6, 5
	s_lshl_b32 s7, s7, 5
	v_mov_b32_e32 v20, 0
	v_mov_b32_e32 v21, 0
	s_and_b32 s0, s0, s1
	s_cmp_lt_i32 s21, 1
	v_mov_b32_e32 v18, 0
	s_cselect_b32 s1, -1, 0
	v_mov_b32_e32 v19, 0
	v_mov_b32_e32 v16, 0
	v_mov_b32_e32 v17, 0
	v_mov_b32_e32 v14, 0
	v_mov_b32_e32 v15, 0
	s_or_b32 s0, s0, s1
	s_mov_b32 s24, 0
	s_and_b32 vcc_lo, exec_lo, s0
	s_cbranch_vccnz .LBB75_16
; %bb.6:
	s_load_dword s0, s[4:5], 0x18
	v_lshl_add_u32 v2, v1, 4, v0
	s_clause 0x1
	s_load_dwordx4 s[16:19], s[4:5], 0x20
	s_load_dword s1, s[4:5], 0x30
	v_and_b32_e32 v8, 7, v0
	v_lshlrev_b32_e32 v9, 3, v0
	v_lshl_add_u32 v10, v1, 6, 0x800
	v_and_b32_e32 v4, 31, v2
	v_lshrrev_b32_e32 v3, 3, v2
	v_lshrrev_b32_e32 v11, 5, v2
	v_lshlrev_b32_e32 v6, 3, v8
	v_mov_b32_e32 v17, 0
	v_add_nc_u32_e32 v2, s6, v4
	v_add_nc_u32_e32 v5, s7, v3
	v_or_b32_e32 v7, s6, v4
	v_lshl_or_b32 v13, v3, 6, v6
	v_lshlrev_b32_e32 v4, 3, v4
	v_lshlrev_b32_e32 v14, 3, v11
	v_mov_b32_e32 v16, 0
	v_cmp_gt_i32_e32 vcc_lo, s20, v7
	v_add_nc_u32_e32 v13, 0x800, v13
	s_waitcnt lgkmcnt(0)
	v_mad_i64_i32 v[2:3], null, s0, v2, 0
	v_lshl_or_b32 v12, v11, 8, v4
	v_cmp_gt_i32_e64 s0, s20, v5
	s_mul_i32 s17, s17, s8
	s_mul_hi_u32 s25, s16, s8
	v_mad_i64_i32 v[4:5], null, s1, v5, 0
	v_lshlrev_b64 v[2:3], 3, v[2:3]
	s_mul_i32 s16, s16, s8
	s_add_i32 s17, s25, s17
	v_mov_b32_e32 v19, 0
	s_lshl_b64 s[16:17], s[16:17], 3
	v_mov_b32_e32 v18, 0
	v_add_co_u32 v7, s1, v2, s16
	v_add_co_ci_u32_e64 v15, null, s17, v3, s1
	s_mul_i32 s1, s13, s8
	s_mul_hi_u32 s13, s12, s8
	v_lshlrev_b64 v[3:4], 3, v[4:5]
	s_add_i32 s13, s13, s1
	s_mul_i32 s12, s12, s8
	v_mov_b32_e32 v2, 0
	s_lshl_b64 s[12:13], s[12:13], 3
	v_mov_b32_e32 v21, 0
	v_add_co_u32 v3, s1, v3, s12
	v_add_co_ci_u32_e64 v4, null, s13, v4, s1
	v_add_co_u32 v5, s1, v7, v14
	v_add_co_ci_u32_e64 v7, null, 0, v15, s1
	;; [unrolled: 2-line block ×5, first 2 shown]
	v_mov_b32_e32 v15, 0
	v_mov_b32_e32 v14, 0
	v_mov_b32_e32 v20, 0
	s_xor_b32 s1, vcc_lo, -1
	s_xor_b32 s0, s0, -1
	s_branch .LBB75_8
.LBB75_7:                               ;   in Loop: Header=BB75_8 Depth=1
	s_or_b32 exec_lo, exec_lo, s2
	s_waitcnt lgkmcnt(0)
	s_barrier
	buffer_gl0_inv
	ds_read_b128 v[22:25], v10
	ds_read2_b64 v[26:29], v9 offset1:16
	ds_read_b128 v[30:33], v10 offset:1024
	ds_read_b128 v[34:37], v10 offset:16
	;; [unrolled: 1-line block ×4, first 2 shown]
	ds_read2_b64 v[46:49], v9 offset0:32 offset1:48
	ds_read_b128 v[50:53], v10 offset:1040
	v_add_co_u32 v4, vcc_lo, v4, 64
	v_add_co_ci_u32_e64 v5, null, 0, v5, vcc_lo
	v_add_co_u32 v6, vcc_lo, v6, 64
	v_add_co_ci_u32_e64 v7, null, 0, v7, vcc_lo
	s_add_i32 s24, s24, 8
	s_cmp_lt_i32 s24, s21
	s_waitcnt lgkmcnt(6)
	v_mul_f32_e32 v3, v23, v27
	v_mul_f32_e32 v54, v22, v27
	;; [unrolled: 1-line block ×4, first 2 shown]
	s_waitcnt lgkmcnt(5)
	v_mul_f32_e32 v57, v31, v27
	v_mul_f32_e32 v27, v30, v27
	;; [unrolled: 1-line block ×3, first 2 shown]
	v_fma_f32 v3, v22, v26, -v3
	v_fmac_f32_e32 v54, v23, v26
	v_fma_f32 v22, v22, v28, -v55
	v_fmac_f32_e32 v56, v23, v28
	;; [unrolled: 2-line block ×3, first 2 shown]
	v_mul_f32_e32 v29, v30, v29
	v_fma_f32 v26, v30, v28, -v58
	v_add_f32_e32 v3, v20, v3
	v_add_f32_e32 v20, v21, v54
	;; [unrolled: 1-line block ×6, first 2 shown]
	s_waitcnt lgkmcnt(1)
	v_mul_f32_e32 v30, v25, v47
	ds_read2_b64 v[16:19], v9 offset0:64 offset1:80
	v_fmac_f32_e32 v29, v31, v28
	v_add_f32_e32 v14, v14, v26
	v_mul_f32_e32 v26, v24, v47
	v_fma_f32 v28, v24, v46, -v30
	v_mul_f32_e32 v30, v25, v49
	v_add_f32_e32 v15, v15, v29
	v_mul_f32_e32 v29, v24, v49
	v_fmac_f32_e32 v26, v25, v46
	v_add_f32_e32 v3, v3, v28
	v_fma_f32 v24, v24, v48, -v30
	v_mul_f32_e32 v28, v33, v47
	v_fmac_f32_e32 v29, v25, v48
	v_add_f32_e32 v26, v20, v26
	v_mul_f32_e32 v20, v32, v47
	v_add_f32_e32 v24, v21, v24
	v_fma_f32 v21, v32, v46, -v28
	v_mul_f32_e32 v25, v33, v49
	v_add_f32_e32 v28, v22, v29
	v_fmac_f32_e32 v20, v33, v46
	v_mul_f32_e32 v29, v32, v49
	v_add_f32_e32 v30, v23, v21
	v_fma_f32 v21, v32, v48, -v25
	s_waitcnt lgkmcnt(0)
	v_mul_f32_e32 v22, v35, v17
	v_add_f32_e32 v25, v27, v20
	v_fmac_f32_e32 v29, v33, v48
	v_mul_f32_e32 v27, v34, v17
	v_add_f32_e32 v14, v14, v21
	v_fma_f32 v31, v34, v16, -v22
	v_mul_f32_e32 v32, v35, v19
	ds_read2_b64 v[20:23], v9 offset0:96 offset1:112
	v_fmac_f32_e32 v27, v35, v16
	v_add_f32_e32 v29, v15, v29
	v_add_f32_e32 v3, v3, v31
	v_mul_f32_e32 v15, v34, v19
	v_fma_f32 v31, v34, v18, -v32
	v_add_f32_e32 v26, v26, v27
	v_mul_f32_e32 v27, v51, v17
	v_mul_f32_e32 v17, v50, v17
	v_fmac_f32_e32 v15, v35, v18
	v_add_f32_e32 v24, v24, v31
	v_mul_f32_e32 v31, v51, v19
	v_mul_f32_e32 v19, v50, v19
	v_fmac_f32_e32 v17, v51, v16
	v_add_f32_e32 v28, v28, v15
	v_fma_f32 v27, v50, v16, -v27
	v_fma_f32 v15, v50, v18, -v31
	v_fmac_f32_e32 v19, v51, v18
	v_add_f32_e32 v31, v25, v17
	s_waitcnt lgkmcnt(0)
	v_mul_f32_e32 v18, v37, v21
	v_add_f32_e32 v32, v14, v15
	ds_read2_b64 v[14:17], v9 offset0:128 offset1:144
	v_add_f32_e32 v30, v30, v27
	v_mul_f32_e32 v25, v36, v21
	v_fma_f32 v18, v36, v20, -v18
	v_mul_f32_e32 v27, v37, v23
	v_add_f32_e32 v29, v29, v19
	v_mul_f32_e32 v19, v36, v23
	v_fmac_f32_e32 v25, v37, v20
	v_add_f32_e32 v3, v3, v18
	v_mul_f32_e32 v18, v53, v21
	v_fma_f32 v27, v36, v22, -v27
	v_fmac_f32_e32 v19, v37, v22
	v_mul_f32_e32 v21, v52, v21
	v_mul_f32_e32 v35, v53, v23
	v_fma_f32 v18, v52, v20, -v18
	v_add_f32_e32 v33, v26, v25
	v_add_f32_e32 v34, v24, v27
	ds_read_b128 v[24:27], v10 offset:1056
	v_add_f32_e32 v36, v28, v19
	v_fmac_f32_e32 v21, v53, v20
	v_mul_f32_e32 v23, v52, v23
	v_fma_f32 v19, v52, v22, -v35
	v_add_f32_e32 v35, v30, v18
	s_waitcnt lgkmcnt(1)
	v_mul_f32_e32 v18, v39, v15
	v_add_f32_e32 v37, v31, v21
	v_fmac_f32_e32 v23, v53, v22
	v_add_f32_e32 v22, v32, v19
	v_mul_f32_e32 v32, v38, v15
	v_fma_f32 v28, v38, v14, -v18
	ds_read2_b64 v[18:21], v9 offset0:160 offset1:176
	v_mul_f32_e32 v30, v39, v17
	v_mul_f32_e32 v46, v38, v17
	v_fmac_f32_e32 v32, v39, v14
	v_add_f32_e32 v23, v29, v23
	v_add_f32_e32 v3, v3, v28
	v_fma_f32 v38, v38, v16, -v30
	ds_read_b128 v[28:31], v10 offset:1072
	s_waitcnt lgkmcnt(2)
	v_mul_f32_e32 v47, v25, v15
	v_add_f32_e32 v32, v33, v32
	v_mul_f32_e32 v15, v24, v15
	v_add_f32_e32 v33, v34, v38
	v_mul_f32_e32 v38, v25, v17
	v_fmac_f32_e32 v46, v39, v16
	v_fma_f32 v34, v24, v14, -v47
	v_fmac_f32_e32 v15, v25, v14
	v_mul_f32_e32 v39, v24, v17
	v_fma_f32 v14, v24, v16, -v38
	v_add_f32_e32 v36, v36, v46
	v_add_f32_e32 v34, v35, v34
	s_waitcnt lgkmcnt(1)
	v_mul_f32_e32 v17, v41, v19
	v_add_f32_e32 v24, v37, v15
	v_fmac_f32_e32 v39, v25, v16
	v_mul_f32_e32 v25, v40, v19
	v_add_f32_e32 v22, v22, v14
	v_fma_f32 v35, v40, v18, -v17
	ds_read2_b64 v[14:17], v9 offset0:192 offset1:208
	v_mul_f32_e32 v37, v41, v21
	v_fmac_f32_e32 v25, v41, v18
	v_add_f32_e32 v38, v23, v39
	v_add_f32_e32 v3, v3, v35
	v_mul_f32_e32 v23, v40, v21
	v_fma_f32 v35, v40, v20, -v37
	v_add_f32_e32 v32, v32, v25
	v_mul_f32_e32 v25, v27, v19
	v_mul_f32_e32 v19, v26, v19
	v_fmac_f32_e32 v23, v41, v20
	v_add_f32_e32 v33, v33, v35
	v_mul_f32_e32 v35, v27, v21
	v_fma_f32 v25, v26, v18, -v25
	v_fmac_f32_e32 v19, v27, v18
	v_add_f32_e32 v18, v36, v23
	v_mul_f32_e32 v21, v26, v21
	v_fma_f32 v23, v26, v20, -v35
	v_add_f32_e32 v26, v34, v25
	v_add_f32_e32 v19, v24, v19
	s_waitcnt lgkmcnt(0)
	v_mul_f32_e32 v34, v43, v15
	v_fmac_f32_e32 v21, v27, v20
	v_add_f32_e32 v20, v22, v23
	ds_read2_b64 v[22:25], v9 offset0:224 offset1:240
	v_mul_f32_e32 v27, v42, v15
	v_fma_f32 v34, v42, v14, -v34
	v_mul_f32_e32 v35, v43, v17
	v_mul_f32_e32 v36, v42, v17
	v_add_f32_e32 v21, v38, v21
	v_fmac_f32_e32 v27, v43, v14
	v_add_f32_e32 v3, v3, v34
	v_mul_f32_e32 v34, v29, v15
	v_fma_f32 v35, v42, v16, -v35
	v_fmac_f32_e32 v36, v43, v16
	v_add_f32_e32 v27, v32, v27
	v_mul_f32_e32 v15, v28, v15
	v_fma_f32 v32, v28, v14, -v34
	v_mul_f32_e32 v34, v29, v17
	v_add_f32_e32 v33, v33, v35
	v_add_f32_e32 v35, v18, v36
	v_fmac_f32_e32 v15, v29, v14
	v_add_f32_e32 v14, v26, v32
	v_mul_f32_e32 v17, v28, v17
	v_fma_f32 v18, v28, v16, -v34
	s_waitcnt lgkmcnt(0)
	v_mul_f32_e32 v26, v45, v23
	v_mul_f32_e32 v28, v44, v23
	v_add_f32_e32 v15, v19, v15
	v_fmac_f32_e32 v17, v29, v16
	v_add_f32_e32 v29, v20, v18
	v_fma_f32 v16, v44, v22, -v26
	v_mul_f32_e32 v18, v45, v25
	v_mul_f32_e32 v19, v44, v25
	v_add_f32_e32 v26, v21, v17
	v_mul_f32_e32 v17, v30, v23
	v_add_f32_e32 v20, v3, v16
	v_fma_f32 v3, v44, v24, -v18
	v_mul_f32_e32 v16, v31, v23
	v_mul_f32_e32 v23, v31, v25
	;; [unrolled: 1-line block ×3, first 2 shown]
	v_fmac_f32_e32 v28, v45, v22
	v_fmac_f32_e32 v19, v45, v24
	v_add_f32_e32 v18, v33, v3
	v_fma_f32 v3, v30, v22, -v16
	v_fmac_f32_e32 v17, v31, v22
	v_fma_f32 v22, v30, v24, -v23
	v_fmac_f32_e32 v25, v31, v24
	v_add_f32_e32 v21, v27, v28
	v_add_f32_e32 v19, v35, v19
	;; [unrolled: 1-line block ×6, first 2 shown]
	s_barrier
	buffer_gl0_inv
	s_cbranch_scc0 .LBB75_16
.LBB75_8:                               ; =>This Inner Loop Header: Depth=1
	v_add_nc_u32_e32 v3, s24, v11
	v_cmp_le_i32_e32 vcc_lo, s21, v3
	s_or_b32 s2, s1, vcc_lo
	s_and_saveexec_b32 s3, s2
	s_xor_b32 s2, exec_lo, s3
; %bb.9:                                ;   in Loop: Header=BB75_8 Depth=1
	v_mov_b32_e32 v3, v2
	ds_write_b64 v12, v[2:3]
; %bb.10:                               ;   in Loop: Header=BB75_8 Depth=1
	s_andn2_saveexec_b32 s2, s2
	s_cbranch_execz .LBB75_12
; %bb.11:                               ;   in Loop: Header=BB75_8 Depth=1
	global_load_dwordx2 v[22:23], v[4:5], off
	s_waitcnt vmcnt(0)
	ds_write_b64 v12, v[22:23]
.LBB75_12:                              ;   in Loop: Header=BB75_8 Depth=1
	s_or_b32 exec_lo, exec_lo, s2
	v_add_nc_u32_e32 v3, s24, v8
	v_cmp_le_i32_e32 vcc_lo, s21, v3
	s_or_b32 s2, vcc_lo, s0
	s_and_saveexec_b32 s3, s2
	s_xor_b32 s2, exec_lo, s3
; %bb.13:                               ;   in Loop: Header=BB75_8 Depth=1
	v_mov_b32_e32 v3, v2
	ds_write_b64 v13, v[2:3]
; %bb.14:                               ;   in Loop: Header=BB75_8 Depth=1
	s_andn2_saveexec_b32 s2, s2
	s_cbranch_execz .LBB75_7
; %bb.15:                               ;   in Loop: Header=BB75_8 Depth=1
	global_load_dwordx2 v[22:23], v[6:7], off
	s_waitcnt vmcnt(0)
	ds_write_b64 v13, v[22:23]
	s_branch .LBB75_7
.LBB75_16:
	s_clause 0x1
	s_load_dword s2, s[4:5], 0x50
	s_load_dwordx2 s[4:5], s[4:5], 0x58
	v_add_nc_u32_e32 v9, s7, v1
	v_add_nc_u32_e32 v0, s6, v0
	v_cmp_neq_f32_e64 s6, s10, 0
	v_cmp_gt_i32_e64 s0, s20, v9
	v_cmp_le_i32_e32 vcc_lo, v0, v9
	s_waitcnt lgkmcnt(0)
	v_mad_i64_i32 v[1:2], null, v9, s2, 0
	s_mul_i32 s1, s5, s8
	s_mul_hi_u32 s3, s4, s8
	s_mul_i32 s4, s4, s8
	s_add_i32 s5, s3, s1
	s_lshl_b64 s[4:5], s[4:5], 3
	v_lshlrev_b64 v[2:3], 3, v[1:2]
	s_add_u32 s3, s22, s4
	s_addc_u32 s4, s23, s5
	s_xor_b32 s5, s9, -1
	v_ashrrev_i32_e32 v1, 31, v0
	s_or_b32 s5, s6, s5
	v_add_co_u32 v6, s1, s3, v2
	v_add_co_ci_u32_e64 v7, null, s4, v3, s1
	v_cndmask_b32_e64 v8, 0, 1, s5
	s_and_b32 s6, s0, vcc_lo
	s_and_saveexec_b32 s1, s6
	s_cbranch_execz .LBB75_20
; %bb.17:
	v_lshlrev_b64 v[4:5], 3, v[0:1]
	v_mul_f32_e32 v2, s15, v21
	v_mul_f32_e32 v3, s14, v21
	v_fma_f32 v2, v20, s14, -v2
	v_add_co_u32 v4, vcc_lo, v6, v4
	v_fmac_f32_e32 v3, s15, v20
	v_add_co_ci_u32_e64 v5, null, v7, v5, vcc_lo
	s_andn2_b32 vcc_lo, exec_lo, s5
	s_cbranch_vccnz .LBB75_19
; %bb.18:
	global_load_dwordx2 v[10:11], v[4:5], off
	s_waitcnt vmcnt(0)
	v_mul_f32_e32 v12, s11, v11
	v_mul_f32_e32 v11, s10, v11
	v_fma_f32 v12, v10, s10, -v12
	v_fmac_f32_e32 v11, s11, v10
	v_add_f32_e32 v2, v2, v12
	v_add_f32_e32 v3, v3, v11
.LBB75_19:
	global_store_dwordx2 v[4:5], v[2:3], off
.LBB75_20:
	s_or_b32 exec_lo, exec_lo, s1
	v_add_nc_u32_e32 v2, 16, v0
	v_cmp_le_i32_e32 vcc_lo, v2, v9
	v_ashrrev_i32_e32 v3, 31, v2
	s_and_b32 s0, s0, vcc_lo
	s_and_saveexec_b32 s1, s0
	s_cbranch_execz .LBB75_24
; %bb.21:
	v_lshlrev_b64 v[10:11], 3, v[2:3]
	v_mul_f32_e32 v4, s15, v19
	v_mul_f32_e32 v5, s14, v19
	v_cmp_ne_u32_e32 vcc_lo, 1, v8
	v_fma_f32 v4, v18, s14, -v4
	v_add_co_u32 v6, s0, v6, v10
	v_fmac_f32_e32 v5, s15, v18
	v_add_co_ci_u32_e64 v7, null, v7, v11, s0
	s_cbranch_vccnz .LBB75_23
; %bb.22:
	global_load_dwordx2 v[10:11], v[6:7], off
	s_waitcnt vmcnt(0)
	v_mul_f32_e32 v12, s11, v11
	v_mul_f32_e32 v11, s10, v11
	v_fma_f32 v12, v10, s10, -v12
	v_fmac_f32_e32 v11, s11, v10
	v_add_f32_e32 v4, v4, v12
	v_add_f32_e32 v5, v5, v11
.LBB75_23:
	global_store_dwordx2 v[6:7], v[4:5], off
.LBB75_24:
	s_or_b32 exec_lo, exec_lo, s1
	v_add_nc_u32_e32 v9, 16, v9
	v_mad_i64_i32 v[4:5], null, v9, s2, 0
	v_cmp_gt_i32_e64 s0, s20, v9
	v_cmp_le_i32_e32 vcc_lo, v0, v9
	v_lshlrev_b64 v[4:5], 3, v[4:5]
	v_add_co_u32 v6, s1, s3, v4
	v_add_co_ci_u32_e64 v7, null, s4, v5, s1
	s_and_b32 s1, s0, vcc_lo
	s_and_saveexec_b32 s2, s1
	s_cbranch_execz .LBB75_28
; %bb.25:
	v_lshlrev_b64 v[0:1], 3, v[0:1]
	v_mul_f32_e32 v4, s15, v17
	v_mul_f32_e32 v5, s14, v17
	v_cmp_ne_u32_e32 vcc_lo, 1, v8
	v_fma_f32 v4, v16, s14, -v4
	v_add_co_u32 v0, s1, v6, v0
	v_fmac_f32_e32 v5, s15, v16
	v_add_co_ci_u32_e64 v1, null, v7, v1, s1
	s_cbranch_vccnz .LBB75_27
; %bb.26:
	global_load_dwordx2 v[10:11], v[0:1], off
	s_waitcnt vmcnt(0)
	v_mul_f32_e32 v12, s11, v11
	v_mul_f32_e32 v11, s10, v11
	v_fma_f32 v12, v10, s10, -v12
	v_fmac_f32_e32 v11, s11, v10
	v_add_f32_e32 v4, v4, v12
	v_add_f32_e32 v5, v5, v11
.LBB75_27:
	global_store_dwordx2 v[0:1], v[4:5], off
.LBB75_28:
	s_or_b32 exec_lo, exec_lo, s2
	v_cmp_le_i32_e32 vcc_lo, v2, v9
	s_and_b32 s0, s0, vcc_lo
	s_and_saveexec_b32 s1, s0
	s_cbranch_execz .LBB75_32
; %bb.29:
	v_lshlrev_b64 v[2:3], 3, v[2:3]
	v_mul_f32_e32 v0, s15, v15
	v_mul_f32_e32 v1, s14, v15
	v_cmp_ne_u32_e32 vcc_lo, 1, v8
	v_fma_f32 v0, v14, s14, -v0
	v_add_co_u32 v2, s0, v6, v2
	v_fmac_f32_e32 v1, s15, v14
	v_add_co_ci_u32_e64 v3, null, v7, v3, s0
	s_cbranch_vccnz .LBB75_31
; %bb.30:
	global_load_dwordx2 v[4:5], v[2:3], off
	s_waitcnt vmcnt(0)
	v_mul_f32_e32 v6, s11, v5
	v_mul_f32_e32 v5, s10, v5
	v_fma_f32 v6, v4, s10, -v6
	v_fmac_f32_e32 v5, s11, v4
	v_add_f32_e32 v0, v0, v6
	v_add_f32_e32 v1, v1, v5
.LBB75_31:
	global_store_dwordx2 v[2:3], v[0:1], off
.LBB75_32:
	s_endpgm
	.section	.rodata,"a",@progbits
	.p2align	6, 0x0
	.amdhsa_kernel _ZL29rocblas_internal_gemmt_kernelIiLi16ELi32ELi8ELc84ELc78ELc85ELb0ELb0E19rocblas_complex_numIfEPKS1_S3_PS1_EviT_T9_T10_S5_lS7_S5_lS6_T11_S5_li
		.amdhsa_group_segment_fixed_size 4096
		.amdhsa_private_segment_fixed_size 0
		.amdhsa_kernarg_size 100
		.amdhsa_user_sgpr_count 6
		.amdhsa_user_sgpr_private_segment_buffer 1
		.amdhsa_user_sgpr_dispatch_ptr 0
		.amdhsa_user_sgpr_queue_ptr 0
		.amdhsa_user_sgpr_kernarg_segment_ptr 1
		.amdhsa_user_sgpr_dispatch_id 0
		.amdhsa_user_sgpr_flat_scratch_init 0
		.amdhsa_user_sgpr_private_segment_size 0
		.amdhsa_wavefront_size32 1
		.amdhsa_uses_dynamic_stack 0
		.amdhsa_system_sgpr_private_segment_wavefront_offset 0
		.amdhsa_system_sgpr_workgroup_id_x 1
		.amdhsa_system_sgpr_workgroup_id_y 1
		.amdhsa_system_sgpr_workgroup_id_z 1
		.amdhsa_system_sgpr_workgroup_info 0
		.amdhsa_system_vgpr_workitem_id 1
		.amdhsa_next_free_vgpr 59
		.amdhsa_next_free_sgpr 26
		.amdhsa_reserve_vcc 1
		.amdhsa_reserve_flat_scratch 0
		.amdhsa_float_round_mode_32 0
		.amdhsa_float_round_mode_16_64 0
		.amdhsa_float_denorm_mode_32 3
		.amdhsa_float_denorm_mode_16_64 3
		.amdhsa_dx10_clamp 1
		.amdhsa_ieee_mode 1
		.amdhsa_fp16_overflow 0
		.amdhsa_workgroup_processor_mode 1
		.amdhsa_memory_ordered 1
		.amdhsa_forward_progress 1
		.amdhsa_shared_vgpr_count 0
		.amdhsa_exception_fp_ieee_invalid_op 0
		.amdhsa_exception_fp_denorm_src 0
		.amdhsa_exception_fp_ieee_div_zero 0
		.amdhsa_exception_fp_ieee_overflow 0
		.amdhsa_exception_fp_ieee_underflow 0
		.amdhsa_exception_fp_ieee_inexact 0
		.amdhsa_exception_int_div_zero 0
	.end_amdhsa_kernel
	.section	.text._ZL29rocblas_internal_gemmt_kernelIiLi16ELi32ELi8ELc84ELc78ELc85ELb0ELb0E19rocblas_complex_numIfEPKS1_S3_PS1_EviT_T9_T10_S5_lS7_S5_lS6_T11_S5_li,"axG",@progbits,_ZL29rocblas_internal_gemmt_kernelIiLi16ELi32ELi8ELc84ELc78ELc85ELb0ELb0E19rocblas_complex_numIfEPKS1_S3_PS1_EviT_T9_T10_S5_lS7_S5_lS6_T11_S5_li,comdat
.Lfunc_end75:
	.size	_ZL29rocblas_internal_gemmt_kernelIiLi16ELi32ELi8ELc84ELc78ELc85ELb0ELb0E19rocblas_complex_numIfEPKS1_S3_PS1_EviT_T9_T10_S5_lS7_S5_lS6_T11_S5_li, .Lfunc_end75-_ZL29rocblas_internal_gemmt_kernelIiLi16ELi32ELi8ELc84ELc78ELc85ELb0ELb0E19rocblas_complex_numIfEPKS1_S3_PS1_EviT_T9_T10_S5_lS7_S5_lS6_T11_S5_li
                                        ; -- End function
	.set _ZL29rocblas_internal_gemmt_kernelIiLi16ELi32ELi8ELc84ELc78ELc85ELb0ELb0E19rocblas_complex_numIfEPKS1_S3_PS1_EviT_T9_T10_S5_lS7_S5_lS6_T11_S5_li.num_vgpr, 59
	.set _ZL29rocblas_internal_gemmt_kernelIiLi16ELi32ELi8ELc84ELc78ELc85ELb0ELb0E19rocblas_complex_numIfEPKS1_S3_PS1_EviT_T9_T10_S5_lS7_S5_lS6_T11_S5_li.num_agpr, 0
	.set _ZL29rocblas_internal_gemmt_kernelIiLi16ELi32ELi8ELc84ELc78ELc85ELb0ELb0E19rocblas_complex_numIfEPKS1_S3_PS1_EviT_T9_T10_S5_lS7_S5_lS6_T11_S5_li.numbered_sgpr, 26
	.set _ZL29rocblas_internal_gemmt_kernelIiLi16ELi32ELi8ELc84ELc78ELc85ELb0ELb0E19rocblas_complex_numIfEPKS1_S3_PS1_EviT_T9_T10_S5_lS7_S5_lS6_T11_S5_li.num_named_barrier, 0
	.set _ZL29rocblas_internal_gemmt_kernelIiLi16ELi32ELi8ELc84ELc78ELc85ELb0ELb0E19rocblas_complex_numIfEPKS1_S3_PS1_EviT_T9_T10_S5_lS7_S5_lS6_T11_S5_li.private_seg_size, 0
	.set _ZL29rocblas_internal_gemmt_kernelIiLi16ELi32ELi8ELc84ELc78ELc85ELb0ELb0E19rocblas_complex_numIfEPKS1_S3_PS1_EviT_T9_T10_S5_lS7_S5_lS6_T11_S5_li.uses_vcc, 1
	.set _ZL29rocblas_internal_gemmt_kernelIiLi16ELi32ELi8ELc84ELc78ELc85ELb0ELb0E19rocblas_complex_numIfEPKS1_S3_PS1_EviT_T9_T10_S5_lS7_S5_lS6_T11_S5_li.uses_flat_scratch, 0
	.set _ZL29rocblas_internal_gemmt_kernelIiLi16ELi32ELi8ELc84ELc78ELc85ELb0ELb0E19rocblas_complex_numIfEPKS1_S3_PS1_EviT_T9_T10_S5_lS7_S5_lS6_T11_S5_li.has_dyn_sized_stack, 0
	.set _ZL29rocblas_internal_gemmt_kernelIiLi16ELi32ELi8ELc84ELc78ELc85ELb0ELb0E19rocblas_complex_numIfEPKS1_S3_PS1_EviT_T9_T10_S5_lS7_S5_lS6_T11_S5_li.has_recursion, 0
	.set _ZL29rocblas_internal_gemmt_kernelIiLi16ELi32ELi8ELc84ELc78ELc85ELb0ELb0E19rocblas_complex_numIfEPKS1_S3_PS1_EviT_T9_T10_S5_lS7_S5_lS6_T11_S5_li.has_indirect_call, 0
	.section	.AMDGPU.csdata,"",@progbits
; Kernel info:
; codeLenInByte = 2504
; TotalNumSgprs: 28
; NumVgprs: 59
; ScratchSize: 0
; MemoryBound: 1
; FloatMode: 240
; IeeeMode: 1
; LDSByteSize: 4096 bytes/workgroup (compile time only)
; SGPRBlocks: 0
; VGPRBlocks: 7
; NumSGPRsForWavesPerEU: 28
; NumVGPRsForWavesPerEU: 59
; Occupancy: 16
; WaveLimiterHint : 0
; COMPUTE_PGM_RSRC2:SCRATCH_EN: 0
; COMPUTE_PGM_RSRC2:USER_SGPR: 6
; COMPUTE_PGM_RSRC2:TRAP_HANDLER: 0
; COMPUTE_PGM_RSRC2:TGID_X_EN: 1
; COMPUTE_PGM_RSRC2:TGID_Y_EN: 1
; COMPUTE_PGM_RSRC2:TGID_Z_EN: 1
; COMPUTE_PGM_RSRC2:TIDIG_COMP_CNT: 1
	.section	.text._ZL29rocblas_internal_gemmt_kernelIiLi16ELi32ELi8ELc84ELc84ELc85ELb0ELb0E19rocblas_complex_numIfEPKS1_S3_PS1_EviT_T9_T10_S5_lS7_S5_lS6_T11_S5_li,"axG",@progbits,_ZL29rocblas_internal_gemmt_kernelIiLi16ELi32ELi8ELc84ELc84ELc85ELb0ELb0E19rocblas_complex_numIfEPKS1_S3_PS1_EviT_T9_T10_S5_lS7_S5_lS6_T11_S5_li,comdat
	.globl	_ZL29rocblas_internal_gemmt_kernelIiLi16ELi32ELi8ELc84ELc84ELc85ELb0ELb0E19rocblas_complex_numIfEPKS1_S3_PS1_EviT_T9_T10_S5_lS7_S5_lS6_T11_S5_li ; -- Begin function _ZL29rocblas_internal_gemmt_kernelIiLi16ELi32ELi8ELc84ELc84ELc85ELb0ELb0E19rocblas_complex_numIfEPKS1_S3_PS1_EviT_T9_T10_S5_lS7_S5_lS6_T11_S5_li
	.p2align	8
	.type	_ZL29rocblas_internal_gemmt_kernelIiLi16ELi32ELi8ELc84ELc84ELc85ELb0ELb0E19rocblas_complex_numIfEPKS1_S3_PS1_EviT_T9_T10_S5_lS7_S5_lS6_T11_S5_li,@function
_ZL29rocblas_internal_gemmt_kernelIiLi16ELi32ELi8ELc84ELc84ELc85ELb0ELb0E19rocblas_complex_numIfEPKS1_S3_PS1_EviT_T9_T10_S5_lS7_S5_lS6_T11_S5_li: ; @_ZL29rocblas_internal_gemmt_kernelIiLi16ELi32ELi8ELc84ELc84ELc85ELb0ELb0E19rocblas_complex_numIfEPKS1_S3_PS1_EviT_T9_T10_S5_lS7_S5_lS6_T11_S5_li
; %bb.0:
	s_clause 0x1
	s_load_dwordx4 s[12:15], s[4:5], 0x38
	s_load_dwordx4 s[0:3], s[4:5], 0x8
	s_waitcnt lgkmcnt(0)
	s_load_dwordx2 s[10:11], s[14:15], 0x0
	s_load_dwordx2 s[20:21], s[4:5], 0x0
	;; [unrolled: 1-line block ×3, first 2 shown]
	s_waitcnt lgkmcnt(0)
	s_and_b32 s0, s11, 0x7fffffff
	v_cmp_eq_f32_e64 s1, s10, 1.0
	s_cmp_eq_u32 s0, 0
	s_mov_b32 s0, 0
	s_cselect_b32 s9, -1, 0
	s_and_b32 s1, s1, s9
	s_andn2_b32 vcc_lo, exec_lo, s1
	s_mov_b32 s1, -1
	s_cbranch_vccnz .LBB76_4
; %bb.1:
	s_cmp_lg_u32 s21, 0
	s_cbranch_scc0 .LBB76_3
; %bb.2:
	v_cmp_neq_f32_e64 s0, s14, 0
	v_cmp_neq_f32_e64 s1, s15, 0
	s_or_b32 s0, s0, s1
.LBB76_3:
	s_mov_b32 s1, s0
.LBB76_4:
	s_and_b32 vcc_lo, exec_lo, s1
	s_cbranch_vccz .LBB76_32
; %bb.5:
	s_load_dwordx2 s[22:23], s[4:5], 0x48
	v_cmp_eq_f32_e64 s0, s14, 0
	v_cmp_eq_f32_e64 s1, s15, 0
	s_lshl_b32 s24, s6, 5
	s_lshl_b32 s25, s7, 5
	v_mov_b32_e32 v20, 0
	v_mov_b32_e32 v21, 0
	s_and_b32 s0, s0, s1
	s_cmp_lt_i32 s21, 1
	v_mov_b32_e32 v18, 0
	s_cselect_b32 s1, -1, 0
	v_mov_b32_e32 v19, 0
	v_mov_b32_e32 v16, 0
	;; [unrolled: 1-line block ×5, first 2 shown]
	s_or_b32 s0, s0, s1
	s_mov_b32 s26, 0
	s_and_b32 vcc_lo, exec_lo, s0
	s_cbranch_vccnz .LBB76_16
; %bb.6:
	s_load_dword s0, s[4:5], 0x18
	v_lshl_add_u32 v2, v1, 4, v0
	s_clause 0x1
	s_load_dwordx4 s[16:19], s[4:5], 0x20
	s_load_dword s6, s[4:5], 0x30
	v_and_b32_e32 v8, 7, v0
	v_lshlrev_b32_e32 v9, 3, v0
	v_lshl_add_u32 v10, v1, 6, 0x800
	v_and_b32_e32 v4, 31, v2
	v_lshrrev_b32_e32 v5, 3, v2
	v_lshrrev_b32_e32 v11, 5, v2
	v_lshlrev_b32_e32 v2, 3, v8
	v_mov_b32_e32 v19, 0
	v_or_b32_e32 v6, s24, v4
	v_lshlrev_b32_e32 v7, 3, v4
	v_add_nc_u32_e32 v4, s24, v4
	v_add_nc_u32_e32 v3, s25, v5
	v_lshl_or_b32 v2, v5, 6, v2
	v_cmp_gt_i32_e32 vcc_lo, s20, v6
	v_lshl_or_b32 v12, v11, 8, v7
	v_lshlrev_b32_e32 v17, 3, v11
	v_mov_b32_e32 v18, 0
	s_waitcnt lgkmcnt(0)
	v_mad_i64_i32 v[5:6], null, s0, v4, 0
	s_mul_i32 s1, s17, s8
	s_mul_hi_u32 s17, s16, s8
	v_mad_i64_i32 v[14:15], null, s6, v8, 0
	s_mul_i32 s16, s16, s8
	s_add_i32 s17, s17, s1
	v_lshlrev_b64 v[5:6], 3, v[5:6]
	s_lshl_b64 s[16:17], s[16:17], 3
	v_ashrrev_i32_e32 v4, 31, v3
	v_cmp_gt_i32_e64 s0, s20, v3
	v_add_nc_u32_e32 v13, 0x800, v2
	v_mov_b32_e32 v2, 0
	v_add_co_u32 v7, s1, v5, s16
	v_add_co_ci_u32_e64 v16, null, s17, v6, s1
	s_mul_i32 s1, s13, s8
	s_mul_hi_u32 s13, s12, s8
	v_lshlrev_b64 v[5:6], 3, v[14:15]
	s_add_i32 s13, s13, s1
	s_mul_i32 s12, s12, s8
	v_lshlrev_b64 v[3:4], 3, v[3:4]
	s_lshl_b64 s[12:13], s[12:13], 3
	v_mov_b32_e32 v21, 0
	v_add_co_u32 v5, s1, s12, v5
	v_add_co_ci_u32_e64 v6, null, s13, v6, s1
	v_add_co_u32 v7, s1, v7, v17
	v_add_co_ci_u32_e64 v14, null, 0, v16, s1
	v_add_co_u32 v3, s1, v5, v3
	v_add_co_ci_u32_e64 v15, null, v6, v4, s1
	v_add_co_u32 v4, s1, s2, v7
	v_add_co_ci_u32_e64 v5, null, s3, v14, s1
	v_add_co_u32 v6, s1, s18, v3
	v_add_co_ci_u32_e64 v7, null, s19, v15, s1
	v_mov_b32_e32 v15, 0
	v_mov_b32_e32 v14, 0
	;; [unrolled: 1-line block ×5, first 2 shown]
	s_ashr_i32 s7, s6, 31
	s_xor_b32 s1, vcc_lo, -1
	s_lshl_b64 s[2:3], s[6:7], 6
	s_xor_b32 s0, s0, -1
	s_branch .LBB76_8
.LBB76_7:                               ;   in Loop: Header=BB76_8 Depth=1
	s_or_b32 exec_lo, exec_lo, s6
	s_waitcnt lgkmcnt(0)
	s_barrier
	buffer_gl0_inv
	ds_read_b128 v[22:25], v10
	ds_read2_b64 v[26:29], v9 offset1:16
	ds_read_b128 v[30:33], v10 offset:1024
	ds_read_b128 v[34:37], v10 offset:16
	;; [unrolled: 1-line block ×4, first 2 shown]
	ds_read2_b64 v[46:49], v9 offset0:32 offset1:48
	ds_read_b128 v[50:53], v10 offset:1040
	v_add_co_u32 v4, vcc_lo, v4, 64
	v_add_co_ci_u32_e64 v5, null, 0, v5, vcc_lo
	v_add_co_u32 v6, vcc_lo, v6, s2
	v_add_co_ci_u32_e64 v7, null, s3, v7, vcc_lo
	s_add_i32 s26, s26, 8
	s_cmp_lt_i32 s26, s21
	s_waitcnt lgkmcnt(6)
	v_mul_f32_e32 v3, v23, v27
	v_mul_f32_e32 v54, v22, v27
	;; [unrolled: 1-line block ×4, first 2 shown]
	s_waitcnt lgkmcnt(5)
	v_mul_f32_e32 v57, v31, v27
	v_mul_f32_e32 v27, v30, v27
	;; [unrolled: 1-line block ×3, first 2 shown]
	v_fma_f32 v3, v22, v26, -v3
	v_fmac_f32_e32 v54, v23, v26
	v_fma_f32 v22, v22, v28, -v55
	v_fmac_f32_e32 v56, v23, v28
	;; [unrolled: 2-line block ×3, first 2 shown]
	v_mul_f32_e32 v29, v30, v29
	v_fma_f32 v26, v30, v28, -v58
	v_add_f32_e32 v3, v20, v3
	v_add_f32_e32 v20, v21, v54
	;; [unrolled: 1-line block ×6, first 2 shown]
	s_waitcnt lgkmcnt(1)
	v_mul_f32_e32 v30, v25, v47
	ds_read2_b64 v[16:19], v9 offset0:64 offset1:80
	v_fmac_f32_e32 v29, v31, v28
	v_add_f32_e32 v14, v14, v26
	v_mul_f32_e32 v26, v24, v47
	v_fma_f32 v28, v24, v46, -v30
	v_mul_f32_e32 v30, v25, v49
	v_add_f32_e32 v15, v15, v29
	v_mul_f32_e32 v29, v24, v49
	v_fmac_f32_e32 v26, v25, v46
	v_add_f32_e32 v3, v3, v28
	v_fma_f32 v24, v24, v48, -v30
	v_mul_f32_e32 v28, v33, v47
	v_fmac_f32_e32 v29, v25, v48
	v_add_f32_e32 v26, v20, v26
	v_mul_f32_e32 v20, v32, v47
	v_add_f32_e32 v24, v21, v24
	v_fma_f32 v21, v32, v46, -v28
	v_mul_f32_e32 v25, v33, v49
	v_add_f32_e32 v28, v22, v29
	v_fmac_f32_e32 v20, v33, v46
	v_mul_f32_e32 v29, v32, v49
	v_add_f32_e32 v30, v23, v21
	v_fma_f32 v21, v32, v48, -v25
	s_waitcnt lgkmcnt(0)
	v_mul_f32_e32 v22, v35, v17
	v_add_f32_e32 v25, v27, v20
	v_fmac_f32_e32 v29, v33, v48
	v_mul_f32_e32 v27, v34, v17
	v_add_f32_e32 v14, v14, v21
	v_fma_f32 v31, v34, v16, -v22
	v_mul_f32_e32 v32, v35, v19
	ds_read2_b64 v[20:23], v9 offset0:96 offset1:112
	v_fmac_f32_e32 v27, v35, v16
	v_add_f32_e32 v29, v15, v29
	v_add_f32_e32 v3, v3, v31
	v_mul_f32_e32 v15, v34, v19
	v_fma_f32 v31, v34, v18, -v32
	v_add_f32_e32 v26, v26, v27
	v_mul_f32_e32 v27, v51, v17
	v_mul_f32_e32 v17, v50, v17
	v_fmac_f32_e32 v15, v35, v18
	v_add_f32_e32 v24, v24, v31
	v_mul_f32_e32 v31, v51, v19
	v_mul_f32_e32 v19, v50, v19
	v_fmac_f32_e32 v17, v51, v16
	v_add_f32_e32 v28, v28, v15
	v_fma_f32 v27, v50, v16, -v27
	v_fma_f32 v15, v50, v18, -v31
	v_fmac_f32_e32 v19, v51, v18
	v_add_f32_e32 v31, v25, v17
	s_waitcnt lgkmcnt(0)
	v_mul_f32_e32 v18, v37, v21
	v_add_f32_e32 v32, v14, v15
	ds_read2_b64 v[14:17], v9 offset0:128 offset1:144
	v_add_f32_e32 v30, v30, v27
	v_mul_f32_e32 v25, v36, v21
	v_fma_f32 v18, v36, v20, -v18
	v_mul_f32_e32 v27, v37, v23
	v_add_f32_e32 v29, v29, v19
	v_mul_f32_e32 v19, v36, v23
	v_fmac_f32_e32 v25, v37, v20
	v_add_f32_e32 v3, v3, v18
	v_mul_f32_e32 v18, v53, v21
	v_fma_f32 v27, v36, v22, -v27
	v_fmac_f32_e32 v19, v37, v22
	v_mul_f32_e32 v21, v52, v21
	v_mul_f32_e32 v35, v53, v23
	v_fma_f32 v18, v52, v20, -v18
	v_add_f32_e32 v33, v26, v25
	v_add_f32_e32 v34, v24, v27
	ds_read_b128 v[24:27], v10 offset:1056
	v_add_f32_e32 v36, v28, v19
	v_fmac_f32_e32 v21, v53, v20
	v_mul_f32_e32 v23, v52, v23
	v_fma_f32 v19, v52, v22, -v35
	v_add_f32_e32 v35, v30, v18
	s_waitcnt lgkmcnt(1)
	v_mul_f32_e32 v18, v39, v15
	v_add_f32_e32 v37, v31, v21
	v_fmac_f32_e32 v23, v53, v22
	v_add_f32_e32 v22, v32, v19
	v_mul_f32_e32 v32, v38, v15
	v_fma_f32 v28, v38, v14, -v18
	ds_read2_b64 v[18:21], v9 offset0:160 offset1:176
	v_mul_f32_e32 v30, v39, v17
	v_mul_f32_e32 v46, v38, v17
	v_fmac_f32_e32 v32, v39, v14
	v_add_f32_e32 v23, v29, v23
	v_add_f32_e32 v3, v3, v28
	v_fma_f32 v38, v38, v16, -v30
	ds_read_b128 v[28:31], v10 offset:1072
	s_waitcnt lgkmcnt(2)
	v_mul_f32_e32 v47, v25, v15
	v_add_f32_e32 v32, v33, v32
	v_mul_f32_e32 v15, v24, v15
	v_add_f32_e32 v33, v34, v38
	v_mul_f32_e32 v38, v25, v17
	v_fmac_f32_e32 v46, v39, v16
	v_fma_f32 v34, v24, v14, -v47
	v_fmac_f32_e32 v15, v25, v14
	v_mul_f32_e32 v39, v24, v17
	v_fma_f32 v14, v24, v16, -v38
	v_add_f32_e32 v36, v36, v46
	v_add_f32_e32 v34, v35, v34
	s_waitcnt lgkmcnt(1)
	v_mul_f32_e32 v17, v41, v19
	v_add_f32_e32 v24, v37, v15
	v_fmac_f32_e32 v39, v25, v16
	v_mul_f32_e32 v25, v40, v19
	v_add_f32_e32 v22, v22, v14
	v_fma_f32 v35, v40, v18, -v17
	ds_read2_b64 v[14:17], v9 offset0:192 offset1:208
	v_mul_f32_e32 v37, v41, v21
	v_fmac_f32_e32 v25, v41, v18
	v_add_f32_e32 v38, v23, v39
	v_add_f32_e32 v3, v3, v35
	v_mul_f32_e32 v23, v40, v21
	v_fma_f32 v35, v40, v20, -v37
	v_add_f32_e32 v32, v32, v25
	v_mul_f32_e32 v25, v27, v19
	v_mul_f32_e32 v19, v26, v19
	v_fmac_f32_e32 v23, v41, v20
	v_add_f32_e32 v33, v33, v35
	v_mul_f32_e32 v35, v27, v21
	v_fma_f32 v25, v26, v18, -v25
	v_fmac_f32_e32 v19, v27, v18
	v_add_f32_e32 v18, v36, v23
	v_mul_f32_e32 v21, v26, v21
	v_fma_f32 v23, v26, v20, -v35
	v_add_f32_e32 v26, v34, v25
	v_add_f32_e32 v19, v24, v19
	s_waitcnt lgkmcnt(0)
	v_mul_f32_e32 v34, v43, v15
	v_fmac_f32_e32 v21, v27, v20
	v_add_f32_e32 v20, v22, v23
	ds_read2_b64 v[22:25], v9 offset0:224 offset1:240
	v_mul_f32_e32 v27, v42, v15
	v_fma_f32 v34, v42, v14, -v34
	v_mul_f32_e32 v35, v43, v17
	v_mul_f32_e32 v36, v42, v17
	v_add_f32_e32 v21, v38, v21
	v_fmac_f32_e32 v27, v43, v14
	v_add_f32_e32 v3, v3, v34
	v_mul_f32_e32 v34, v29, v15
	v_fma_f32 v35, v42, v16, -v35
	v_fmac_f32_e32 v36, v43, v16
	v_add_f32_e32 v27, v32, v27
	v_mul_f32_e32 v15, v28, v15
	v_fma_f32 v32, v28, v14, -v34
	v_mul_f32_e32 v34, v29, v17
	v_add_f32_e32 v33, v33, v35
	v_add_f32_e32 v35, v18, v36
	v_fmac_f32_e32 v15, v29, v14
	v_add_f32_e32 v14, v26, v32
	v_mul_f32_e32 v17, v28, v17
	v_fma_f32 v18, v28, v16, -v34
	s_waitcnt lgkmcnt(0)
	v_mul_f32_e32 v26, v45, v23
	v_mul_f32_e32 v28, v44, v23
	v_add_f32_e32 v15, v19, v15
	v_fmac_f32_e32 v17, v29, v16
	v_add_f32_e32 v29, v20, v18
	v_fma_f32 v16, v44, v22, -v26
	v_mul_f32_e32 v18, v45, v25
	v_mul_f32_e32 v19, v44, v25
	v_add_f32_e32 v26, v21, v17
	v_mul_f32_e32 v17, v30, v23
	v_add_f32_e32 v20, v3, v16
	v_fma_f32 v3, v44, v24, -v18
	v_mul_f32_e32 v16, v31, v23
	v_mul_f32_e32 v23, v31, v25
	;; [unrolled: 1-line block ×3, first 2 shown]
	v_fmac_f32_e32 v28, v45, v22
	v_fmac_f32_e32 v19, v45, v24
	v_add_f32_e32 v18, v33, v3
	v_fma_f32 v3, v30, v22, -v16
	v_fmac_f32_e32 v17, v31, v22
	v_fma_f32 v22, v30, v24, -v23
	v_fmac_f32_e32 v25, v31, v24
	v_add_f32_e32 v21, v27, v28
	v_add_f32_e32 v19, v35, v19
	;; [unrolled: 1-line block ×6, first 2 shown]
	s_barrier
	buffer_gl0_inv
	s_cbranch_scc0 .LBB76_16
.LBB76_8:                               ; =>This Inner Loop Header: Depth=1
	v_add_nc_u32_e32 v3, s26, v11
	v_cmp_le_i32_e32 vcc_lo, s21, v3
	s_or_b32 s6, s1, vcc_lo
	s_and_saveexec_b32 s7, s6
	s_xor_b32 s6, exec_lo, s7
; %bb.9:                                ;   in Loop: Header=BB76_8 Depth=1
	v_mov_b32_e32 v3, v2
	ds_write_b64 v12, v[2:3]
; %bb.10:                               ;   in Loop: Header=BB76_8 Depth=1
	s_andn2_saveexec_b32 s6, s6
	s_cbranch_execz .LBB76_12
; %bb.11:                               ;   in Loop: Header=BB76_8 Depth=1
	global_load_dwordx2 v[22:23], v[4:5], off
	s_waitcnt vmcnt(0)
	ds_write_b64 v12, v[22:23]
.LBB76_12:                              ;   in Loop: Header=BB76_8 Depth=1
	s_or_b32 exec_lo, exec_lo, s6
	v_add_nc_u32_e32 v3, s26, v8
	v_cmp_le_i32_e32 vcc_lo, s21, v3
	s_or_b32 s6, vcc_lo, s0
	s_and_saveexec_b32 s7, s6
	s_xor_b32 s6, exec_lo, s7
; %bb.13:                               ;   in Loop: Header=BB76_8 Depth=1
	v_mov_b32_e32 v3, v2
	ds_write_b64 v13, v[2:3]
; %bb.14:                               ;   in Loop: Header=BB76_8 Depth=1
	s_andn2_saveexec_b32 s6, s6
	s_cbranch_execz .LBB76_7
; %bb.15:                               ;   in Loop: Header=BB76_8 Depth=1
	global_load_dwordx2 v[22:23], v[6:7], off
	s_waitcnt vmcnt(0)
	ds_write_b64 v13, v[22:23]
	s_branch .LBB76_7
.LBB76_16:
	s_clause 0x1
	s_load_dword s2, s[4:5], 0x50
	s_load_dwordx2 s[4:5], s[4:5], 0x58
	v_add_nc_u32_e32 v9, s25, v1
	v_add_nc_u32_e32 v0, s24, v0
	v_cmp_neq_f32_e64 s6, s10, 0
	v_cmp_gt_i32_e64 s0, s20, v9
	v_cmp_le_i32_e32 vcc_lo, v0, v9
	s_waitcnt lgkmcnt(0)
	v_mad_i64_i32 v[1:2], null, v9, s2, 0
	s_mul_i32 s1, s5, s8
	s_mul_hi_u32 s3, s4, s8
	s_mul_i32 s4, s4, s8
	s_add_i32 s5, s3, s1
	s_lshl_b64 s[4:5], s[4:5], 3
	v_lshlrev_b64 v[2:3], 3, v[1:2]
	s_add_u32 s3, s22, s4
	s_addc_u32 s4, s23, s5
	s_xor_b32 s5, s9, -1
	v_ashrrev_i32_e32 v1, 31, v0
	s_or_b32 s5, s6, s5
	v_add_co_u32 v6, s1, s3, v2
	v_add_co_ci_u32_e64 v7, null, s4, v3, s1
	v_cndmask_b32_e64 v8, 0, 1, s5
	s_and_b32 s6, s0, vcc_lo
	s_and_saveexec_b32 s1, s6
	s_cbranch_execz .LBB76_20
; %bb.17:
	v_lshlrev_b64 v[4:5], 3, v[0:1]
	v_mul_f32_e32 v2, s15, v21
	v_mul_f32_e32 v3, s14, v21
	v_fma_f32 v2, v20, s14, -v2
	v_add_co_u32 v4, vcc_lo, v6, v4
	v_fmac_f32_e32 v3, s15, v20
	v_add_co_ci_u32_e64 v5, null, v7, v5, vcc_lo
	s_andn2_b32 vcc_lo, exec_lo, s5
	s_cbranch_vccnz .LBB76_19
; %bb.18:
	global_load_dwordx2 v[10:11], v[4:5], off
	s_waitcnt vmcnt(0)
	v_mul_f32_e32 v12, s11, v11
	v_mul_f32_e32 v11, s10, v11
	v_fma_f32 v12, v10, s10, -v12
	v_fmac_f32_e32 v11, s11, v10
	v_add_f32_e32 v2, v2, v12
	v_add_f32_e32 v3, v3, v11
.LBB76_19:
	global_store_dwordx2 v[4:5], v[2:3], off
.LBB76_20:
	s_or_b32 exec_lo, exec_lo, s1
	v_add_nc_u32_e32 v2, 16, v0
	v_cmp_le_i32_e32 vcc_lo, v2, v9
	v_ashrrev_i32_e32 v3, 31, v2
	s_and_b32 s0, s0, vcc_lo
	s_and_saveexec_b32 s1, s0
	s_cbranch_execz .LBB76_24
; %bb.21:
	v_lshlrev_b64 v[10:11], 3, v[2:3]
	v_mul_f32_e32 v4, s15, v19
	v_mul_f32_e32 v5, s14, v19
	v_cmp_ne_u32_e32 vcc_lo, 1, v8
	v_fma_f32 v4, v18, s14, -v4
	v_add_co_u32 v6, s0, v6, v10
	v_fmac_f32_e32 v5, s15, v18
	v_add_co_ci_u32_e64 v7, null, v7, v11, s0
	s_cbranch_vccnz .LBB76_23
; %bb.22:
	global_load_dwordx2 v[10:11], v[6:7], off
	s_waitcnt vmcnt(0)
	v_mul_f32_e32 v12, s11, v11
	v_mul_f32_e32 v11, s10, v11
	v_fma_f32 v12, v10, s10, -v12
	v_fmac_f32_e32 v11, s11, v10
	v_add_f32_e32 v4, v4, v12
	v_add_f32_e32 v5, v5, v11
.LBB76_23:
	global_store_dwordx2 v[6:7], v[4:5], off
.LBB76_24:
	s_or_b32 exec_lo, exec_lo, s1
	v_add_nc_u32_e32 v9, 16, v9
	v_mad_i64_i32 v[4:5], null, v9, s2, 0
	v_cmp_gt_i32_e64 s0, s20, v9
	v_cmp_le_i32_e32 vcc_lo, v0, v9
	v_lshlrev_b64 v[4:5], 3, v[4:5]
	v_add_co_u32 v6, s1, s3, v4
	v_add_co_ci_u32_e64 v7, null, s4, v5, s1
	s_and_b32 s1, s0, vcc_lo
	s_and_saveexec_b32 s2, s1
	s_cbranch_execz .LBB76_28
; %bb.25:
	v_lshlrev_b64 v[0:1], 3, v[0:1]
	v_mul_f32_e32 v4, s15, v17
	v_mul_f32_e32 v5, s14, v17
	v_cmp_ne_u32_e32 vcc_lo, 1, v8
	v_fma_f32 v4, v16, s14, -v4
	v_add_co_u32 v0, s1, v6, v0
	v_fmac_f32_e32 v5, s15, v16
	v_add_co_ci_u32_e64 v1, null, v7, v1, s1
	s_cbranch_vccnz .LBB76_27
; %bb.26:
	global_load_dwordx2 v[10:11], v[0:1], off
	s_waitcnt vmcnt(0)
	v_mul_f32_e32 v12, s11, v11
	v_mul_f32_e32 v11, s10, v11
	v_fma_f32 v12, v10, s10, -v12
	v_fmac_f32_e32 v11, s11, v10
	v_add_f32_e32 v4, v4, v12
	v_add_f32_e32 v5, v5, v11
.LBB76_27:
	global_store_dwordx2 v[0:1], v[4:5], off
.LBB76_28:
	s_or_b32 exec_lo, exec_lo, s2
	v_cmp_le_i32_e32 vcc_lo, v2, v9
	s_and_b32 s0, s0, vcc_lo
	s_and_saveexec_b32 s1, s0
	s_cbranch_execz .LBB76_32
; %bb.29:
	v_lshlrev_b64 v[2:3], 3, v[2:3]
	v_mul_f32_e32 v0, s15, v15
	v_mul_f32_e32 v1, s14, v15
	v_cmp_ne_u32_e32 vcc_lo, 1, v8
	v_fma_f32 v0, v14, s14, -v0
	v_add_co_u32 v2, s0, v6, v2
	v_fmac_f32_e32 v1, s15, v14
	v_add_co_ci_u32_e64 v3, null, v7, v3, s0
	s_cbranch_vccnz .LBB76_31
; %bb.30:
	global_load_dwordx2 v[4:5], v[2:3], off
	s_waitcnt vmcnt(0)
	v_mul_f32_e32 v6, s11, v5
	v_mul_f32_e32 v5, s10, v5
	v_fma_f32 v6, v4, s10, -v6
	v_fmac_f32_e32 v5, s11, v4
	v_add_f32_e32 v0, v0, v6
	v_add_f32_e32 v1, v1, v5
.LBB76_31:
	global_store_dwordx2 v[2:3], v[0:1], off
.LBB76_32:
	s_endpgm
	.section	.rodata,"a",@progbits
	.p2align	6, 0x0
	.amdhsa_kernel _ZL29rocblas_internal_gemmt_kernelIiLi16ELi32ELi8ELc84ELc84ELc85ELb0ELb0E19rocblas_complex_numIfEPKS1_S3_PS1_EviT_T9_T10_S5_lS7_S5_lS6_T11_S5_li
		.amdhsa_group_segment_fixed_size 4096
		.amdhsa_private_segment_fixed_size 0
		.amdhsa_kernarg_size 100
		.amdhsa_user_sgpr_count 6
		.amdhsa_user_sgpr_private_segment_buffer 1
		.amdhsa_user_sgpr_dispatch_ptr 0
		.amdhsa_user_sgpr_queue_ptr 0
		.amdhsa_user_sgpr_kernarg_segment_ptr 1
		.amdhsa_user_sgpr_dispatch_id 0
		.amdhsa_user_sgpr_flat_scratch_init 0
		.amdhsa_user_sgpr_private_segment_size 0
		.amdhsa_wavefront_size32 1
		.amdhsa_uses_dynamic_stack 0
		.amdhsa_system_sgpr_private_segment_wavefront_offset 0
		.amdhsa_system_sgpr_workgroup_id_x 1
		.amdhsa_system_sgpr_workgroup_id_y 1
		.amdhsa_system_sgpr_workgroup_id_z 1
		.amdhsa_system_sgpr_workgroup_info 0
		.amdhsa_system_vgpr_workitem_id 1
		.amdhsa_next_free_vgpr 59
		.amdhsa_next_free_sgpr 27
		.amdhsa_reserve_vcc 1
		.amdhsa_reserve_flat_scratch 0
		.amdhsa_float_round_mode_32 0
		.amdhsa_float_round_mode_16_64 0
		.amdhsa_float_denorm_mode_32 3
		.amdhsa_float_denorm_mode_16_64 3
		.amdhsa_dx10_clamp 1
		.amdhsa_ieee_mode 1
		.amdhsa_fp16_overflow 0
		.amdhsa_workgroup_processor_mode 1
		.amdhsa_memory_ordered 1
		.amdhsa_forward_progress 1
		.amdhsa_shared_vgpr_count 0
		.amdhsa_exception_fp_ieee_invalid_op 0
		.amdhsa_exception_fp_denorm_src 0
		.amdhsa_exception_fp_ieee_div_zero 0
		.amdhsa_exception_fp_ieee_overflow 0
		.amdhsa_exception_fp_ieee_underflow 0
		.amdhsa_exception_fp_ieee_inexact 0
		.amdhsa_exception_int_div_zero 0
	.end_amdhsa_kernel
	.section	.text._ZL29rocblas_internal_gemmt_kernelIiLi16ELi32ELi8ELc84ELc84ELc85ELb0ELb0E19rocblas_complex_numIfEPKS1_S3_PS1_EviT_T9_T10_S5_lS7_S5_lS6_T11_S5_li,"axG",@progbits,_ZL29rocblas_internal_gemmt_kernelIiLi16ELi32ELi8ELc84ELc84ELc85ELb0ELb0E19rocblas_complex_numIfEPKS1_S3_PS1_EviT_T9_T10_S5_lS7_S5_lS6_T11_S5_li,comdat
.Lfunc_end76:
	.size	_ZL29rocblas_internal_gemmt_kernelIiLi16ELi32ELi8ELc84ELc84ELc85ELb0ELb0E19rocblas_complex_numIfEPKS1_S3_PS1_EviT_T9_T10_S5_lS7_S5_lS6_T11_S5_li, .Lfunc_end76-_ZL29rocblas_internal_gemmt_kernelIiLi16ELi32ELi8ELc84ELc84ELc85ELb0ELb0E19rocblas_complex_numIfEPKS1_S3_PS1_EviT_T9_T10_S5_lS7_S5_lS6_T11_S5_li
                                        ; -- End function
	.set _ZL29rocblas_internal_gemmt_kernelIiLi16ELi32ELi8ELc84ELc84ELc85ELb0ELb0E19rocblas_complex_numIfEPKS1_S3_PS1_EviT_T9_T10_S5_lS7_S5_lS6_T11_S5_li.num_vgpr, 59
	.set _ZL29rocblas_internal_gemmt_kernelIiLi16ELi32ELi8ELc84ELc84ELc85ELb0ELb0E19rocblas_complex_numIfEPKS1_S3_PS1_EviT_T9_T10_S5_lS7_S5_lS6_T11_S5_li.num_agpr, 0
	.set _ZL29rocblas_internal_gemmt_kernelIiLi16ELi32ELi8ELc84ELc84ELc85ELb0ELb0E19rocblas_complex_numIfEPKS1_S3_PS1_EviT_T9_T10_S5_lS7_S5_lS6_T11_S5_li.numbered_sgpr, 27
	.set _ZL29rocblas_internal_gemmt_kernelIiLi16ELi32ELi8ELc84ELc84ELc85ELb0ELb0E19rocblas_complex_numIfEPKS1_S3_PS1_EviT_T9_T10_S5_lS7_S5_lS6_T11_S5_li.num_named_barrier, 0
	.set _ZL29rocblas_internal_gemmt_kernelIiLi16ELi32ELi8ELc84ELc84ELc85ELb0ELb0E19rocblas_complex_numIfEPKS1_S3_PS1_EviT_T9_T10_S5_lS7_S5_lS6_T11_S5_li.private_seg_size, 0
	.set _ZL29rocblas_internal_gemmt_kernelIiLi16ELi32ELi8ELc84ELc84ELc85ELb0ELb0E19rocblas_complex_numIfEPKS1_S3_PS1_EviT_T9_T10_S5_lS7_S5_lS6_T11_S5_li.uses_vcc, 1
	.set _ZL29rocblas_internal_gemmt_kernelIiLi16ELi32ELi8ELc84ELc84ELc85ELb0ELb0E19rocblas_complex_numIfEPKS1_S3_PS1_EviT_T9_T10_S5_lS7_S5_lS6_T11_S5_li.uses_flat_scratch, 0
	.set _ZL29rocblas_internal_gemmt_kernelIiLi16ELi32ELi8ELc84ELc84ELc85ELb0ELb0E19rocblas_complex_numIfEPKS1_S3_PS1_EviT_T9_T10_S5_lS7_S5_lS6_T11_S5_li.has_dyn_sized_stack, 0
	.set _ZL29rocblas_internal_gemmt_kernelIiLi16ELi32ELi8ELc84ELc84ELc85ELb0ELb0E19rocblas_complex_numIfEPKS1_S3_PS1_EviT_T9_T10_S5_lS7_S5_lS6_T11_S5_li.has_recursion, 0
	.set _ZL29rocblas_internal_gemmt_kernelIiLi16ELi32ELi8ELc84ELc84ELc85ELb0ELb0E19rocblas_complex_numIfEPKS1_S3_PS1_EviT_T9_T10_S5_lS7_S5_lS6_T11_S5_li.has_indirect_call, 0
	.section	.AMDGPU.csdata,"",@progbits
; Kernel info:
; codeLenInByte = 2524
; TotalNumSgprs: 29
; NumVgprs: 59
; ScratchSize: 0
; MemoryBound: 1
; FloatMode: 240
; IeeeMode: 1
; LDSByteSize: 4096 bytes/workgroup (compile time only)
; SGPRBlocks: 0
; VGPRBlocks: 7
; NumSGPRsForWavesPerEU: 29
; NumVGPRsForWavesPerEU: 59
; Occupancy: 16
; WaveLimiterHint : 0
; COMPUTE_PGM_RSRC2:SCRATCH_EN: 0
; COMPUTE_PGM_RSRC2:USER_SGPR: 6
; COMPUTE_PGM_RSRC2:TRAP_HANDLER: 0
; COMPUTE_PGM_RSRC2:TGID_X_EN: 1
; COMPUTE_PGM_RSRC2:TGID_Y_EN: 1
; COMPUTE_PGM_RSRC2:TGID_Z_EN: 1
; COMPUTE_PGM_RSRC2:TIDIG_COMP_CNT: 1
	.section	.text._ZL29rocblas_internal_gemmt_kernelIiLi16ELi32ELi8ELc84ELc67ELc85ELb0ELb1E19rocblas_complex_numIfEPKS1_S3_PS1_EviT_T9_T10_S5_lS7_S5_lS6_T11_S5_li,"axG",@progbits,_ZL29rocblas_internal_gemmt_kernelIiLi16ELi32ELi8ELc84ELc67ELc85ELb0ELb1E19rocblas_complex_numIfEPKS1_S3_PS1_EviT_T9_T10_S5_lS7_S5_lS6_T11_S5_li,comdat
	.globl	_ZL29rocblas_internal_gemmt_kernelIiLi16ELi32ELi8ELc84ELc67ELc85ELb0ELb1E19rocblas_complex_numIfEPKS1_S3_PS1_EviT_T9_T10_S5_lS7_S5_lS6_T11_S5_li ; -- Begin function _ZL29rocblas_internal_gemmt_kernelIiLi16ELi32ELi8ELc84ELc67ELc85ELb0ELb1E19rocblas_complex_numIfEPKS1_S3_PS1_EviT_T9_T10_S5_lS7_S5_lS6_T11_S5_li
	.p2align	8
	.type	_ZL29rocblas_internal_gemmt_kernelIiLi16ELi32ELi8ELc84ELc67ELc85ELb0ELb1E19rocblas_complex_numIfEPKS1_S3_PS1_EviT_T9_T10_S5_lS7_S5_lS6_T11_S5_li,@function
_ZL29rocblas_internal_gemmt_kernelIiLi16ELi32ELi8ELc84ELc67ELc85ELb0ELb1E19rocblas_complex_numIfEPKS1_S3_PS1_EviT_T9_T10_S5_lS7_S5_lS6_T11_S5_li: ; @_ZL29rocblas_internal_gemmt_kernelIiLi16ELi32ELi8ELc84ELc67ELc85ELb0ELb1E19rocblas_complex_numIfEPKS1_S3_PS1_EviT_T9_T10_S5_lS7_S5_lS6_T11_S5_li
; %bb.0:
	s_clause 0x1
	s_load_dwordx4 s[12:15], s[4:5], 0x38
	s_load_dwordx4 s[0:3], s[4:5], 0x8
	s_waitcnt lgkmcnt(0)
	s_load_dwordx2 s[10:11], s[14:15], 0x0
	s_load_dwordx2 s[20:21], s[4:5], 0x0
	;; [unrolled: 1-line block ×3, first 2 shown]
	s_waitcnt lgkmcnt(0)
	s_and_b32 s0, s11, 0x7fffffff
	v_cmp_eq_f32_e64 s1, s10, 1.0
	s_cmp_eq_u32 s0, 0
	s_mov_b32 s0, 0
	s_cselect_b32 s9, -1, 0
	s_and_b32 s1, s1, s9
	s_andn2_b32 vcc_lo, exec_lo, s1
	s_mov_b32 s1, -1
	s_cbranch_vccnz .LBB77_4
; %bb.1:
	s_cmp_lg_u32 s21, 0
	s_cbranch_scc0 .LBB77_3
; %bb.2:
	v_cmp_neq_f32_e64 s0, s14, 0
	v_cmp_neq_f32_e64 s1, s15, 0
	s_or_b32 s0, s0, s1
.LBB77_3:
	s_mov_b32 s1, s0
.LBB77_4:
	s_and_b32 vcc_lo, exec_lo, s1
	s_cbranch_vccz .LBB77_32
; %bb.5:
	s_load_dwordx2 s[22:23], s[4:5], 0x48
	v_cmp_eq_f32_e64 s0, s14, 0
	v_cmp_eq_f32_e64 s1, s15, 0
	s_lshl_b32 s24, s6, 5
	s_lshl_b32 s25, s7, 5
	v_mov_b32_e32 v20, 0
	v_mov_b32_e32 v21, 0
	s_and_b32 s0, s0, s1
	s_cmp_lt_i32 s21, 1
	v_mov_b32_e32 v18, 0
	s_cselect_b32 s1, -1, 0
	v_mov_b32_e32 v19, 0
	v_mov_b32_e32 v16, 0
	;; [unrolled: 1-line block ×5, first 2 shown]
	s_or_b32 s0, s0, s1
	s_mov_b32 s26, 0
	s_and_b32 vcc_lo, exec_lo, s0
	s_cbranch_vccnz .LBB77_16
; %bb.6:
	s_load_dword s1, s[4:5], 0x18
	v_lshl_add_u32 v2, v1, 4, v0
	s_clause 0x1
	s_load_dwordx4 s[16:19], s[4:5], 0x20
	s_load_dword s6, s[4:5], 0x30
	v_and_b32_e32 v8, 7, v0
	s_mul_i32 s13, s13, s8
	s_mul_hi_u32 s27, s12, s8
	v_and_b32_e32 v3, 31, v2
	v_lshrrev_b32_e32 v4, 3, v2
	v_lshlrev_b32_e32 v5, 3, v8
	v_lshrrev_b32_e32 v11, 5, v2
	s_add_i32 s13, s27, s13
	v_or_b32_e32 v6, s24, v3
	v_lshlrev_b32_e32 v7, 3, v3
	v_add_nc_u32_e32 v3, s24, v3
	v_add_nc_u32_e32 v2, s25, v4
	v_lshl_or_b32 v13, v4, 6, v5
	v_cmp_gt_i32_e32 vcc_lo, s20, v6
	v_lshl_or_b32 v12, v11, 8, v7
	s_mul_i32 s12, s12, s8
	v_lshlrev_b32_e32 v16, 3, v11
	s_waitcnt lgkmcnt(0)
	v_mad_i64_i32 v[4:5], null, s1, v3, 0
	s_mul_i32 s1, s17, s8
	s_mul_hi_u32 s17, s16, s8
	v_mad_i64_i32 v[6:7], null, s6, v8, 0
	s_mul_i32 s16, s16, s8
	s_add_i32 s17, s17, s1
	v_lshlrev_b64 v[4:5], 3, v[4:5]
	s_lshl_b64 s[16:17], s[16:17], 3
	v_ashrrev_i32_e32 v3, 31, v2
	s_lshl_b64 s[12:13], s[12:13], 3
	v_cmp_gt_i32_e64 s0, s20, v2
	v_lshlrev_b32_e32 v9, 3, v0
	v_add_co_u32 v14, s1, v4, s16
	v_add_co_ci_u32_e64 v15, null, s17, v5, s1
	v_lshlrev_b64 v[4:5], 3, v[6:7]
	v_lshlrev_b64 v[6:7], 3, v[2:3]
	v_lshl_add_u32 v10, v1, 6, 0x800
	v_add_nc_u32_e32 v13, 0x800, v13
	v_mov_b32_e32 v2, 0
	v_mov_b32_e32 v17, 0
	v_add_co_u32 v3, s1, s12, v4
	v_add_co_ci_u32_e64 v4, null, s13, v5, s1
	v_mov_b32_e32 v19, 0
	v_add_co_u32 v3, s1, v3, v6
	v_add_co_ci_u32_e64 v4, null, v4, v7, s1
	v_add_co_u32 v5, s1, v14, v16
	v_add_co_ci_u32_e64 v6, null, 0, v15, s1
	;; [unrolled: 2-line block ×5, first 2 shown]
	v_mov_b32_e32 v15, 0
	v_mov_b32_e32 v14, 0
	;; [unrolled: 1-line block ×6, first 2 shown]
	s_ashr_i32 s7, s6, 31
	s_xor_b32 s1, vcc_lo, -1
	s_lshl_b64 s[2:3], s[6:7], 6
	s_xor_b32 s0, s0, -1
	s_branch .LBB77_8
.LBB77_7:                               ;   in Loop: Header=BB77_8 Depth=1
	s_or_b32 exec_lo, exec_lo, s6
	ds_write_b32 v13, v3 offset:4
	s_waitcnt lgkmcnt(0)
	s_barrier
	buffer_gl0_inv
	ds_read_b128 v[22:25], v10
	ds_read2_b64 v[26:29], v9 offset1:16
	ds_read_b128 v[30:33], v10 offset:1024
	ds_read_b128 v[34:37], v10 offset:16
	;; [unrolled: 1-line block ×4, first 2 shown]
	ds_read2_b64 v[46:49], v9 offset0:32 offset1:48
	ds_read_b128 v[50:53], v10 offset:1040
	v_add_co_u32 v4, vcc_lo, v4, 64
	v_add_co_ci_u32_e64 v5, null, 0, v5, vcc_lo
	v_add_co_u32 v6, vcc_lo, v6, s2
	v_add_co_ci_u32_e64 v7, null, s3, v7, vcc_lo
	s_add_i32 s26, s26, 8
	s_cmp_lt_i32 s26, s21
	s_waitcnt lgkmcnt(6)
	v_mul_f32_e32 v3, v23, v27
	v_mul_f32_e32 v54, v22, v27
	;; [unrolled: 1-line block ×4, first 2 shown]
	s_waitcnt lgkmcnt(5)
	v_mul_f32_e32 v57, v31, v27
	v_mul_f32_e32 v27, v30, v27
	v_mul_f32_e32 v58, v31, v29
	v_fma_f32 v3, v22, v26, -v3
	v_fmac_f32_e32 v54, v23, v26
	v_fma_f32 v22, v22, v28, -v55
	v_fmac_f32_e32 v56, v23, v28
	;; [unrolled: 2-line block ×3, first 2 shown]
	v_mul_f32_e32 v29, v30, v29
	v_fma_f32 v26, v30, v28, -v58
	v_add_f32_e32 v3, v20, v3
	v_add_f32_e32 v20, v21, v54
	;; [unrolled: 1-line block ×6, first 2 shown]
	s_waitcnt lgkmcnt(1)
	v_mul_f32_e32 v30, v25, v47
	ds_read2_b64 v[16:19], v9 offset0:64 offset1:80
	v_fmac_f32_e32 v29, v31, v28
	v_add_f32_e32 v14, v14, v26
	v_mul_f32_e32 v26, v24, v47
	v_fma_f32 v28, v24, v46, -v30
	v_mul_f32_e32 v30, v25, v49
	v_add_f32_e32 v15, v15, v29
	v_mul_f32_e32 v29, v24, v49
	v_fmac_f32_e32 v26, v25, v46
	v_add_f32_e32 v3, v3, v28
	v_fma_f32 v24, v24, v48, -v30
	v_mul_f32_e32 v28, v33, v47
	v_fmac_f32_e32 v29, v25, v48
	v_add_f32_e32 v26, v20, v26
	v_mul_f32_e32 v20, v32, v47
	v_add_f32_e32 v24, v21, v24
	v_fma_f32 v21, v32, v46, -v28
	v_mul_f32_e32 v25, v33, v49
	v_add_f32_e32 v28, v22, v29
	v_fmac_f32_e32 v20, v33, v46
	v_mul_f32_e32 v29, v32, v49
	v_add_f32_e32 v30, v23, v21
	v_fma_f32 v21, v32, v48, -v25
	s_waitcnt lgkmcnt(0)
	v_mul_f32_e32 v22, v35, v17
	v_add_f32_e32 v25, v27, v20
	v_fmac_f32_e32 v29, v33, v48
	v_mul_f32_e32 v27, v34, v17
	v_add_f32_e32 v14, v14, v21
	v_fma_f32 v31, v34, v16, -v22
	v_mul_f32_e32 v32, v35, v19
	ds_read2_b64 v[20:23], v9 offset0:96 offset1:112
	v_fmac_f32_e32 v27, v35, v16
	v_add_f32_e32 v29, v15, v29
	v_add_f32_e32 v3, v3, v31
	v_mul_f32_e32 v15, v34, v19
	v_fma_f32 v31, v34, v18, -v32
	v_add_f32_e32 v26, v26, v27
	v_mul_f32_e32 v27, v51, v17
	v_mul_f32_e32 v17, v50, v17
	v_fmac_f32_e32 v15, v35, v18
	v_add_f32_e32 v24, v24, v31
	v_mul_f32_e32 v31, v51, v19
	v_mul_f32_e32 v19, v50, v19
	v_fmac_f32_e32 v17, v51, v16
	v_add_f32_e32 v28, v28, v15
	v_fma_f32 v27, v50, v16, -v27
	v_fma_f32 v15, v50, v18, -v31
	v_fmac_f32_e32 v19, v51, v18
	v_add_f32_e32 v31, v25, v17
	s_waitcnt lgkmcnt(0)
	v_mul_f32_e32 v18, v37, v21
	v_add_f32_e32 v32, v14, v15
	ds_read2_b64 v[14:17], v9 offset0:128 offset1:144
	v_add_f32_e32 v30, v30, v27
	v_mul_f32_e32 v25, v36, v21
	v_fma_f32 v18, v36, v20, -v18
	v_mul_f32_e32 v27, v37, v23
	v_add_f32_e32 v29, v29, v19
	v_mul_f32_e32 v19, v36, v23
	v_fmac_f32_e32 v25, v37, v20
	v_add_f32_e32 v3, v3, v18
	v_mul_f32_e32 v18, v53, v21
	v_fma_f32 v27, v36, v22, -v27
	v_fmac_f32_e32 v19, v37, v22
	v_mul_f32_e32 v21, v52, v21
	v_mul_f32_e32 v35, v53, v23
	v_fma_f32 v18, v52, v20, -v18
	v_add_f32_e32 v33, v26, v25
	v_add_f32_e32 v34, v24, v27
	ds_read_b128 v[24:27], v10 offset:1056
	v_add_f32_e32 v36, v28, v19
	v_fmac_f32_e32 v21, v53, v20
	v_mul_f32_e32 v23, v52, v23
	v_fma_f32 v19, v52, v22, -v35
	v_add_f32_e32 v35, v30, v18
	s_waitcnt lgkmcnt(1)
	v_mul_f32_e32 v18, v39, v15
	v_add_f32_e32 v37, v31, v21
	v_fmac_f32_e32 v23, v53, v22
	v_add_f32_e32 v22, v32, v19
	v_mul_f32_e32 v32, v38, v15
	v_fma_f32 v28, v38, v14, -v18
	ds_read2_b64 v[18:21], v9 offset0:160 offset1:176
	v_mul_f32_e32 v30, v39, v17
	v_mul_f32_e32 v46, v38, v17
	v_fmac_f32_e32 v32, v39, v14
	v_add_f32_e32 v23, v29, v23
	v_add_f32_e32 v3, v3, v28
	v_fma_f32 v38, v38, v16, -v30
	ds_read_b128 v[28:31], v10 offset:1072
	s_waitcnt lgkmcnt(2)
	v_mul_f32_e32 v47, v25, v15
	v_add_f32_e32 v32, v33, v32
	v_mul_f32_e32 v15, v24, v15
	v_add_f32_e32 v33, v34, v38
	v_mul_f32_e32 v38, v25, v17
	v_fmac_f32_e32 v46, v39, v16
	v_fma_f32 v34, v24, v14, -v47
	v_fmac_f32_e32 v15, v25, v14
	v_mul_f32_e32 v39, v24, v17
	v_fma_f32 v14, v24, v16, -v38
	v_add_f32_e32 v36, v36, v46
	v_add_f32_e32 v34, v35, v34
	s_waitcnt lgkmcnt(1)
	v_mul_f32_e32 v17, v41, v19
	v_add_f32_e32 v24, v37, v15
	v_fmac_f32_e32 v39, v25, v16
	v_mul_f32_e32 v25, v40, v19
	v_add_f32_e32 v22, v22, v14
	v_fma_f32 v35, v40, v18, -v17
	ds_read2_b64 v[14:17], v9 offset0:192 offset1:208
	v_mul_f32_e32 v37, v41, v21
	v_fmac_f32_e32 v25, v41, v18
	v_add_f32_e32 v38, v23, v39
	v_add_f32_e32 v3, v3, v35
	v_mul_f32_e32 v23, v40, v21
	v_fma_f32 v35, v40, v20, -v37
	v_add_f32_e32 v32, v32, v25
	v_mul_f32_e32 v25, v27, v19
	v_mul_f32_e32 v19, v26, v19
	v_fmac_f32_e32 v23, v41, v20
	v_add_f32_e32 v33, v33, v35
	v_mul_f32_e32 v35, v27, v21
	v_fma_f32 v25, v26, v18, -v25
	v_fmac_f32_e32 v19, v27, v18
	v_add_f32_e32 v18, v36, v23
	v_mul_f32_e32 v21, v26, v21
	v_fma_f32 v23, v26, v20, -v35
	v_add_f32_e32 v26, v34, v25
	v_add_f32_e32 v19, v24, v19
	s_waitcnt lgkmcnt(0)
	v_mul_f32_e32 v34, v43, v15
	v_fmac_f32_e32 v21, v27, v20
	v_add_f32_e32 v20, v22, v23
	ds_read2_b64 v[22:25], v9 offset0:224 offset1:240
	v_mul_f32_e32 v27, v42, v15
	v_fma_f32 v34, v42, v14, -v34
	v_mul_f32_e32 v35, v43, v17
	v_mul_f32_e32 v36, v42, v17
	v_add_f32_e32 v21, v38, v21
	v_fmac_f32_e32 v27, v43, v14
	v_add_f32_e32 v3, v3, v34
	v_mul_f32_e32 v34, v29, v15
	v_fma_f32 v35, v42, v16, -v35
	v_fmac_f32_e32 v36, v43, v16
	v_add_f32_e32 v27, v32, v27
	v_mul_f32_e32 v15, v28, v15
	v_fma_f32 v32, v28, v14, -v34
	v_mul_f32_e32 v34, v29, v17
	v_add_f32_e32 v33, v33, v35
	v_add_f32_e32 v35, v18, v36
	v_fmac_f32_e32 v15, v29, v14
	v_add_f32_e32 v14, v26, v32
	v_mul_f32_e32 v17, v28, v17
	v_fma_f32 v18, v28, v16, -v34
	s_waitcnt lgkmcnt(0)
	v_mul_f32_e32 v26, v45, v23
	v_mul_f32_e32 v28, v44, v23
	v_add_f32_e32 v15, v19, v15
	v_fmac_f32_e32 v17, v29, v16
	v_add_f32_e32 v29, v20, v18
	v_fma_f32 v16, v44, v22, -v26
	v_mul_f32_e32 v18, v45, v25
	v_mul_f32_e32 v19, v44, v25
	v_add_f32_e32 v26, v21, v17
	v_mul_f32_e32 v17, v30, v23
	v_add_f32_e32 v20, v3, v16
	v_fma_f32 v3, v44, v24, -v18
	v_mul_f32_e32 v16, v31, v23
	v_mul_f32_e32 v23, v31, v25
	;; [unrolled: 1-line block ×3, first 2 shown]
	v_fmac_f32_e32 v28, v45, v22
	v_fmac_f32_e32 v19, v45, v24
	v_add_f32_e32 v18, v33, v3
	v_fma_f32 v3, v30, v22, -v16
	v_fmac_f32_e32 v17, v31, v22
	v_fma_f32 v22, v30, v24, -v23
	v_fmac_f32_e32 v25, v31, v24
	v_add_f32_e32 v21, v27, v28
	v_add_f32_e32 v19, v35, v19
	;; [unrolled: 1-line block ×6, first 2 shown]
	s_barrier
	buffer_gl0_inv
	s_cbranch_scc0 .LBB77_16
.LBB77_8:                               ; =>This Inner Loop Header: Depth=1
	v_add_nc_u32_e32 v3, s26, v11
	v_cmp_le_i32_e32 vcc_lo, s21, v3
	s_or_b32 s6, s1, vcc_lo
	s_and_saveexec_b32 s7, s6
	s_xor_b32 s6, exec_lo, s7
; %bb.9:                                ;   in Loop: Header=BB77_8 Depth=1
	v_mov_b32_e32 v3, v2
	ds_write_b64 v12, v[2:3]
; %bb.10:                               ;   in Loop: Header=BB77_8 Depth=1
	s_andn2_saveexec_b32 s6, s6
	s_cbranch_execz .LBB77_12
; %bb.11:                               ;   in Loop: Header=BB77_8 Depth=1
	global_load_dwordx2 v[22:23], v[4:5], off
	s_waitcnt vmcnt(0)
	ds_write_b64 v12, v[22:23]
.LBB77_12:                              ;   in Loop: Header=BB77_8 Depth=1
	s_or_b32 exec_lo, exec_lo, s6
	v_add_nc_u32_e32 v3, s26, v8
	v_cmp_le_i32_e32 vcc_lo, s21, v3
	s_or_b32 s6, vcc_lo, s0
	s_and_saveexec_b32 s7, s6
	s_xor_b32 s6, exec_lo, s7
; %bb.13:                               ;   in Loop: Header=BB77_8 Depth=1
	ds_write_b32 v13, v2
; %bb.14:                               ;   in Loop: Header=BB77_8 Depth=1
	s_or_saveexec_b32 s6, s6
	v_mov_b32_e32 v3, 0
	s_xor_b32 exec_lo, exec_lo, s6
	s_cbranch_execz .LBB77_7
; %bb.15:                               ;   in Loop: Header=BB77_8 Depth=1
	global_load_dwordx2 v[22:23], v[6:7], off offset:-4
	s_waitcnt vmcnt(0)
	v_xor_b32_e32 v3, 0x80000000, v23
	ds_write_b32 v13, v22
	s_branch .LBB77_7
.LBB77_16:
	s_clause 0x1
	s_load_dword s2, s[4:5], 0x50
	s_load_dwordx2 s[4:5], s[4:5], 0x58
	v_add_nc_u32_e32 v9, s25, v1
	v_add_nc_u32_e32 v0, s24, v0
	v_cmp_neq_f32_e64 s6, s10, 0
	v_cmp_gt_i32_e64 s0, s20, v9
	v_cmp_le_i32_e32 vcc_lo, v0, v9
	s_waitcnt lgkmcnt(0)
	v_mad_i64_i32 v[1:2], null, v9, s2, 0
	s_mul_i32 s1, s5, s8
	s_mul_hi_u32 s3, s4, s8
	s_mul_i32 s4, s4, s8
	s_add_i32 s5, s3, s1
	s_lshl_b64 s[4:5], s[4:5], 3
	v_lshlrev_b64 v[2:3], 3, v[1:2]
	s_add_u32 s3, s22, s4
	s_addc_u32 s4, s23, s5
	s_xor_b32 s5, s9, -1
	v_ashrrev_i32_e32 v1, 31, v0
	s_or_b32 s5, s6, s5
	v_add_co_u32 v6, s1, s3, v2
	v_add_co_ci_u32_e64 v7, null, s4, v3, s1
	v_cndmask_b32_e64 v8, 0, 1, s5
	s_and_b32 s6, s0, vcc_lo
	s_and_saveexec_b32 s1, s6
	s_cbranch_execz .LBB77_20
; %bb.17:
	v_lshlrev_b64 v[4:5], 3, v[0:1]
	v_mul_f32_e32 v2, s15, v21
	v_mul_f32_e32 v3, s14, v21
	v_fma_f32 v2, v20, s14, -v2
	v_add_co_u32 v4, vcc_lo, v6, v4
	v_fmac_f32_e32 v3, s15, v20
	v_add_co_ci_u32_e64 v5, null, v7, v5, vcc_lo
	s_andn2_b32 vcc_lo, exec_lo, s5
	s_cbranch_vccnz .LBB77_19
; %bb.18:
	global_load_dwordx2 v[10:11], v[4:5], off
	s_waitcnt vmcnt(0)
	v_mul_f32_e32 v12, s11, v11
	v_mul_f32_e32 v11, s10, v11
	v_fma_f32 v12, v10, s10, -v12
	v_fmac_f32_e32 v11, s11, v10
	v_add_f32_e32 v2, v2, v12
	v_add_f32_e32 v3, v3, v11
.LBB77_19:
	global_store_dwordx2 v[4:5], v[2:3], off
.LBB77_20:
	s_or_b32 exec_lo, exec_lo, s1
	v_add_nc_u32_e32 v2, 16, v0
	v_cmp_le_i32_e32 vcc_lo, v2, v9
	v_ashrrev_i32_e32 v3, 31, v2
	s_and_b32 s0, s0, vcc_lo
	s_and_saveexec_b32 s1, s0
	s_cbranch_execz .LBB77_24
; %bb.21:
	v_lshlrev_b64 v[10:11], 3, v[2:3]
	v_mul_f32_e32 v4, s15, v19
	v_mul_f32_e32 v5, s14, v19
	v_cmp_ne_u32_e32 vcc_lo, 1, v8
	v_fma_f32 v4, v18, s14, -v4
	v_add_co_u32 v6, s0, v6, v10
	v_fmac_f32_e32 v5, s15, v18
	v_add_co_ci_u32_e64 v7, null, v7, v11, s0
	s_cbranch_vccnz .LBB77_23
; %bb.22:
	global_load_dwordx2 v[10:11], v[6:7], off
	s_waitcnt vmcnt(0)
	v_mul_f32_e32 v12, s11, v11
	v_mul_f32_e32 v11, s10, v11
	v_fma_f32 v12, v10, s10, -v12
	v_fmac_f32_e32 v11, s11, v10
	v_add_f32_e32 v4, v4, v12
	v_add_f32_e32 v5, v5, v11
.LBB77_23:
	global_store_dwordx2 v[6:7], v[4:5], off
.LBB77_24:
	s_or_b32 exec_lo, exec_lo, s1
	v_add_nc_u32_e32 v9, 16, v9
	v_mad_i64_i32 v[4:5], null, v9, s2, 0
	v_cmp_gt_i32_e64 s0, s20, v9
	v_cmp_le_i32_e32 vcc_lo, v0, v9
	v_lshlrev_b64 v[4:5], 3, v[4:5]
	v_add_co_u32 v6, s1, s3, v4
	v_add_co_ci_u32_e64 v7, null, s4, v5, s1
	s_and_b32 s1, s0, vcc_lo
	s_and_saveexec_b32 s2, s1
	s_cbranch_execz .LBB77_28
; %bb.25:
	v_lshlrev_b64 v[0:1], 3, v[0:1]
	v_mul_f32_e32 v4, s15, v17
	v_mul_f32_e32 v5, s14, v17
	v_cmp_ne_u32_e32 vcc_lo, 1, v8
	v_fma_f32 v4, v16, s14, -v4
	v_add_co_u32 v0, s1, v6, v0
	v_fmac_f32_e32 v5, s15, v16
	v_add_co_ci_u32_e64 v1, null, v7, v1, s1
	s_cbranch_vccnz .LBB77_27
; %bb.26:
	global_load_dwordx2 v[10:11], v[0:1], off
	s_waitcnt vmcnt(0)
	v_mul_f32_e32 v12, s11, v11
	v_mul_f32_e32 v11, s10, v11
	v_fma_f32 v12, v10, s10, -v12
	v_fmac_f32_e32 v11, s11, v10
	v_add_f32_e32 v4, v4, v12
	v_add_f32_e32 v5, v5, v11
.LBB77_27:
	global_store_dwordx2 v[0:1], v[4:5], off
.LBB77_28:
	s_or_b32 exec_lo, exec_lo, s2
	v_cmp_le_i32_e32 vcc_lo, v2, v9
	s_and_b32 s0, s0, vcc_lo
	s_and_saveexec_b32 s1, s0
	s_cbranch_execz .LBB77_32
; %bb.29:
	v_lshlrev_b64 v[2:3], 3, v[2:3]
	v_mul_f32_e32 v0, s15, v15
	v_mul_f32_e32 v1, s14, v15
	v_cmp_ne_u32_e32 vcc_lo, 1, v8
	v_fma_f32 v0, v14, s14, -v0
	v_add_co_u32 v2, s0, v6, v2
	v_fmac_f32_e32 v1, s15, v14
	v_add_co_ci_u32_e64 v3, null, v7, v3, s0
	s_cbranch_vccnz .LBB77_31
; %bb.30:
	global_load_dwordx2 v[4:5], v[2:3], off
	s_waitcnt vmcnt(0)
	v_mul_f32_e32 v6, s11, v5
	v_mul_f32_e32 v5, s10, v5
	v_fma_f32 v6, v4, s10, -v6
	v_fmac_f32_e32 v5, s11, v4
	v_add_f32_e32 v0, v0, v6
	v_add_f32_e32 v1, v1, v5
.LBB77_31:
	global_store_dwordx2 v[2:3], v[0:1], off
.LBB77_32:
	s_endpgm
	.section	.rodata,"a",@progbits
	.p2align	6, 0x0
	.amdhsa_kernel _ZL29rocblas_internal_gemmt_kernelIiLi16ELi32ELi8ELc84ELc67ELc85ELb0ELb1E19rocblas_complex_numIfEPKS1_S3_PS1_EviT_T9_T10_S5_lS7_S5_lS6_T11_S5_li
		.amdhsa_group_segment_fixed_size 4096
		.amdhsa_private_segment_fixed_size 0
		.amdhsa_kernarg_size 100
		.amdhsa_user_sgpr_count 6
		.amdhsa_user_sgpr_private_segment_buffer 1
		.amdhsa_user_sgpr_dispatch_ptr 0
		.amdhsa_user_sgpr_queue_ptr 0
		.amdhsa_user_sgpr_kernarg_segment_ptr 1
		.amdhsa_user_sgpr_dispatch_id 0
		.amdhsa_user_sgpr_flat_scratch_init 0
		.amdhsa_user_sgpr_private_segment_size 0
		.amdhsa_wavefront_size32 1
		.amdhsa_uses_dynamic_stack 0
		.amdhsa_system_sgpr_private_segment_wavefront_offset 0
		.amdhsa_system_sgpr_workgroup_id_x 1
		.amdhsa_system_sgpr_workgroup_id_y 1
		.amdhsa_system_sgpr_workgroup_id_z 1
		.amdhsa_system_sgpr_workgroup_info 0
		.amdhsa_system_vgpr_workitem_id 1
		.amdhsa_next_free_vgpr 59
		.amdhsa_next_free_sgpr 28
		.amdhsa_reserve_vcc 1
		.amdhsa_reserve_flat_scratch 0
		.amdhsa_float_round_mode_32 0
		.amdhsa_float_round_mode_16_64 0
		.amdhsa_float_denorm_mode_32 3
		.amdhsa_float_denorm_mode_16_64 3
		.amdhsa_dx10_clamp 1
		.amdhsa_ieee_mode 1
		.amdhsa_fp16_overflow 0
		.amdhsa_workgroup_processor_mode 1
		.amdhsa_memory_ordered 1
		.amdhsa_forward_progress 1
		.amdhsa_shared_vgpr_count 0
		.amdhsa_exception_fp_ieee_invalid_op 0
		.amdhsa_exception_fp_denorm_src 0
		.amdhsa_exception_fp_ieee_div_zero 0
		.amdhsa_exception_fp_ieee_overflow 0
		.amdhsa_exception_fp_ieee_underflow 0
		.amdhsa_exception_fp_ieee_inexact 0
		.amdhsa_exception_int_div_zero 0
	.end_amdhsa_kernel
	.section	.text._ZL29rocblas_internal_gemmt_kernelIiLi16ELi32ELi8ELc84ELc67ELc85ELb0ELb1E19rocblas_complex_numIfEPKS1_S3_PS1_EviT_T9_T10_S5_lS7_S5_lS6_T11_S5_li,"axG",@progbits,_ZL29rocblas_internal_gemmt_kernelIiLi16ELi32ELi8ELc84ELc67ELc85ELb0ELb1E19rocblas_complex_numIfEPKS1_S3_PS1_EviT_T9_T10_S5_lS7_S5_lS6_T11_S5_li,comdat
.Lfunc_end77:
	.size	_ZL29rocblas_internal_gemmt_kernelIiLi16ELi32ELi8ELc84ELc67ELc85ELb0ELb1E19rocblas_complex_numIfEPKS1_S3_PS1_EviT_T9_T10_S5_lS7_S5_lS6_T11_S5_li, .Lfunc_end77-_ZL29rocblas_internal_gemmt_kernelIiLi16ELi32ELi8ELc84ELc67ELc85ELb0ELb1E19rocblas_complex_numIfEPKS1_S3_PS1_EviT_T9_T10_S5_lS7_S5_lS6_T11_S5_li
                                        ; -- End function
	.set _ZL29rocblas_internal_gemmt_kernelIiLi16ELi32ELi8ELc84ELc67ELc85ELb0ELb1E19rocblas_complex_numIfEPKS1_S3_PS1_EviT_T9_T10_S5_lS7_S5_lS6_T11_S5_li.num_vgpr, 59
	.set _ZL29rocblas_internal_gemmt_kernelIiLi16ELi32ELi8ELc84ELc67ELc85ELb0ELb1E19rocblas_complex_numIfEPKS1_S3_PS1_EviT_T9_T10_S5_lS7_S5_lS6_T11_S5_li.num_agpr, 0
	.set _ZL29rocblas_internal_gemmt_kernelIiLi16ELi32ELi8ELc84ELc67ELc85ELb0ELb1E19rocblas_complex_numIfEPKS1_S3_PS1_EviT_T9_T10_S5_lS7_S5_lS6_T11_S5_li.numbered_sgpr, 28
	.set _ZL29rocblas_internal_gemmt_kernelIiLi16ELi32ELi8ELc84ELc67ELc85ELb0ELb1E19rocblas_complex_numIfEPKS1_S3_PS1_EviT_T9_T10_S5_lS7_S5_lS6_T11_S5_li.num_named_barrier, 0
	.set _ZL29rocblas_internal_gemmt_kernelIiLi16ELi32ELi8ELc84ELc67ELc85ELb0ELb1E19rocblas_complex_numIfEPKS1_S3_PS1_EviT_T9_T10_S5_lS7_S5_lS6_T11_S5_li.private_seg_size, 0
	.set _ZL29rocblas_internal_gemmt_kernelIiLi16ELi32ELi8ELc84ELc67ELc85ELb0ELb1E19rocblas_complex_numIfEPKS1_S3_PS1_EviT_T9_T10_S5_lS7_S5_lS6_T11_S5_li.uses_vcc, 1
	.set _ZL29rocblas_internal_gemmt_kernelIiLi16ELi32ELi8ELc84ELc67ELc85ELb0ELb1E19rocblas_complex_numIfEPKS1_S3_PS1_EviT_T9_T10_S5_lS7_S5_lS6_T11_S5_li.uses_flat_scratch, 0
	.set _ZL29rocblas_internal_gemmt_kernelIiLi16ELi32ELi8ELc84ELc67ELc85ELb0ELb1E19rocblas_complex_numIfEPKS1_S3_PS1_EviT_T9_T10_S5_lS7_S5_lS6_T11_S5_li.has_dyn_sized_stack, 0
	.set _ZL29rocblas_internal_gemmt_kernelIiLi16ELi32ELi8ELc84ELc67ELc85ELb0ELb1E19rocblas_complex_numIfEPKS1_S3_PS1_EviT_T9_T10_S5_lS7_S5_lS6_T11_S5_li.has_recursion, 0
	.set _ZL29rocblas_internal_gemmt_kernelIiLi16ELi32ELi8ELc84ELc67ELc85ELb0ELb1E19rocblas_complex_numIfEPKS1_S3_PS1_EviT_T9_T10_S5_lS7_S5_lS6_T11_S5_li.has_indirect_call, 0
	.section	.AMDGPU.csdata,"",@progbits
; Kernel info:
; codeLenInByte = 2560
; TotalNumSgprs: 30
; NumVgprs: 59
; ScratchSize: 0
; MemoryBound: 1
; FloatMode: 240
; IeeeMode: 1
; LDSByteSize: 4096 bytes/workgroup (compile time only)
; SGPRBlocks: 0
; VGPRBlocks: 7
; NumSGPRsForWavesPerEU: 30
; NumVGPRsForWavesPerEU: 59
; Occupancy: 16
; WaveLimiterHint : 0
; COMPUTE_PGM_RSRC2:SCRATCH_EN: 0
; COMPUTE_PGM_RSRC2:USER_SGPR: 6
; COMPUTE_PGM_RSRC2:TRAP_HANDLER: 0
; COMPUTE_PGM_RSRC2:TGID_X_EN: 1
; COMPUTE_PGM_RSRC2:TGID_Y_EN: 1
; COMPUTE_PGM_RSRC2:TGID_Z_EN: 1
; COMPUTE_PGM_RSRC2:TIDIG_COMP_CNT: 1
	.section	.text._ZL29rocblas_internal_gemmt_kernelIiLi16ELi32ELi8ELc67ELc78ELc85ELb1ELb0E19rocblas_complex_numIfEPKS1_S3_PS1_EviT_T9_T10_S5_lS7_S5_lS6_T11_S5_li,"axG",@progbits,_ZL29rocblas_internal_gemmt_kernelIiLi16ELi32ELi8ELc67ELc78ELc85ELb1ELb0E19rocblas_complex_numIfEPKS1_S3_PS1_EviT_T9_T10_S5_lS7_S5_lS6_T11_S5_li,comdat
	.globl	_ZL29rocblas_internal_gemmt_kernelIiLi16ELi32ELi8ELc67ELc78ELc85ELb1ELb0E19rocblas_complex_numIfEPKS1_S3_PS1_EviT_T9_T10_S5_lS7_S5_lS6_T11_S5_li ; -- Begin function _ZL29rocblas_internal_gemmt_kernelIiLi16ELi32ELi8ELc67ELc78ELc85ELb1ELb0E19rocblas_complex_numIfEPKS1_S3_PS1_EviT_T9_T10_S5_lS7_S5_lS6_T11_S5_li
	.p2align	8
	.type	_ZL29rocblas_internal_gemmt_kernelIiLi16ELi32ELi8ELc67ELc78ELc85ELb1ELb0E19rocblas_complex_numIfEPKS1_S3_PS1_EviT_T9_T10_S5_lS7_S5_lS6_T11_S5_li,@function
_ZL29rocblas_internal_gemmt_kernelIiLi16ELi32ELi8ELc67ELc78ELc85ELb1ELb0E19rocblas_complex_numIfEPKS1_S3_PS1_EviT_T9_T10_S5_lS7_S5_lS6_T11_S5_li: ; @_ZL29rocblas_internal_gemmt_kernelIiLi16ELi32ELi8ELc67ELc78ELc85ELb1ELb0E19rocblas_complex_numIfEPKS1_S3_PS1_EviT_T9_T10_S5_lS7_S5_lS6_T11_S5_li
; %bb.0:
	s_clause 0x1
	s_load_dwordx4 s[12:15], s[4:5], 0x38
	s_load_dwordx4 s[0:3], s[4:5], 0x8
	s_waitcnt lgkmcnt(0)
	s_load_dwordx2 s[10:11], s[14:15], 0x0
	s_load_dwordx2 s[20:21], s[4:5], 0x0
	;; [unrolled: 1-line block ×3, first 2 shown]
	s_waitcnt lgkmcnt(0)
	s_and_b32 s0, s11, 0x7fffffff
	v_cmp_eq_f32_e64 s1, s10, 1.0
	s_cmp_eq_u32 s0, 0
	s_mov_b32 s0, 0
	s_cselect_b32 s9, -1, 0
	s_and_b32 s1, s1, s9
	s_andn2_b32 vcc_lo, exec_lo, s1
	s_mov_b32 s1, -1
	s_cbranch_vccnz .LBB78_4
; %bb.1:
	s_cmp_lg_u32 s21, 0
	s_cbranch_scc0 .LBB78_3
; %bb.2:
	v_cmp_neq_f32_e64 s0, s14, 0
	v_cmp_neq_f32_e64 s1, s15, 0
	s_or_b32 s0, s0, s1
.LBB78_3:
	s_mov_b32 s1, s0
.LBB78_4:
	s_and_b32 vcc_lo, exec_lo, s1
	s_cbranch_vccz .LBB78_32
; %bb.5:
	s_load_dwordx2 s[22:23], s[4:5], 0x48
	v_cmp_eq_f32_e64 s0, s14, 0
	v_cmp_eq_f32_e64 s1, s15, 0
	s_lshl_b32 s6, s6, 5
	s_lshl_b32 s7, s7, 5
	v_mov_b32_e32 v20, 0
	v_mov_b32_e32 v21, 0
	s_and_b32 s0, s0, s1
	s_cmp_lt_i32 s21, 1
	v_mov_b32_e32 v18, 0
	s_cselect_b32 s1, -1, 0
	v_mov_b32_e32 v19, 0
	v_mov_b32_e32 v16, 0
	;; [unrolled: 1-line block ×5, first 2 shown]
	s_or_b32 s0, s0, s1
	s_mov_b32 s24, 0
	s_and_b32 vcc_lo, exec_lo, s0
	s_cbranch_vccnz .LBB78_16
; %bb.6:
	s_load_dword s0, s[4:5], 0x18
	v_lshl_add_u32 v2, v1, 4, v0
	s_clause 0x1
	s_load_dwordx4 s[16:19], s[4:5], 0x20
	s_load_dword s1, s[4:5], 0x30
	v_and_b32_e32 v8, 7, v0
	v_lshlrev_b32_e32 v9, 3, v0
	v_lshl_add_u32 v10, v1, 6, 0x800
	v_and_b32_e32 v4, 31, v2
	v_lshrrev_b32_e32 v3, 3, v2
	v_lshrrev_b32_e32 v11, 5, v2
	v_lshlrev_b32_e32 v6, 3, v8
	v_mov_b32_e32 v17, 0
	v_add_nc_u32_e32 v2, s6, v4
	v_add_nc_u32_e32 v5, s7, v3
	v_or_b32_e32 v7, s6, v4
	v_lshl_or_b32 v13, v3, 6, v6
	v_lshlrev_b32_e32 v4, 3, v4
	v_lshlrev_b32_e32 v14, 3, v11
	v_mov_b32_e32 v16, 0
	v_cmp_gt_i32_e32 vcc_lo, s20, v7
	v_add_nc_u32_e32 v13, 0x800, v13
	s_waitcnt lgkmcnt(0)
	v_mad_i64_i32 v[2:3], null, s0, v2, 0
	v_lshl_or_b32 v12, v11, 8, v4
	v_cmp_gt_i32_e64 s0, s20, v5
	s_mul_i32 s17, s17, s8
	s_mul_hi_u32 s25, s16, s8
	v_mad_i64_i32 v[4:5], null, s1, v5, 0
	v_lshlrev_b64 v[2:3], 3, v[2:3]
	s_mul_i32 s16, s16, s8
	s_add_i32 s17, s25, s17
	v_mov_b32_e32 v19, 0
	s_lshl_b64 s[16:17], s[16:17], 3
	v_mov_b32_e32 v18, 0
	v_add_co_u32 v7, s1, v2, s16
	v_add_co_ci_u32_e64 v15, null, s17, v3, s1
	s_mul_i32 s1, s13, s8
	s_mul_hi_u32 s13, s12, s8
	v_lshlrev_b64 v[3:4], 3, v[4:5]
	s_add_i32 s13, s13, s1
	s_mul_i32 s12, s12, s8
	v_add_co_u32 v5, s1, v7, v14
	s_lshl_b64 s[12:13], s[12:13], 3
	v_add_co_ci_u32_e64 v7, null, 0, v15, s1
	v_add_co_u32 v3, s1, v3, s12
	v_add_co_ci_u32_e64 v4, null, s13, v4, s1
	v_add_co_u32 v5, s1, s2, v5
	;; [unrolled: 2-line block ×5, first 2 shown]
	v_mov_b32_e32 v2, 0
	v_add_co_ci_u32_e64 v7, null, s19, v14, s1
	v_mov_b32_e32 v15, 0
	v_mov_b32_e32 v14, 0
	;; [unrolled: 1-line block ×4, first 2 shown]
	s_xor_b32 s1, vcc_lo, -1
	s_xor_b32 s0, s0, -1
	s_branch .LBB78_8
.LBB78_7:                               ;   in Loop: Header=BB78_8 Depth=1
	s_or_b32 exec_lo, exec_lo, s2
	s_waitcnt lgkmcnt(0)
	s_barrier
	buffer_gl0_inv
	ds_read_b128 v[22:25], v10
	ds_read2_b64 v[26:29], v9 offset1:16
	ds_read_b128 v[30:33], v10 offset:1024
	ds_read_b128 v[34:37], v10 offset:16
	;; [unrolled: 1-line block ×4, first 2 shown]
	ds_read2_b64 v[46:49], v9 offset0:32 offset1:48
	ds_read_b128 v[50:53], v10 offset:1040
	v_add_co_u32 v4, vcc_lo, v4, 64
	v_add_co_ci_u32_e64 v5, null, 0, v5, vcc_lo
	v_add_co_u32 v6, vcc_lo, v6, 64
	v_add_co_ci_u32_e64 v7, null, 0, v7, vcc_lo
	s_add_i32 s24, s24, 8
	s_cmp_lt_i32 s24, s21
	s_waitcnt lgkmcnt(6)
	v_mul_f32_e32 v3, v23, v27
	v_mul_f32_e32 v54, v22, v27
	;; [unrolled: 1-line block ×4, first 2 shown]
	s_waitcnt lgkmcnt(5)
	v_mul_f32_e32 v57, v31, v27
	v_mul_f32_e32 v27, v30, v27
	;; [unrolled: 1-line block ×3, first 2 shown]
	v_fma_f32 v3, v22, v26, -v3
	v_fmac_f32_e32 v54, v23, v26
	v_fma_f32 v22, v22, v28, -v55
	v_fmac_f32_e32 v56, v23, v28
	;; [unrolled: 2-line block ×3, first 2 shown]
	v_mul_f32_e32 v29, v30, v29
	v_fma_f32 v26, v30, v28, -v58
	v_add_f32_e32 v3, v20, v3
	v_add_f32_e32 v20, v21, v54
	;; [unrolled: 1-line block ×6, first 2 shown]
	s_waitcnt lgkmcnt(1)
	v_mul_f32_e32 v30, v25, v47
	ds_read2_b64 v[16:19], v9 offset0:64 offset1:80
	v_fmac_f32_e32 v29, v31, v28
	v_add_f32_e32 v14, v14, v26
	v_mul_f32_e32 v26, v24, v47
	v_fma_f32 v28, v24, v46, -v30
	v_mul_f32_e32 v30, v25, v49
	v_add_f32_e32 v15, v15, v29
	v_mul_f32_e32 v29, v24, v49
	v_fmac_f32_e32 v26, v25, v46
	v_add_f32_e32 v3, v3, v28
	v_fma_f32 v24, v24, v48, -v30
	v_mul_f32_e32 v28, v33, v47
	v_fmac_f32_e32 v29, v25, v48
	v_add_f32_e32 v26, v20, v26
	v_mul_f32_e32 v20, v32, v47
	v_add_f32_e32 v24, v21, v24
	v_fma_f32 v21, v32, v46, -v28
	v_mul_f32_e32 v25, v33, v49
	v_add_f32_e32 v28, v22, v29
	v_fmac_f32_e32 v20, v33, v46
	v_mul_f32_e32 v29, v32, v49
	v_add_f32_e32 v30, v23, v21
	v_fma_f32 v21, v32, v48, -v25
	s_waitcnt lgkmcnt(0)
	v_mul_f32_e32 v22, v35, v17
	v_add_f32_e32 v25, v27, v20
	v_fmac_f32_e32 v29, v33, v48
	v_mul_f32_e32 v27, v34, v17
	v_add_f32_e32 v14, v14, v21
	v_fma_f32 v31, v34, v16, -v22
	v_mul_f32_e32 v32, v35, v19
	ds_read2_b64 v[20:23], v9 offset0:96 offset1:112
	v_fmac_f32_e32 v27, v35, v16
	v_add_f32_e32 v29, v15, v29
	v_add_f32_e32 v3, v3, v31
	v_mul_f32_e32 v15, v34, v19
	v_fma_f32 v31, v34, v18, -v32
	v_add_f32_e32 v26, v26, v27
	v_mul_f32_e32 v27, v51, v17
	v_mul_f32_e32 v17, v50, v17
	v_fmac_f32_e32 v15, v35, v18
	v_add_f32_e32 v24, v24, v31
	v_mul_f32_e32 v31, v51, v19
	v_mul_f32_e32 v19, v50, v19
	v_fmac_f32_e32 v17, v51, v16
	v_add_f32_e32 v28, v28, v15
	v_fma_f32 v27, v50, v16, -v27
	v_fma_f32 v15, v50, v18, -v31
	v_fmac_f32_e32 v19, v51, v18
	v_add_f32_e32 v31, v25, v17
	s_waitcnt lgkmcnt(0)
	v_mul_f32_e32 v18, v37, v21
	v_add_f32_e32 v32, v14, v15
	ds_read2_b64 v[14:17], v9 offset0:128 offset1:144
	v_add_f32_e32 v30, v30, v27
	v_mul_f32_e32 v25, v36, v21
	v_fma_f32 v18, v36, v20, -v18
	v_mul_f32_e32 v27, v37, v23
	v_add_f32_e32 v29, v29, v19
	v_mul_f32_e32 v19, v36, v23
	v_fmac_f32_e32 v25, v37, v20
	v_add_f32_e32 v3, v3, v18
	v_mul_f32_e32 v18, v53, v21
	v_fma_f32 v27, v36, v22, -v27
	v_fmac_f32_e32 v19, v37, v22
	v_mul_f32_e32 v21, v52, v21
	v_mul_f32_e32 v35, v53, v23
	v_fma_f32 v18, v52, v20, -v18
	v_add_f32_e32 v33, v26, v25
	v_add_f32_e32 v34, v24, v27
	ds_read_b128 v[24:27], v10 offset:1056
	v_add_f32_e32 v36, v28, v19
	v_fmac_f32_e32 v21, v53, v20
	v_mul_f32_e32 v23, v52, v23
	v_fma_f32 v19, v52, v22, -v35
	v_add_f32_e32 v35, v30, v18
	s_waitcnt lgkmcnt(1)
	v_mul_f32_e32 v18, v39, v15
	v_add_f32_e32 v37, v31, v21
	v_fmac_f32_e32 v23, v53, v22
	v_add_f32_e32 v22, v32, v19
	v_mul_f32_e32 v32, v38, v15
	v_fma_f32 v28, v38, v14, -v18
	ds_read2_b64 v[18:21], v9 offset0:160 offset1:176
	v_mul_f32_e32 v30, v39, v17
	v_mul_f32_e32 v46, v38, v17
	v_fmac_f32_e32 v32, v39, v14
	v_add_f32_e32 v23, v29, v23
	v_add_f32_e32 v3, v3, v28
	v_fma_f32 v38, v38, v16, -v30
	ds_read_b128 v[28:31], v10 offset:1072
	s_waitcnt lgkmcnt(2)
	v_mul_f32_e32 v47, v25, v15
	v_add_f32_e32 v32, v33, v32
	v_mul_f32_e32 v15, v24, v15
	v_add_f32_e32 v33, v34, v38
	v_mul_f32_e32 v38, v25, v17
	v_fmac_f32_e32 v46, v39, v16
	v_fma_f32 v34, v24, v14, -v47
	v_fmac_f32_e32 v15, v25, v14
	v_mul_f32_e32 v39, v24, v17
	v_fma_f32 v14, v24, v16, -v38
	v_add_f32_e32 v36, v36, v46
	v_add_f32_e32 v34, v35, v34
	s_waitcnt lgkmcnt(1)
	v_mul_f32_e32 v17, v41, v19
	v_add_f32_e32 v24, v37, v15
	v_fmac_f32_e32 v39, v25, v16
	v_mul_f32_e32 v25, v40, v19
	v_add_f32_e32 v22, v22, v14
	v_fma_f32 v35, v40, v18, -v17
	ds_read2_b64 v[14:17], v9 offset0:192 offset1:208
	v_mul_f32_e32 v37, v41, v21
	v_fmac_f32_e32 v25, v41, v18
	v_add_f32_e32 v38, v23, v39
	v_add_f32_e32 v3, v3, v35
	v_mul_f32_e32 v23, v40, v21
	v_fma_f32 v35, v40, v20, -v37
	v_add_f32_e32 v32, v32, v25
	v_mul_f32_e32 v25, v27, v19
	v_mul_f32_e32 v19, v26, v19
	v_fmac_f32_e32 v23, v41, v20
	v_add_f32_e32 v33, v33, v35
	v_mul_f32_e32 v35, v27, v21
	v_fma_f32 v25, v26, v18, -v25
	v_fmac_f32_e32 v19, v27, v18
	v_add_f32_e32 v18, v36, v23
	v_mul_f32_e32 v21, v26, v21
	v_fma_f32 v23, v26, v20, -v35
	v_add_f32_e32 v26, v34, v25
	v_add_f32_e32 v19, v24, v19
	s_waitcnt lgkmcnt(0)
	v_mul_f32_e32 v34, v43, v15
	v_fmac_f32_e32 v21, v27, v20
	v_add_f32_e32 v20, v22, v23
	ds_read2_b64 v[22:25], v9 offset0:224 offset1:240
	v_mul_f32_e32 v27, v42, v15
	v_fma_f32 v34, v42, v14, -v34
	v_mul_f32_e32 v35, v43, v17
	v_mul_f32_e32 v36, v42, v17
	v_add_f32_e32 v21, v38, v21
	v_fmac_f32_e32 v27, v43, v14
	v_add_f32_e32 v3, v3, v34
	v_mul_f32_e32 v34, v29, v15
	v_fma_f32 v35, v42, v16, -v35
	v_fmac_f32_e32 v36, v43, v16
	v_add_f32_e32 v27, v32, v27
	v_mul_f32_e32 v15, v28, v15
	v_fma_f32 v32, v28, v14, -v34
	v_mul_f32_e32 v34, v29, v17
	v_add_f32_e32 v33, v33, v35
	v_add_f32_e32 v35, v18, v36
	v_fmac_f32_e32 v15, v29, v14
	v_add_f32_e32 v14, v26, v32
	v_mul_f32_e32 v17, v28, v17
	v_fma_f32 v18, v28, v16, -v34
	s_waitcnt lgkmcnt(0)
	v_mul_f32_e32 v26, v45, v23
	v_mul_f32_e32 v28, v44, v23
	v_add_f32_e32 v15, v19, v15
	v_fmac_f32_e32 v17, v29, v16
	v_add_f32_e32 v29, v20, v18
	v_fma_f32 v16, v44, v22, -v26
	v_mul_f32_e32 v18, v45, v25
	v_mul_f32_e32 v19, v44, v25
	v_add_f32_e32 v26, v21, v17
	v_mul_f32_e32 v17, v30, v23
	v_add_f32_e32 v20, v3, v16
	v_fma_f32 v3, v44, v24, -v18
	v_mul_f32_e32 v16, v31, v23
	v_mul_f32_e32 v23, v31, v25
	;; [unrolled: 1-line block ×3, first 2 shown]
	v_fmac_f32_e32 v28, v45, v22
	v_fmac_f32_e32 v19, v45, v24
	v_add_f32_e32 v18, v33, v3
	v_fma_f32 v3, v30, v22, -v16
	v_fmac_f32_e32 v17, v31, v22
	v_fma_f32 v22, v30, v24, -v23
	v_fmac_f32_e32 v25, v31, v24
	v_add_f32_e32 v21, v27, v28
	v_add_f32_e32 v19, v35, v19
	;; [unrolled: 1-line block ×6, first 2 shown]
	s_barrier
	buffer_gl0_inv
	s_cbranch_scc0 .LBB78_16
.LBB78_8:                               ; =>This Inner Loop Header: Depth=1
	v_add_nc_u32_e32 v3, s24, v11
	v_cmp_le_i32_e32 vcc_lo, s21, v3
	s_or_b32 s2, s1, vcc_lo
	s_and_saveexec_b32 s3, s2
	s_xor_b32 s2, exec_lo, s3
; %bb.9:                                ;   in Loop: Header=BB78_8 Depth=1
	ds_write_b32 v12, v2
; %bb.10:                               ;   in Loop: Header=BB78_8 Depth=1
	s_or_saveexec_b32 s2, s2
	v_mov_b32_e32 v3, 0
	s_xor_b32 exec_lo, exec_lo, s2
	s_cbranch_execz .LBB78_12
; %bb.11:                               ;   in Loop: Header=BB78_8 Depth=1
	global_load_dwordx2 v[22:23], v[4:5], off offset:-4
	s_waitcnt vmcnt(0)
	v_xor_b32_e32 v3, 0x80000000, v23
	ds_write_b32 v12, v22
.LBB78_12:                              ;   in Loop: Header=BB78_8 Depth=1
	s_or_b32 exec_lo, exec_lo, s2
	v_add_nc_u32_e32 v22, s24, v8
	ds_write_b32 v12, v3 offset:4
	v_cmp_le_i32_e32 vcc_lo, s21, v22
	s_or_b32 s2, vcc_lo, s0
	s_and_saveexec_b32 s3, s2
	s_xor_b32 s2, exec_lo, s3
; %bb.13:                               ;   in Loop: Header=BB78_8 Depth=1
	v_mov_b32_e32 v3, v2
	ds_write_b64 v13, v[2:3]
; %bb.14:                               ;   in Loop: Header=BB78_8 Depth=1
	s_andn2_saveexec_b32 s2, s2
	s_cbranch_execz .LBB78_7
; %bb.15:                               ;   in Loop: Header=BB78_8 Depth=1
	global_load_dwordx2 v[22:23], v[6:7], off
	s_waitcnt vmcnt(0)
	ds_write_b64 v13, v[22:23]
	s_branch .LBB78_7
.LBB78_16:
	s_clause 0x1
	s_load_dword s2, s[4:5], 0x50
	s_load_dwordx2 s[4:5], s[4:5], 0x58
	v_add_nc_u32_e32 v9, s7, v1
	v_add_nc_u32_e32 v0, s6, v0
	v_cmp_neq_f32_e64 s6, s10, 0
	v_cmp_gt_i32_e64 s0, s20, v9
	v_cmp_le_i32_e32 vcc_lo, v0, v9
	s_waitcnt lgkmcnt(0)
	v_mad_i64_i32 v[1:2], null, v9, s2, 0
	s_mul_i32 s1, s5, s8
	s_mul_hi_u32 s3, s4, s8
	s_mul_i32 s4, s4, s8
	s_add_i32 s5, s3, s1
	s_lshl_b64 s[4:5], s[4:5], 3
	v_lshlrev_b64 v[2:3], 3, v[1:2]
	s_add_u32 s3, s22, s4
	s_addc_u32 s4, s23, s5
	s_xor_b32 s5, s9, -1
	v_ashrrev_i32_e32 v1, 31, v0
	s_or_b32 s5, s6, s5
	v_add_co_u32 v6, s1, s3, v2
	v_add_co_ci_u32_e64 v7, null, s4, v3, s1
	v_cndmask_b32_e64 v8, 0, 1, s5
	s_and_b32 s6, s0, vcc_lo
	s_and_saveexec_b32 s1, s6
	s_cbranch_execz .LBB78_20
; %bb.17:
	v_lshlrev_b64 v[4:5], 3, v[0:1]
	v_mul_f32_e32 v2, s15, v21
	v_mul_f32_e32 v3, s14, v21
	v_fma_f32 v2, v20, s14, -v2
	v_add_co_u32 v4, vcc_lo, v6, v4
	v_fmac_f32_e32 v3, s15, v20
	v_add_co_ci_u32_e64 v5, null, v7, v5, vcc_lo
	s_andn2_b32 vcc_lo, exec_lo, s5
	s_cbranch_vccnz .LBB78_19
; %bb.18:
	global_load_dwordx2 v[10:11], v[4:5], off
	s_waitcnt vmcnt(0)
	v_mul_f32_e32 v12, s11, v11
	v_mul_f32_e32 v11, s10, v11
	v_fma_f32 v12, v10, s10, -v12
	v_fmac_f32_e32 v11, s11, v10
	v_add_f32_e32 v2, v2, v12
	v_add_f32_e32 v3, v3, v11
.LBB78_19:
	global_store_dwordx2 v[4:5], v[2:3], off
.LBB78_20:
	s_or_b32 exec_lo, exec_lo, s1
	v_add_nc_u32_e32 v2, 16, v0
	v_cmp_le_i32_e32 vcc_lo, v2, v9
	v_ashrrev_i32_e32 v3, 31, v2
	s_and_b32 s0, s0, vcc_lo
	s_and_saveexec_b32 s1, s0
	s_cbranch_execz .LBB78_24
; %bb.21:
	v_lshlrev_b64 v[10:11], 3, v[2:3]
	v_mul_f32_e32 v4, s15, v19
	v_mul_f32_e32 v5, s14, v19
	v_cmp_ne_u32_e32 vcc_lo, 1, v8
	v_fma_f32 v4, v18, s14, -v4
	v_add_co_u32 v6, s0, v6, v10
	v_fmac_f32_e32 v5, s15, v18
	v_add_co_ci_u32_e64 v7, null, v7, v11, s0
	s_cbranch_vccnz .LBB78_23
; %bb.22:
	global_load_dwordx2 v[10:11], v[6:7], off
	s_waitcnt vmcnt(0)
	v_mul_f32_e32 v12, s11, v11
	v_mul_f32_e32 v11, s10, v11
	v_fma_f32 v12, v10, s10, -v12
	v_fmac_f32_e32 v11, s11, v10
	v_add_f32_e32 v4, v4, v12
	v_add_f32_e32 v5, v5, v11
.LBB78_23:
	global_store_dwordx2 v[6:7], v[4:5], off
.LBB78_24:
	s_or_b32 exec_lo, exec_lo, s1
	v_add_nc_u32_e32 v9, 16, v9
	v_mad_i64_i32 v[4:5], null, v9, s2, 0
	v_cmp_gt_i32_e64 s0, s20, v9
	v_cmp_le_i32_e32 vcc_lo, v0, v9
	v_lshlrev_b64 v[4:5], 3, v[4:5]
	v_add_co_u32 v6, s1, s3, v4
	v_add_co_ci_u32_e64 v7, null, s4, v5, s1
	s_and_b32 s1, s0, vcc_lo
	s_and_saveexec_b32 s2, s1
	s_cbranch_execz .LBB78_28
; %bb.25:
	v_lshlrev_b64 v[0:1], 3, v[0:1]
	v_mul_f32_e32 v4, s15, v17
	v_mul_f32_e32 v5, s14, v17
	v_cmp_ne_u32_e32 vcc_lo, 1, v8
	v_fma_f32 v4, v16, s14, -v4
	v_add_co_u32 v0, s1, v6, v0
	v_fmac_f32_e32 v5, s15, v16
	v_add_co_ci_u32_e64 v1, null, v7, v1, s1
	s_cbranch_vccnz .LBB78_27
; %bb.26:
	global_load_dwordx2 v[10:11], v[0:1], off
	s_waitcnt vmcnt(0)
	v_mul_f32_e32 v12, s11, v11
	v_mul_f32_e32 v11, s10, v11
	v_fma_f32 v12, v10, s10, -v12
	v_fmac_f32_e32 v11, s11, v10
	v_add_f32_e32 v4, v4, v12
	v_add_f32_e32 v5, v5, v11
.LBB78_27:
	global_store_dwordx2 v[0:1], v[4:5], off
.LBB78_28:
	s_or_b32 exec_lo, exec_lo, s2
	v_cmp_le_i32_e32 vcc_lo, v2, v9
	s_and_b32 s0, s0, vcc_lo
	s_and_saveexec_b32 s1, s0
	s_cbranch_execz .LBB78_32
; %bb.29:
	v_lshlrev_b64 v[2:3], 3, v[2:3]
	v_mul_f32_e32 v0, s15, v15
	v_mul_f32_e32 v1, s14, v15
	v_cmp_ne_u32_e32 vcc_lo, 1, v8
	v_fma_f32 v0, v14, s14, -v0
	v_add_co_u32 v2, s0, v6, v2
	v_fmac_f32_e32 v1, s15, v14
	v_add_co_ci_u32_e64 v3, null, v7, v3, s0
	s_cbranch_vccnz .LBB78_31
; %bb.30:
	global_load_dwordx2 v[4:5], v[2:3], off
	s_waitcnt vmcnt(0)
	v_mul_f32_e32 v6, s11, v5
	v_mul_f32_e32 v5, s10, v5
	v_fma_f32 v6, v4, s10, -v6
	v_fmac_f32_e32 v5, s11, v4
	v_add_f32_e32 v0, v0, v6
	v_add_f32_e32 v1, v1, v5
.LBB78_31:
	global_store_dwordx2 v[2:3], v[0:1], off
.LBB78_32:
	s_endpgm
	.section	.rodata,"a",@progbits
	.p2align	6, 0x0
	.amdhsa_kernel _ZL29rocblas_internal_gemmt_kernelIiLi16ELi32ELi8ELc67ELc78ELc85ELb1ELb0E19rocblas_complex_numIfEPKS1_S3_PS1_EviT_T9_T10_S5_lS7_S5_lS6_T11_S5_li
		.amdhsa_group_segment_fixed_size 4096
		.amdhsa_private_segment_fixed_size 0
		.amdhsa_kernarg_size 100
		.amdhsa_user_sgpr_count 6
		.amdhsa_user_sgpr_private_segment_buffer 1
		.amdhsa_user_sgpr_dispatch_ptr 0
		.amdhsa_user_sgpr_queue_ptr 0
		.amdhsa_user_sgpr_kernarg_segment_ptr 1
		.amdhsa_user_sgpr_dispatch_id 0
		.amdhsa_user_sgpr_flat_scratch_init 0
		.amdhsa_user_sgpr_private_segment_size 0
		.amdhsa_wavefront_size32 1
		.amdhsa_uses_dynamic_stack 0
		.amdhsa_system_sgpr_private_segment_wavefront_offset 0
		.amdhsa_system_sgpr_workgroup_id_x 1
		.amdhsa_system_sgpr_workgroup_id_y 1
		.amdhsa_system_sgpr_workgroup_id_z 1
		.amdhsa_system_sgpr_workgroup_info 0
		.amdhsa_system_vgpr_workitem_id 1
		.amdhsa_next_free_vgpr 59
		.amdhsa_next_free_sgpr 26
		.amdhsa_reserve_vcc 1
		.amdhsa_reserve_flat_scratch 0
		.amdhsa_float_round_mode_32 0
		.amdhsa_float_round_mode_16_64 0
		.amdhsa_float_denorm_mode_32 3
		.amdhsa_float_denorm_mode_16_64 3
		.amdhsa_dx10_clamp 1
		.amdhsa_ieee_mode 1
		.amdhsa_fp16_overflow 0
		.amdhsa_workgroup_processor_mode 1
		.amdhsa_memory_ordered 1
		.amdhsa_forward_progress 1
		.amdhsa_shared_vgpr_count 0
		.amdhsa_exception_fp_ieee_invalid_op 0
		.amdhsa_exception_fp_denorm_src 0
		.amdhsa_exception_fp_ieee_div_zero 0
		.amdhsa_exception_fp_ieee_overflow 0
		.amdhsa_exception_fp_ieee_underflow 0
		.amdhsa_exception_fp_ieee_inexact 0
		.amdhsa_exception_int_div_zero 0
	.end_amdhsa_kernel
	.section	.text._ZL29rocblas_internal_gemmt_kernelIiLi16ELi32ELi8ELc67ELc78ELc85ELb1ELb0E19rocblas_complex_numIfEPKS1_S3_PS1_EviT_T9_T10_S5_lS7_S5_lS6_T11_S5_li,"axG",@progbits,_ZL29rocblas_internal_gemmt_kernelIiLi16ELi32ELi8ELc67ELc78ELc85ELb1ELb0E19rocblas_complex_numIfEPKS1_S3_PS1_EviT_T9_T10_S5_lS7_S5_lS6_T11_S5_li,comdat
.Lfunc_end78:
	.size	_ZL29rocblas_internal_gemmt_kernelIiLi16ELi32ELi8ELc67ELc78ELc85ELb1ELb0E19rocblas_complex_numIfEPKS1_S3_PS1_EviT_T9_T10_S5_lS7_S5_lS6_T11_S5_li, .Lfunc_end78-_ZL29rocblas_internal_gemmt_kernelIiLi16ELi32ELi8ELc67ELc78ELc85ELb1ELb0E19rocblas_complex_numIfEPKS1_S3_PS1_EviT_T9_T10_S5_lS7_S5_lS6_T11_S5_li
                                        ; -- End function
	.set _ZL29rocblas_internal_gemmt_kernelIiLi16ELi32ELi8ELc67ELc78ELc85ELb1ELb0E19rocblas_complex_numIfEPKS1_S3_PS1_EviT_T9_T10_S5_lS7_S5_lS6_T11_S5_li.num_vgpr, 59
	.set _ZL29rocblas_internal_gemmt_kernelIiLi16ELi32ELi8ELc67ELc78ELc85ELb1ELb0E19rocblas_complex_numIfEPKS1_S3_PS1_EviT_T9_T10_S5_lS7_S5_lS6_T11_S5_li.num_agpr, 0
	.set _ZL29rocblas_internal_gemmt_kernelIiLi16ELi32ELi8ELc67ELc78ELc85ELb1ELb0E19rocblas_complex_numIfEPKS1_S3_PS1_EviT_T9_T10_S5_lS7_S5_lS6_T11_S5_li.numbered_sgpr, 26
	.set _ZL29rocblas_internal_gemmt_kernelIiLi16ELi32ELi8ELc67ELc78ELc85ELb1ELb0E19rocblas_complex_numIfEPKS1_S3_PS1_EviT_T9_T10_S5_lS7_S5_lS6_T11_S5_li.num_named_barrier, 0
	.set _ZL29rocblas_internal_gemmt_kernelIiLi16ELi32ELi8ELc67ELc78ELc85ELb1ELb0E19rocblas_complex_numIfEPKS1_S3_PS1_EviT_T9_T10_S5_lS7_S5_lS6_T11_S5_li.private_seg_size, 0
	.set _ZL29rocblas_internal_gemmt_kernelIiLi16ELi32ELi8ELc67ELc78ELc85ELb1ELb0E19rocblas_complex_numIfEPKS1_S3_PS1_EviT_T9_T10_S5_lS7_S5_lS6_T11_S5_li.uses_vcc, 1
	.set _ZL29rocblas_internal_gemmt_kernelIiLi16ELi32ELi8ELc67ELc78ELc85ELb1ELb0E19rocblas_complex_numIfEPKS1_S3_PS1_EviT_T9_T10_S5_lS7_S5_lS6_T11_S5_li.uses_flat_scratch, 0
	.set _ZL29rocblas_internal_gemmt_kernelIiLi16ELi32ELi8ELc67ELc78ELc85ELb1ELb0E19rocblas_complex_numIfEPKS1_S3_PS1_EviT_T9_T10_S5_lS7_S5_lS6_T11_S5_li.has_dyn_sized_stack, 0
	.set _ZL29rocblas_internal_gemmt_kernelIiLi16ELi32ELi8ELc67ELc78ELc85ELb1ELb0E19rocblas_complex_numIfEPKS1_S3_PS1_EviT_T9_T10_S5_lS7_S5_lS6_T11_S5_li.has_recursion, 0
	.set _ZL29rocblas_internal_gemmt_kernelIiLi16ELi32ELi8ELc67ELc78ELc85ELb1ELb0E19rocblas_complex_numIfEPKS1_S3_PS1_EviT_T9_T10_S5_lS7_S5_lS6_T11_S5_li.has_indirect_call, 0
	.section	.AMDGPU.csdata,"",@progbits
; Kernel info:
; codeLenInByte = 2540
; TotalNumSgprs: 28
; NumVgprs: 59
; ScratchSize: 0
; MemoryBound: 1
; FloatMode: 240
; IeeeMode: 1
; LDSByteSize: 4096 bytes/workgroup (compile time only)
; SGPRBlocks: 0
; VGPRBlocks: 7
; NumSGPRsForWavesPerEU: 28
; NumVGPRsForWavesPerEU: 59
; Occupancy: 16
; WaveLimiterHint : 0
; COMPUTE_PGM_RSRC2:SCRATCH_EN: 0
; COMPUTE_PGM_RSRC2:USER_SGPR: 6
; COMPUTE_PGM_RSRC2:TRAP_HANDLER: 0
; COMPUTE_PGM_RSRC2:TGID_X_EN: 1
; COMPUTE_PGM_RSRC2:TGID_Y_EN: 1
; COMPUTE_PGM_RSRC2:TGID_Z_EN: 1
; COMPUTE_PGM_RSRC2:TIDIG_COMP_CNT: 1
	.section	.text._ZL29rocblas_internal_gemmt_kernelIiLi16ELi32ELi8ELc67ELc84ELc85ELb1ELb0E19rocblas_complex_numIfEPKS1_S3_PS1_EviT_T9_T10_S5_lS7_S5_lS6_T11_S5_li,"axG",@progbits,_ZL29rocblas_internal_gemmt_kernelIiLi16ELi32ELi8ELc67ELc84ELc85ELb1ELb0E19rocblas_complex_numIfEPKS1_S3_PS1_EviT_T9_T10_S5_lS7_S5_lS6_T11_S5_li,comdat
	.globl	_ZL29rocblas_internal_gemmt_kernelIiLi16ELi32ELi8ELc67ELc84ELc85ELb1ELb0E19rocblas_complex_numIfEPKS1_S3_PS1_EviT_T9_T10_S5_lS7_S5_lS6_T11_S5_li ; -- Begin function _ZL29rocblas_internal_gemmt_kernelIiLi16ELi32ELi8ELc67ELc84ELc85ELb1ELb0E19rocblas_complex_numIfEPKS1_S3_PS1_EviT_T9_T10_S5_lS7_S5_lS6_T11_S5_li
	.p2align	8
	.type	_ZL29rocblas_internal_gemmt_kernelIiLi16ELi32ELi8ELc67ELc84ELc85ELb1ELb0E19rocblas_complex_numIfEPKS1_S3_PS1_EviT_T9_T10_S5_lS7_S5_lS6_T11_S5_li,@function
_ZL29rocblas_internal_gemmt_kernelIiLi16ELi32ELi8ELc67ELc84ELc85ELb1ELb0E19rocblas_complex_numIfEPKS1_S3_PS1_EviT_T9_T10_S5_lS7_S5_lS6_T11_S5_li: ; @_ZL29rocblas_internal_gemmt_kernelIiLi16ELi32ELi8ELc67ELc84ELc85ELb1ELb0E19rocblas_complex_numIfEPKS1_S3_PS1_EviT_T9_T10_S5_lS7_S5_lS6_T11_S5_li
; %bb.0:
	s_clause 0x1
	s_load_dwordx4 s[12:15], s[4:5], 0x38
	s_load_dwordx4 s[0:3], s[4:5], 0x8
	s_waitcnt lgkmcnt(0)
	s_load_dwordx2 s[10:11], s[14:15], 0x0
	s_load_dwordx2 s[20:21], s[4:5], 0x0
	;; [unrolled: 1-line block ×3, first 2 shown]
	s_waitcnt lgkmcnt(0)
	s_and_b32 s0, s11, 0x7fffffff
	v_cmp_eq_f32_e64 s1, s10, 1.0
	s_cmp_eq_u32 s0, 0
	s_mov_b32 s0, 0
	s_cselect_b32 s9, -1, 0
	s_and_b32 s1, s1, s9
	s_andn2_b32 vcc_lo, exec_lo, s1
	s_mov_b32 s1, -1
	s_cbranch_vccnz .LBB79_4
; %bb.1:
	s_cmp_lg_u32 s21, 0
	s_cbranch_scc0 .LBB79_3
; %bb.2:
	v_cmp_neq_f32_e64 s0, s14, 0
	v_cmp_neq_f32_e64 s1, s15, 0
	s_or_b32 s0, s0, s1
.LBB79_3:
	s_mov_b32 s1, s0
.LBB79_4:
	s_and_b32 vcc_lo, exec_lo, s1
	s_cbranch_vccz .LBB79_32
; %bb.5:
	s_load_dwordx2 s[22:23], s[4:5], 0x48
	v_cmp_eq_f32_e64 s0, s14, 0
	v_cmp_eq_f32_e64 s1, s15, 0
	s_lshl_b32 s24, s6, 5
	s_lshl_b32 s25, s7, 5
	v_mov_b32_e32 v20, 0
	v_mov_b32_e32 v21, 0
	s_and_b32 s0, s0, s1
	s_cmp_lt_i32 s21, 1
	v_mov_b32_e32 v18, 0
	s_cselect_b32 s1, -1, 0
	v_mov_b32_e32 v19, 0
	v_mov_b32_e32 v16, 0
	;; [unrolled: 1-line block ×5, first 2 shown]
	s_or_b32 s0, s0, s1
	s_mov_b32 s26, 0
	s_and_b32 vcc_lo, exec_lo, s0
	s_cbranch_vccnz .LBB79_16
; %bb.6:
	s_load_dword s0, s[4:5], 0x18
	v_lshl_add_u32 v2, v1, 4, v0
	s_clause 0x1
	s_load_dwordx4 s[16:19], s[4:5], 0x20
	s_load_dword s6, s[4:5], 0x30
	v_and_b32_e32 v8, 7, v0
	v_lshlrev_b32_e32 v9, 3, v0
	v_lshl_add_u32 v10, v1, 6, 0x800
	v_and_b32_e32 v4, 31, v2
	v_lshrrev_b32_e32 v5, 3, v2
	v_lshrrev_b32_e32 v11, 5, v2
	v_lshlrev_b32_e32 v2, 3, v8
	v_mov_b32_e32 v19, 0
	v_or_b32_e32 v6, s24, v4
	v_lshlrev_b32_e32 v7, 3, v4
	v_add_nc_u32_e32 v4, s24, v4
	v_add_nc_u32_e32 v3, s25, v5
	v_lshl_or_b32 v2, v5, 6, v2
	v_cmp_gt_i32_e32 vcc_lo, s20, v6
	v_lshl_or_b32 v12, v11, 8, v7
	v_lshlrev_b32_e32 v17, 3, v11
	v_mov_b32_e32 v18, 0
	s_waitcnt lgkmcnt(0)
	v_mad_i64_i32 v[5:6], null, s0, v4, 0
	s_mul_i32 s1, s17, s8
	s_mul_hi_u32 s17, s16, s8
	v_mad_i64_i32 v[14:15], null, s6, v8, 0
	s_mul_i32 s16, s16, s8
	s_add_i32 s17, s17, s1
	v_lshlrev_b64 v[5:6], 3, v[5:6]
	s_lshl_b64 s[16:17], s[16:17], 3
	v_ashrrev_i32_e32 v4, 31, v3
	v_cmp_gt_i32_e64 s0, s20, v3
	v_add_nc_u32_e32 v13, 0x800, v2
	v_mov_b32_e32 v2, 0
	v_add_co_u32 v7, s1, v5, s16
	v_add_co_ci_u32_e64 v16, null, s17, v6, s1
	s_mul_i32 s1, s13, s8
	s_mul_hi_u32 s13, s12, s8
	v_lshlrev_b64 v[5:6], 3, v[14:15]
	s_add_i32 s13, s13, s1
	s_mul_i32 s12, s12, s8
	v_add_co_u32 v7, s1, v7, v17
	s_lshl_b64 s[12:13], s[12:13], 3
	v_lshlrev_b64 v[3:4], 3, v[3:4]
	v_add_co_ci_u32_e64 v14, null, 0, v16, s1
	v_add_co_u32 v5, s1, s12, v5
	v_add_co_ci_u32_e64 v6, null, s13, v6, s1
	v_add_co_u32 v7, s1, s2, v7
	;; [unrolled: 2-line block ×5, first 2 shown]
	v_add_co_ci_u32_e64 v7, null, s19, v15, s1
	v_mov_b32_e32 v15, 0
	v_mov_b32_e32 v14, 0
	;; [unrolled: 1-line block ×6, first 2 shown]
	s_ashr_i32 s7, s6, 31
	s_xor_b32 s1, vcc_lo, -1
	s_lshl_b64 s[2:3], s[6:7], 6
	s_xor_b32 s0, s0, -1
	s_branch .LBB79_8
.LBB79_7:                               ;   in Loop: Header=BB79_8 Depth=1
	s_or_b32 exec_lo, exec_lo, s6
	s_waitcnt lgkmcnt(0)
	s_barrier
	buffer_gl0_inv
	ds_read_b128 v[22:25], v10
	ds_read2_b64 v[26:29], v9 offset1:16
	ds_read_b128 v[30:33], v10 offset:1024
	ds_read_b128 v[34:37], v10 offset:16
	;; [unrolled: 1-line block ×4, first 2 shown]
	ds_read2_b64 v[46:49], v9 offset0:32 offset1:48
	ds_read_b128 v[50:53], v10 offset:1040
	v_add_co_u32 v4, vcc_lo, v4, 64
	v_add_co_ci_u32_e64 v5, null, 0, v5, vcc_lo
	v_add_co_u32 v6, vcc_lo, v6, s2
	v_add_co_ci_u32_e64 v7, null, s3, v7, vcc_lo
	s_add_i32 s26, s26, 8
	s_cmp_lt_i32 s26, s21
	s_waitcnt lgkmcnt(6)
	v_mul_f32_e32 v3, v23, v27
	v_mul_f32_e32 v54, v22, v27
	;; [unrolled: 1-line block ×4, first 2 shown]
	s_waitcnt lgkmcnt(5)
	v_mul_f32_e32 v57, v31, v27
	v_mul_f32_e32 v27, v30, v27
	;; [unrolled: 1-line block ×3, first 2 shown]
	v_fma_f32 v3, v22, v26, -v3
	v_fmac_f32_e32 v54, v23, v26
	v_fma_f32 v22, v22, v28, -v55
	v_fmac_f32_e32 v56, v23, v28
	;; [unrolled: 2-line block ×3, first 2 shown]
	v_mul_f32_e32 v29, v30, v29
	v_fma_f32 v26, v30, v28, -v58
	v_add_f32_e32 v3, v20, v3
	v_add_f32_e32 v20, v21, v54
	;; [unrolled: 1-line block ×6, first 2 shown]
	s_waitcnt lgkmcnt(1)
	v_mul_f32_e32 v30, v25, v47
	ds_read2_b64 v[16:19], v9 offset0:64 offset1:80
	v_fmac_f32_e32 v29, v31, v28
	v_add_f32_e32 v14, v14, v26
	v_mul_f32_e32 v26, v24, v47
	v_fma_f32 v28, v24, v46, -v30
	v_mul_f32_e32 v30, v25, v49
	v_add_f32_e32 v15, v15, v29
	v_mul_f32_e32 v29, v24, v49
	v_fmac_f32_e32 v26, v25, v46
	v_add_f32_e32 v3, v3, v28
	v_fma_f32 v24, v24, v48, -v30
	v_mul_f32_e32 v28, v33, v47
	v_fmac_f32_e32 v29, v25, v48
	v_add_f32_e32 v26, v20, v26
	v_mul_f32_e32 v20, v32, v47
	v_add_f32_e32 v24, v21, v24
	v_fma_f32 v21, v32, v46, -v28
	v_mul_f32_e32 v25, v33, v49
	v_add_f32_e32 v28, v22, v29
	v_fmac_f32_e32 v20, v33, v46
	v_mul_f32_e32 v29, v32, v49
	v_add_f32_e32 v30, v23, v21
	v_fma_f32 v21, v32, v48, -v25
	s_waitcnt lgkmcnt(0)
	v_mul_f32_e32 v22, v35, v17
	v_add_f32_e32 v25, v27, v20
	v_fmac_f32_e32 v29, v33, v48
	v_mul_f32_e32 v27, v34, v17
	v_add_f32_e32 v14, v14, v21
	v_fma_f32 v31, v34, v16, -v22
	v_mul_f32_e32 v32, v35, v19
	ds_read2_b64 v[20:23], v9 offset0:96 offset1:112
	v_fmac_f32_e32 v27, v35, v16
	v_add_f32_e32 v29, v15, v29
	v_add_f32_e32 v3, v3, v31
	v_mul_f32_e32 v15, v34, v19
	v_fma_f32 v31, v34, v18, -v32
	v_add_f32_e32 v26, v26, v27
	v_mul_f32_e32 v27, v51, v17
	v_mul_f32_e32 v17, v50, v17
	v_fmac_f32_e32 v15, v35, v18
	v_add_f32_e32 v24, v24, v31
	v_mul_f32_e32 v31, v51, v19
	v_mul_f32_e32 v19, v50, v19
	v_fmac_f32_e32 v17, v51, v16
	v_add_f32_e32 v28, v28, v15
	v_fma_f32 v27, v50, v16, -v27
	v_fma_f32 v15, v50, v18, -v31
	v_fmac_f32_e32 v19, v51, v18
	v_add_f32_e32 v31, v25, v17
	s_waitcnt lgkmcnt(0)
	v_mul_f32_e32 v18, v37, v21
	v_add_f32_e32 v32, v14, v15
	ds_read2_b64 v[14:17], v9 offset0:128 offset1:144
	v_add_f32_e32 v30, v30, v27
	v_mul_f32_e32 v25, v36, v21
	v_fma_f32 v18, v36, v20, -v18
	v_mul_f32_e32 v27, v37, v23
	v_add_f32_e32 v29, v29, v19
	v_mul_f32_e32 v19, v36, v23
	v_fmac_f32_e32 v25, v37, v20
	v_add_f32_e32 v3, v3, v18
	v_mul_f32_e32 v18, v53, v21
	v_fma_f32 v27, v36, v22, -v27
	v_fmac_f32_e32 v19, v37, v22
	v_mul_f32_e32 v21, v52, v21
	v_mul_f32_e32 v35, v53, v23
	v_fma_f32 v18, v52, v20, -v18
	v_add_f32_e32 v33, v26, v25
	v_add_f32_e32 v34, v24, v27
	ds_read_b128 v[24:27], v10 offset:1056
	v_add_f32_e32 v36, v28, v19
	v_fmac_f32_e32 v21, v53, v20
	v_mul_f32_e32 v23, v52, v23
	v_fma_f32 v19, v52, v22, -v35
	v_add_f32_e32 v35, v30, v18
	s_waitcnt lgkmcnt(1)
	v_mul_f32_e32 v18, v39, v15
	v_add_f32_e32 v37, v31, v21
	v_fmac_f32_e32 v23, v53, v22
	v_add_f32_e32 v22, v32, v19
	v_mul_f32_e32 v32, v38, v15
	v_fma_f32 v28, v38, v14, -v18
	ds_read2_b64 v[18:21], v9 offset0:160 offset1:176
	v_mul_f32_e32 v30, v39, v17
	v_mul_f32_e32 v46, v38, v17
	v_fmac_f32_e32 v32, v39, v14
	v_add_f32_e32 v23, v29, v23
	v_add_f32_e32 v3, v3, v28
	v_fma_f32 v38, v38, v16, -v30
	ds_read_b128 v[28:31], v10 offset:1072
	s_waitcnt lgkmcnt(2)
	v_mul_f32_e32 v47, v25, v15
	v_add_f32_e32 v32, v33, v32
	v_mul_f32_e32 v15, v24, v15
	v_add_f32_e32 v33, v34, v38
	v_mul_f32_e32 v38, v25, v17
	v_fmac_f32_e32 v46, v39, v16
	v_fma_f32 v34, v24, v14, -v47
	v_fmac_f32_e32 v15, v25, v14
	v_mul_f32_e32 v39, v24, v17
	v_fma_f32 v14, v24, v16, -v38
	v_add_f32_e32 v36, v36, v46
	v_add_f32_e32 v34, v35, v34
	s_waitcnt lgkmcnt(1)
	v_mul_f32_e32 v17, v41, v19
	v_add_f32_e32 v24, v37, v15
	v_fmac_f32_e32 v39, v25, v16
	v_mul_f32_e32 v25, v40, v19
	v_add_f32_e32 v22, v22, v14
	v_fma_f32 v35, v40, v18, -v17
	ds_read2_b64 v[14:17], v9 offset0:192 offset1:208
	v_mul_f32_e32 v37, v41, v21
	v_fmac_f32_e32 v25, v41, v18
	v_add_f32_e32 v38, v23, v39
	v_add_f32_e32 v3, v3, v35
	v_mul_f32_e32 v23, v40, v21
	v_fma_f32 v35, v40, v20, -v37
	v_add_f32_e32 v32, v32, v25
	v_mul_f32_e32 v25, v27, v19
	v_mul_f32_e32 v19, v26, v19
	v_fmac_f32_e32 v23, v41, v20
	v_add_f32_e32 v33, v33, v35
	v_mul_f32_e32 v35, v27, v21
	v_fma_f32 v25, v26, v18, -v25
	v_fmac_f32_e32 v19, v27, v18
	v_add_f32_e32 v18, v36, v23
	v_mul_f32_e32 v21, v26, v21
	v_fma_f32 v23, v26, v20, -v35
	v_add_f32_e32 v26, v34, v25
	v_add_f32_e32 v19, v24, v19
	s_waitcnt lgkmcnt(0)
	v_mul_f32_e32 v34, v43, v15
	v_fmac_f32_e32 v21, v27, v20
	v_add_f32_e32 v20, v22, v23
	ds_read2_b64 v[22:25], v9 offset0:224 offset1:240
	v_mul_f32_e32 v27, v42, v15
	v_fma_f32 v34, v42, v14, -v34
	v_mul_f32_e32 v35, v43, v17
	v_mul_f32_e32 v36, v42, v17
	v_add_f32_e32 v21, v38, v21
	v_fmac_f32_e32 v27, v43, v14
	v_add_f32_e32 v3, v3, v34
	v_mul_f32_e32 v34, v29, v15
	v_fma_f32 v35, v42, v16, -v35
	v_fmac_f32_e32 v36, v43, v16
	v_add_f32_e32 v27, v32, v27
	v_mul_f32_e32 v15, v28, v15
	v_fma_f32 v32, v28, v14, -v34
	v_mul_f32_e32 v34, v29, v17
	v_add_f32_e32 v33, v33, v35
	v_add_f32_e32 v35, v18, v36
	v_fmac_f32_e32 v15, v29, v14
	v_add_f32_e32 v14, v26, v32
	v_mul_f32_e32 v17, v28, v17
	v_fma_f32 v18, v28, v16, -v34
	s_waitcnt lgkmcnt(0)
	v_mul_f32_e32 v26, v45, v23
	v_mul_f32_e32 v28, v44, v23
	v_add_f32_e32 v15, v19, v15
	v_fmac_f32_e32 v17, v29, v16
	v_add_f32_e32 v29, v20, v18
	v_fma_f32 v16, v44, v22, -v26
	v_mul_f32_e32 v18, v45, v25
	v_mul_f32_e32 v19, v44, v25
	v_add_f32_e32 v26, v21, v17
	v_mul_f32_e32 v17, v30, v23
	v_add_f32_e32 v20, v3, v16
	v_fma_f32 v3, v44, v24, -v18
	v_mul_f32_e32 v16, v31, v23
	v_mul_f32_e32 v23, v31, v25
	;; [unrolled: 1-line block ×3, first 2 shown]
	v_fmac_f32_e32 v28, v45, v22
	v_fmac_f32_e32 v19, v45, v24
	v_add_f32_e32 v18, v33, v3
	v_fma_f32 v3, v30, v22, -v16
	v_fmac_f32_e32 v17, v31, v22
	v_fma_f32 v22, v30, v24, -v23
	v_fmac_f32_e32 v25, v31, v24
	v_add_f32_e32 v21, v27, v28
	v_add_f32_e32 v19, v35, v19
	;; [unrolled: 1-line block ×6, first 2 shown]
	s_barrier
	buffer_gl0_inv
	s_cbranch_scc0 .LBB79_16
.LBB79_8:                               ; =>This Inner Loop Header: Depth=1
	v_add_nc_u32_e32 v3, s26, v11
	v_cmp_le_i32_e32 vcc_lo, s21, v3
	s_or_b32 s6, s1, vcc_lo
	s_and_saveexec_b32 s7, s6
	s_xor_b32 s6, exec_lo, s7
; %bb.9:                                ;   in Loop: Header=BB79_8 Depth=1
	ds_write_b32 v12, v2
; %bb.10:                               ;   in Loop: Header=BB79_8 Depth=1
	s_or_saveexec_b32 s6, s6
	v_mov_b32_e32 v3, 0
	s_xor_b32 exec_lo, exec_lo, s6
	s_cbranch_execz .LBB79_12
; %bb.11:                               ;   in Loop: Header=BB79_8 Depth=1
	global_load_dwordx2 v[22:23], v[4:5], off offset:-4
	s_waitcnt vmcnt(0)
	v_xor_b32_e32 v3, 0x80000000, v23
	ds_write_b32 v12, v22
.LBB79_12:                              ;   in Loop: Header=BB79_8 Depth=1
	s_or_b32 exec_lo, exec_lo, s6
	v_add_nc_u32_e32 v22, s26, v8
	ds_write_b32 v12, v3 offset:4
	v_cmp_le_i32_e32 vcc_lo, s21, v22
	s_or_b32 s6, vcc_lo, s0
	s_and_saveexec_b32 s7, s6
	s_xor_b32 s6, exec_lo, s7
; %bb.13:                               ;   in Loop: Header=BB79_8 Depth=1
	v_mov_b32_e32 v3, v2
	ds_write_b64 v13, v[2:3]
; %bb.14:                               ;   in Loop: Header=BB79_8 Depth=1
	s_andn2_saveexec_b32 s6, s6
	s_cbranch_execz .LBB79_7
; %bb.15:                               ;   in Loop: Header=BB79_8 Depth=1
	global_load_dwordx2 v[22:23], v[6:7], off
	s_waitcnt vmcnt(0)
	ds_write_b64 v13, v[22:23]
	s_branch .LBB79_7
.LBB79_16:
	s_clause 0x1
	s_load_dword s2, s[4:5], 0x50
	s_load_dwordx2 s[4:5], s[4:5], 0x58
	v_add_nc_u32_e32 v9, s25, v1
	v_add_nc_u32_e32 v0, s24, v0
	v_cmp_neq_f32_e64 s6, s10, 0
	v_cmp_gt_i32_e64 s0, s20, v9
	v_cmp_le_i32_e32 vcc_lo, v0, v9
	s_waitcnt lgkmcnt(0)
	v_mad_i64_i32 v[1:2], null, v9, s2, 0
	s_mul_i32 s1, s5, s8
	s_mul_hi_u32 s3, s4, s8
	s_mul_i32 s4, s4, s8
	s_add_i32 s5, s3, s1
	s_lshl_b64 s[4:5], s[4:5], 3
	v_lshlrev_b64 v[2:3], 3, v[1:2]
	s_add_u32 s3, s22, s4
	s_addc_u32 s4, s23, s5
	s_xor_b32 s5, s9, -1
	v_ashrrev_i32_e32 v1, 31, v0
	s_or_b32 s5, s6, s5
	v_add_co_u32 v6, s1, s3, v2
	v_add_co_ci_u32_e64 v7, null, s4, v3, s1
	v_cndmask_b32_e64 v8, 0, 1, s5
	s_and_b32 s6, s0, vcc_lo
	s_and_saveexec_b32 s1, s6
	s_cbranch_execz .LBB79_20
; %bb.17:
	v_lshlrev_b64 v[4:5], 3, v[0:1]
	v_mul_f32_e32 v2, s15, v21
	v_mul_f32_e32 v3, s14, v21
	v_fma_f32 v2, v20, s14, -v2
	v_add_co_u32 v4, vcc_lo, v6, v4
	v_fmac_f32_e32 v3, s15, v20
	v_add_co_ci_u32_e64 v5, null, v7, v5, vcc_lo
	s_andn2_b32 vcc_lo, exec_lo, s5
	s_cbranch_vccnz .LBB79_19
; %bb.18:
	global_load_dwordx2 v[10:11], v[4:5], off
	s_waitcnt vmcnt(0)
	v_mul_f32_e32 v12, s11, v11
	v_mul_f32_e32 v11, s10, v11
	v_fma_f32 v12, v10, s10, -v12
	v_fmac_f32_e32 v11, s11, v10
	v_add_f32_e32 v2, v2, v12
	v_add_f32_e32 v3, v3, v11
.LBB79_19:
	global_store_dwordx2 v[4:5], v[2:3], off
.LBB79_20:
	s_or_b32 exec_lo, exec_lo, s1
	v_add_nc_u32_e32 v2, 16, v0
	v_cmp_le_i32_e32 vcc_lo, v2, v9
	v_ashrrev_i32_e32 v3, 31, v2
	s_and_b32 s0, s0, vcc_lo
	s_and_saveexec_b32 s1, s0
	s_cbranch_execz .LBB79_24
; %bb.21:
	v_lshlrev_b64 v[10:11], 3, v[2:3]
	v_mul_f32_e32 v4, s15, v19
	v_mul_f32_e32 v5, s14, v19
	v_cmp_ne_u32_e32 vcc_lo, 1, v8
	v_fma_f32 v4, v18, s14, -v4
	v_add_co_u32 v6, s0, v6, v10
	v_fmac_f32_e32 v5, s15, v18
	v_add_co_ci_u32_e64 v7, null, v7, v11, s0
	s_cbranch_vccnz .LBB79_23
; %bb.22:
	global_load_dwordx2 v[10:11], v[6:7], off
	s_waitcnt vmcnt(0)
	v_mul_f32_e32 v12, s11, v11
	v_mul_f32_e32 v11, s10, v11
	v_fma_f32 v12, v10, s10, -v12
	v_fmac_f32_e32 v11, s11, v10
	v_add_f32_e32 v4, v4, v12
	v_add_f32_e32 v5, v5, v11
.LBB79_23:
	global_store_dwordx2 v[6:7], v[4:5], off
.LBB79_24:
	s_or_b32 exec_lo, exec_lo, s1
	v_add_nc_u32_e32 v9, 16, v9
	v_mad_i64_i32 v[4:5], null, v9, s2, 0
	v_cmp_gt_i32_e64 s0, s20, v9
	v_cmp_le_i32_e32 vcc_lo, v0, v9
	v_lshlrev_b64 v[4:5], 3, v[4:5]
	v_add_co_u32 v6, s1, s3, v4
	v_add_co_ci_u32_e64 v7, null, s4, v5, s1
	s_and_b32 s1, s0, vcc_lo
	s_and_saveexec_b32 s2, s1
	s_cbranch_execz .LBB79_28
; %bb.25:
	v_lshlrev_b64 v[0:1], 3, v[0:1]
	v_mul_f32_e32 v4, s15, v17
	v_mul_f32_e32 v5, s14, v17
	v_cmp_ne_u32_e32 vcc_lo, 1, v8
	v_fma_f32 v4, v16, s14, -v4
	v_add_co_u32 v0, s1, v6, v0
	v_fmac_f32_e32 v5, s15, v16
	v_add_co_ci_u32_e64 v1, null, v7, v1, s1
	s_cbranch_vccnz .LBB79_27
; %bb.26:
	global_load_dwordx2 v[10:11], v[0:1], off
	s_waitcnt vmcnt(0)
	v_mul_f32_e32 v12, s11, v11
	v_mul_f32_e32 v11, s10, v11
	v_fma_f32 v12, v10, s10, -v12
	v_fmac_f32_e32 v11, s11, v10
	v_add_f32_e32 v4, v4, v12
	v_add_f32_e32 v5, v5, v11
.LBB79_27:
	global_store_dwordx2 v[0:1], v[4:5], off
.LBB79_28:
	s_or_b32 exec_lo, exec_lo, s2
	v_cmp_le_i32_e32 vcc_lo, v2, v9
	s_and_b32 s0, s0, vcc_lo
	s_and_saveexec_b32 s1, s0
	s_cbranch_execz .LBB79_32
; %bb.29:
	v_lshlrev_b64 v[2:3], 3, v[2:3]
	v_mul_f32_e32 v0, s15, v15
	v_mul_f32_e32 v1, s14, v15
	v_cmp_ne_u32_e32 vcc_lo, 1, v8
	v_fma_f32 v0, v14, s14, -v0
	v_add_co_u32 v2, s0, v6, v2
	v_fmac_f32_e32 v1, s15, v14
	v_add_co_ci_u32_e64 v3, null, v7, v3, s0
	s_cbranch_vccnz .LBB79_31
; %bb.30:
	global_load_dwordx2 v[4:5], v[2:3], off
	s_waitcnt vmcnt(0)
	v_mul_f32_e32 v6, s11, v5
	v_mul_f32_e32 v5, s10, v5
	v_fma_f32 v6, v4, s10, -v6
	v_fmac_f32_e32 v5, s11, v4
	v_add_f32_e32 v0, v0, v6
	v_add_f32_e32 v1, v1, v5
.LBB79_31:
	global_store_dwordx2 v[2:3], v[0:1], off
.LBB79_32:
	s_endpgm
	.section	.rodata,"a",@progbits
	.p2align	6, 0x0
	.amdhsa_kernel _ZL29rocblas_internal_gemmt_kernelIiLi16ELi32ELi8ELc67ELc84ELc85ELb1ELb0E19rocblas_complex_numIfEPKS1_S3_PS1_EviT_T9_T10_S5_lS7_S5_lS6_T11_S5_li
		.amdhsa_group_segment_fixed_size 4096
		.amdhsa_private_segment_fixed_size 0
		.amdhsa_kernarg_size 100
		.amdhsa_user_sgpr_count 6
		.amdhsa_user_sgpr_private_segment_buffer 1
		.amdhsa_user_sgpr_dispatch_ptr 0
		.amdhsa_user_sgpr_queue_ptr 0
		.amdhsa_user_sgpr_kernarg_segment_ptr 1
		.amdhsa_user_sgpr_dispatch_id 0
		.amdhsa_user_sgpr_flat_scratch_init 0
		.amdhsa_user_sgpr_private_segment_size 0
		.amdhsa_wavefront_size32 1
		.amdhsa_uses_dynamic_stack 0
		.amdhsa_system_sgpr_private_segment_wavefront_offset 0
		.amdhsa_system_sgpr_workgroup_id_x 1
		.amdhsa_system_sgpr_workgroup_id_y 1
		.amdhsa_system_sgpr_workgroup_id_z 1
		.amdhsa_system_sgpr_workgroup_info 0
		.amdhsa_system_vgpr_workitem_id 1
		.amdhsa_next_free_vgpr 59
		.amdhsa_next_free_sgpr 27
		.amdhsa_reserve_vcc 1
		.amdhsa_reserve_flat_scratch 0
		.amdhsa_float_round_mode_32 0
		.amdhsa_float_round_mode_16_64 0
		.amdhsa_float_denorm_mode_32 3
		.amdhsa_float_denorm_mode_16_64 3
		.amdhsa_dx10_clamp 1
		.amdhsa_ieee_mode 1
		.amdhsa_fp16_overflow 0
		.amdhsa_workgroup_processor_mode 1
		.amdhsa_memory_ordered 1
		.amdhsa_forward_progress 1
		.amdhsa_shared_vgpr_count 0
		.amdhsa_exception_fp_ieee_invalid_op 0
		.amdhsa_exception_fp_denorm_src 0
		.amdhsa_exception_fp_ieee_div_zero 0
		.amdhsa_exception_fp_ieee_overflow 0
		.amdhsa_exception_fp_ieee_underflow 0
		.amdhsa_exception_fp_ieee_inexact 0
		.amdhsa_exception_int_div_zero 0
	.end_amdhsa_kernel
	.section	.text._ZL29rocblas_internal_gemmt_kernelIiLi16ELi32ELi8ELc67ELc84ELc85ELb1ELb0E19rocblas_complex_numIfEPKS1_S3_PS1_EviT_T9_T10_S5_lS7_S5_lS6_T11_S5_li,"axG",@progbits,_ZL29rocblas_internal_gemmt_kernelIiLi16ELi32ELi8ELc67ELc84ELc85ELb1ELb0E19rocblas_complex_numIfEPKS1_S3_PS1_EviT_T9_T10_S5_lS7_S5_lS6_T11_S5_li,comdat
.Lfunc_end79:
	.size	_ZL29rocblas_internal_gemmt_kernelIiLi16ELi32ELi8ELc67ELc84ELc85ELb1ELb0E19rocblas_complex_numIfEPKS1_S3_PS1_EviT_T9_T10_S5_lS7_S5_lS6_T11_S5_li, .Lfunc_end79-_ZL29rocblas_internal_gemmt_kernelIiLi16ELi32ELi8ELc67ELc84ELc85ELb1ELb0E19rocblas_complex_numIfEPKS1_S3_PS1_EviT_T9_T10_S5_lS7_S5_lS6_T11_S5_li
                                        ; -- End function
	.set _ZL29rocblas_internal_gemmt_kernelIiLi16ELi32ELi8ELc67ELc84ELc85ELb1ELb0E19rocblas_complex_numIfEPKS1_S3_PS1_EviT_T9_T10_S5_lS7_S5_lS6_T11_S5_li.num_vgpr, 59
	.set _ZL29rocblas_internal_gemmt_kernelIiLi16ELi32ELi8ELc67ELc84ELc85ELb1ELb0E19rocblas_complex_numIfEPKS1_S3_PS1_EviT_T9_T10_S5_lS7_S5_lS6_T11_S5_li.num_agpr, 0
	.set _ZL29rocblas_internal_gemmt_kernelIiLi16ELi32ELi8ELc67ELc84ELc85ELb1ELb0E19rocblas_complex_numIfEPKS1_S3_PS1_EviT_T9_T10_S5_lS7_S5_lS6_T11_S5_li.numbered_sgpr, 27
	.set _ZL29rocblas_internal_gemmt_kernelIiLi16ELi32ELi8ELc67ELc84ELc85ELb1ELb0E19rocblas_complex_numIfEPKS1_S3_PS1_EviT_T9_T10_S5_lS7_S5_lS6_T11_S5_li.num_named_barrier, 0
	.set _ZL29rocblas_internal_gemmt_kernelIiLi16ELi32ELi8ELc67ELc84ELc85ELb1ELb0E19rocblas_complex_numIfEPKS1_S3_PS1_EviT_T9_T10_S5_lS7_S5_lS6_T11_S5_li.private_seg_size, 0
	.set _ZL29rocblas_internal_gemmt_kernelIiLi16ELi32ELi8ELc67ELc84ELc85ELb1ELb0E19rocblas_complex_numIfEPKS1_S3_PS1_EviT_T9_T10_S5_lS7_S5_lS6_T11_S5_li.uses_vcc, 1
	.set _ZL29rocblas_internal_gemmt_kernelIiLi16ELi32ELi8ELc67ELc84ELc85ELb1ELb0E19rocblas_complex_numIfEPKS1_S3_PS1_EviT_T9_T10_S5_lS7_S5_lS6_T11_S5_li.uses_flat_scratch, 0
	.set _ZL29rocblas_internal_gemmt_kernelIiLi16ELi32ELi8ELc67ELc84ELc85ELb1ELb0E19rocblas_complex_numIfEPKS1_S3_PS1_EviT_T9_T10_S5_lS7_S5_lS6_T11_S5_li.has_dyn_sized_stack, 0
	.set _ZL29rocblas_internal_gemmt_kernelIiLi16ELi32ELi8ELc67ELc84ELc85ELb1ELb0E19rocblas_complex_numIfEPKS1_S3_PS1_EviT_T9_T10_S5_lS7_S5_lS6_T11_S5_li.has_recursion, 0
	.set _ZL29rocblas_internal_gemmt_kernelIiLi16ELi32ELi8ELc67ELc84ELc85ELb1ELb0E19rocblas_complex_numIfEPKS1_S3_PS1_EviT_T9_T10_S5_lS7_S5_lS6_T11_S5_li.has_indirect_call, 0
	.section	.AMDGPU.csdata,"",@progbits
; Kernel info:
; codeLenInByte = 2560
; TotalNumSgprs: 29
; NumVgprs: 59
; ScratchSize: 0
; MemoryBound: 1
; FloatMode: 240
; IeeeMode: 1
; LDSByteSize: 4096 bytes/workgroup (compile time only)
; SGPRBlocks: 0
; VGPRBlocks: 7
; NumSGPRsForWavesPerEU: 29
; NumVGPRsForWavesPerEU: 59
; Occupancy: 16
; WaveLimiterHint : 0
; COMPUTE_PGM_RSRC2:SCRATCH_EN: 0
; COMPUTE_PGM_RSRC2:USER_SGPR: 6
; COMPUTE_PGM_RSRC2:TRAP_HANDLER: 0
; COMPUTE_PGM_RSRC2:TGID_X_EN: 1
; COMPUTE_PGM_RSRC2:TGID_Y_EN: 1
; COMPUTE_PGM_RSRC2:TGID_Z_EN: 1
; COMPUTE_PGM_RSRC2:TIDIG_COMP_CNT: 1
	.section	.text._ZL29rocblas_internal_gemmt_kernelIiLi16ELi32ELi8ELc67ELc67ELc85ELb1ELb1E19rocblas_complex_numIfEPKS1_S3_PS1_EviT_T9_T10_S5_lS7_S5_lS6_T11_S5_li,"axG",@progbits,_ZL29rocblas_internal_gemmt_kernelIiLi16ELi32ELi8ELc67ELc67ELc85ELb1ELb1E19rocblas_complex_numIfEPKS1_S3_PS1_EviT_T9_T10_S5_lS7_S5_lS6_T11_S5_li,comdat
	.globl	_ZL29rocblas_internal_gemmt_kernelIiLi16ELi32ELi8ELc67ELc67ELc85ELb1ELb1E19rocblas_complex_numIfEPKS1_S3_PS1_EviT_T9_T10_S5_lS7_S5_lS6_T11_S5_li ; -- Begin function _ZL29rocblas_internal_gemmt_kernelIiLi16ELi32ELi8ELc67ELc67ELc85ELb1ELb1E19rocblas_complex_numIfEPKS1_S3_PS1_EviT_T9_T10_S5_lS7_S5_lS6_T11_S5_li
	.p2align	8
	.type	_ZL29rocblas_internal_gemmt_kernelIiLi16ELi32ELi8ELc67ELc67ELc85ELb1ELb1E19rocblas_complex_numIfEPKS1_S3_PS1_EviT_T9_T10_S5_lS7_S5_lS6_T11_S5_li,@function
_ZL29rocblas_internal_gemmt_kernelIiLi16ELi32ELi8ELc67ELc67ELc85ELb1ELb1E19rocblas_complex_numIfEPKS1_S3_PS1_EviT_T9_T10_S5_lS7_S5_lS6_T11_S5_li: ; @_ZL29rocblas_internal_gemmt_kernelIiLi16ELi32ELi8ELc67ELc67ELc85ELb1ELb1E19rocblas_complex_numIfEPKS1_S3_PS1_EviT_T9_T10_S5_lS7_S5_lS6_T11_S5_li
; %bb.0:
	s_clause 0x1
	s_load_dwordx4 s[12:15], s[4:5], 0x38
	s_load_dwordx4 s[0:3], s[4:5], 0x8
	s_waitcnt lgkmcnt(0)
	s_load_dwordx2 s[10:11], s[14:15], 0x0
	s_load_dwordx2 s[20:21], s[4:5], 0x0
	s_load_dwordx2 s[14:15], s[0:1], 0x0
	s_waitcnt lgkmcnt(0)
	s_and_b32 s0, s11, 0x7fffffff
	v_cmp_eq_f32_e64 s1, s10, 1.0
	s_cmp_eq_u32 s0, 0
	s_mov_b32 s0, 0
	s_cselect_b32 s9, -1, 0
	s_and_b32 s1, s1, s9
	s_andn2_b32 vcc_lo, exec_lo, s1
	s_mov_b32 s1, -1
	s_cbranch_vccnz .LBB80_4
; %bb.1:
	s_cmp_lg_u32 s21, 0
	s_cbranch_scc0 .LBB80_3
; %bb.2:
	v_cmp_neq_f32_e64 s0, s14, 0
	v_cmp_neq_f32_e64 s1, s15, 0
	s_or_b32 s0, s0, s1
.LBB80_3:
	s_mov_b32 s1, s0
.LBB80_4:
	s_and_b32 vcc_lo, exec_lo, s1
	s_cbranch_vccz .LBB80_32
; %bb.5:
	s_load_dwordx2 s[22:23], s[4:5], 0x48
	v_cmp_eq_f32_e64 s0, s14, 0
	v_cmp_eq_f32_e64 s1, s15, 0
	s_lshl_b32 s24, s6, 5
	s_lshl_b32 s25, s7, 5
	v_mov_b32_e32 v19, 0
	v_mov_b32_e32 v20, 0
	s_and_b32 s0, s0, s1
	s_cmp_lt_i32 s21, 1
	v_mov_b32_e32 v17, 0
	s_cselect_b32 s1, -1, 0
	v_mov_b32_e32 v18, 0
	v_mov_b32_e32 v15, 0
	;; [unrolled: 1-line block ×5, first 2 shown]
	s_or_b32 s0, s0, s1
	s_mov_b32 s26, 0
	s_and_b32 vcc_lo, exec_lo, s0
	s_cbranch_vccnz .LBB80_16
; %bb.6:
	s_load_dword s1, s[4:5], 0x18
	v_lshl_add_u32 v2, v1, 4, v0
	s_clause 0x1
	s_load_dwordx4 s[16:19], s[4:5], 0x20
	s_load_dword s6, s[4:5], 0x30
	v_and_b32_e32 v6, 7, v0
	s_mul_i32 s13, s13, s8
	s_mul_hi_u32 s27, s12, s8
	v_and_b32_e32 v3, 31, v2
	v_lshrrev_b32_e32 v4, 3, v2
	v_lshlrev_b32_e32 v5, 3, v6
	v_lshrrev_b32_e32 v9, 5, v2
	s_add_i32 s13, s27, s13
	v_or_b32_e32 v10, s24, v3
	v_lshlrev_b32_e32 v11, 3, v3
	v_add_nc_u32_e32 v3, s24, v3
	v_add_nc_u32_e32 v2, s25, v4
	v_lshl_or_b32 v12, v4, 6, v5
	v_cmp_gt_i32_e32 vcc_lo, s20, v10
	v_lshl_or_b32 v10, v9, 8, v11
	s_mul_i32 s12, s12, s8
	v_cmp_gt_i32_e64 s0, s20, v2
	s_waitcnt lgkmcnt(0)
	v_mad_i64_i32 v[4:5], null, s1, v3, 0
	v_add_nc_u32_e32 v11, 0x800, v12
	s_mul_i32 s1, s17, s8
	s_mul_hi_u32 s17, s16, s8
	v_mad_i64_i32 v[12:13], null, s6, v6, 0
	s_mul_i32 s16, s16, s8
	v_lshlrev_b64 v[4:5], 3, v[4:5]
	s_add_i32 s17, s17, s1
	v_ashrrev_i32_e32 v3, 31, v2
	s_lshl_b64 s[16:17], s[16:17], 3
	s_lshl_b64 s[12:13], s[12:13], 3
	v_lshlrev_b32_e32 v7, 3, v0
	v_add_co_u32 v14, s1, v4, s16
	v_add_co_ci_u32_e64 v15, null, s17, v5, s1
	v_lshlrev_b64 v[4:5], 3, v[12:13]
	v_lshlrev_b64 v[2:3], 3, v[2:3]
	v_lshlrev_b32_e32 v13, 3, v9
	v_lshl_add_u32 v8, v1, 6, 0x800
	v_mov_b32_e32 v12, 0
	v_mov_b32_e32 v16, 0
	v_add_co_u32 v4, s1, s12, v4
	v_add_co_ci_u32_e64 v5, null, s13, v5, s1
	v_mov_b32_e32 v18, 0
	v_add_co_u32 v2, s1, v4, v2
	v_add_co_ci_u32_e64 v3, null, v5, v3, s1
	v_add_co_u32 v4, s1, v14, v13
	v_add_co_ci_u32_e64 v5, null, 0, v15, s1
	;; [unrolled: 2-line block ×5, first 2 shown]
	v_mov_b32_e32 v14, 0
	v_mov_b32_e32 v13, 0
	;; [unrolled: 1-line block ×6, first 2 shown]
	s_ashr_i32 s7, s6, 31
	s_xor_b32 s1, vcc_lo, -1
	s_lshl_b64 s[2:3], s[6:7], 6
	s_xor_b32 s0, s0, -1
	s_branch .LBB80_8
.LBB80_7:                               ;   in Loop: Header=BB80_8 Depth=1
	s_or_b32 exec_lo, exec_lo, s6
	ds_write_b32 v11, v21 offset:4
	s_waitcnt lgkmcnt(0)
	s_barrier
	buffer_gl0_inv
	ds_read_b128 v[21:24], v8
	ds_read2_b64 v[25:28], v7 offset1:16
	ds_read_b128 v[29:32], v8 offset:1024
	ds_read_b128 v[33:36], v8 offset:16
	;; [unrolled: 1-line block ×4, first 2 shown]
	ds_read2_b64 v[45:48], v7 offset0:32 offset1:48
	ds_read_b128 v[49:52], v8 offset:1040
	v_add_co_u32 v2, vcc_lo, v2, 64
	v_add_co_ci_u32_e64 v3, null, 0, v3, vcc_lo
	v_add_co_u32 v4, vcc_lo, v4, s2
	v_add_co_ci_u32_e64 v5, null, s3, v5, vcc_lo
	s_add_i32 s26, s26, 8
	s_cmp_lt_i32 s26, s21
	s_waitcnt lgkmcnt(6)
	v_mul_f32_e32 v53, v22, v26
	v_mul_f32_e32 v54, v21, v26
	;; [unrolled: 1-line block ×4, first 2 shown]
	s_waitcnt lgkmcnt(5)
	v_mul_f32_e32 v57, v30, v26
	v_mul_f32_e32 v26, v29, v26
	;; [unrolled: 1-line block ×3, first 2 shown]
	v_fma_f32 v53, v21, v25, -v53
	v_fmac_f32_e32 v54, v22, v25
	v_fma_f32 v21, v21, v27, -v55
	v_fmac_f32_e32 v56, v22, v27
	;; [unrolled: 2-line block ×3, first 2 shown]
	v_mul_f32_e32 v28, v29, v28
	v_fma_f32 v25, v29, v27, -v58
	v_add_f32_e32 v19, v19, v53
	v_add_f32_e32 v21, v17, v21
	v_add_f32_e32 v29, v18, v56
	v_add_f32_e32 v22, v15, v22
	v_add_f32_e32 v26, v16, v26
	s_waitcnt lgkmcnt(1)
	v_mul_f32_e32 v53, v24, v46
	ds_read2_b64 v[15:18], v7 offset0:64 offset1:80
	v_fmac_f32_e32 v28, v30, v27
	v_add_f32_e32 v13, v13, v25
	v_mul_f32_e32 v25, v23, v46
	v_fma_f32 v27, v23, v45, -v53
	v_mul_f32_e32 v30, v24, v48
	v_add_f32_e32 v20, v20, v54
	v_add_f32_e32 v14, v14, v28
	v_fmac_f32_e32 v25, v24, v45
	v_mul_f32_e32 v28, v23, v48
	v_add_f32_e32 v27, v19, v27
	v_fma_f32 v19, v23, v47, -v30
	v_mul_f32_e32 v23, v32, v46
	v_add_f32_e32 v25, v20, v25
	v_fmac_f32_e32 v28, v24, v47
	v_mul_f32_e32 v20, v31, v46
	v_add_f32_e32 v24, v21, v19
	v_fma_f32 v19, v31, v45, -v23
	v_mul_f32_e32 v21, v32, v48
	v_add_f32_e32 v23, v29, v28
	v_fmac_f32_e32 v20, v32, v45
	v_mul_f32_e32 v28, v31, v48
	v_add_f32_e32 v29, v22, v19
	v_fma_f32 v19, v31, v47, -v21
	s_waitcnt lgkmcnt(0)
	v_mul_f32_e32 v21, v34, v16
	v_add_f32_e32 v26, v26, v20
	v_fmac_f32_e32 v28, v32, v47
	v_mul_f32_e32 v30, v33, v16
	v_add_f32_e32 v13, v13, v19
	v_fma_f32 v31, v33, v15, -v21
	v_mul_f32_e32 v32, v34, v18
	ds_read2_b64 v[19:22], v7 offset0:96 offset1:112
	v_fmac_f32_e32 v30, v34, v15
	v_add_f32_e32 v28, v14, v28
	v_add_f32_e32 v27, v27, v31
	v_mul_f32_e32 v14, v33, v18
	v_fma_f32 v31, v33, v17, -v32
	v_add_f32_e32 v25, v25, v30
	v_mul_f32_e32 v30, v50, v16
	v_mul_f32_e32 v16, v49, v16
	v_fmac_f32_e32 v14, v34, v17
	v_add_f32_e32 v24, v24, v31
	v_mul_f32_e32 v31, v50, v18
	v_fma_f32 v30, v49, v15, -v30
	v_fmac_f32_e32 v16, v50, v15
	v_mul_f32_e32 v18, v49, v18
	v_add_f32_e32 v32, v23, v14
	v_fma_f32 v14, v49, v17, -v31
	v_add_f32_e32 v29, v29, v30
	v_add_f32_e32 v30, v26, v16
	v_fmac_f32_e32 v18, v50, v17
	s_waitcnt lgkmcnt(0)
	v_mul_f32_e32 v17, v36, v20
	v_add_f32_e32 v31, v13, v14
	ds_read2_b64 v[13:16], v7 offset0:128 offset1:144
	v_mul_f32_e32 v23, v35, v20
	v_mul_f32_e32 v26, v36, v22
	v_fma_f32 v17, v35, v19, -v17
	v_add_f32_e32 v28, v28, v18
	v_mul_f32_e32 v18, v35, v22
	v_fmac_f32_e32 v23, v36, v19
	v_fma_f32 v26, v35, v21, -v26
	v_add_f32_e32 v27, v27, v17
	v_mul_f32_e32 v17, v52, v20
	v_fmac_f32_e32 v18, v36, v21
	v_mul_f32_e32 v20, v51, v20
	v_mul_f32_e32 v35, v52, v22
	v_add_f32_e32 v33, v25, v23
	v_fma_f32 v17, v51, v19, -v17
	v_add_f32_e32 v34, v24, v26
	ds_read_b128 v[23:26], v8 offset:1056
	v_add_f32_e32 v32, v32, v18
	v_fmac_f32_e32 v20, v52, v19
	v_mul_f32_e32 v22, v51, v22
	v_fma_f32 v18, v51, v21, -v35
	v_add_f32_e32 v35, v29, v17
	s_waitcnt lgkmcnt(1)
	v_mul_f32_e32 v17, v38, v14
	v_add_f32_e32 v36, v30, v20
	v_fmac_f32_e32 v22, v52, v21
	v_add_f32_e32 v21, v31, v18
	v_mul_f32_e32 v31, v37, v14
	v_fma_f32 v29, v37, v13, -v17
	ds_read2_b64 v[17:20], v7 offset0:160 offset1:176
	v_mul_f32_e32 v30, v38, v16
	v_mul_f32_e32 v46, v37, v16
	v_fmac_f32_e32 v31, v38, v13
	v_add_f32_e32 v22, v28, v22
	v_add_f32_e32 v45, v27, v29
	v_fma_f32 v37, v37, v15, -v30
	ds_read_b128 v[27:30], v8 offset:1072
	s_waitcnt lgkmcnt(2)
	v_mul_f32_e32 v47, v24, v14
	v_add_f32_e32 v31, v33, v31
	v_mul_f32_e32 v14, v23, v14
	v_add_f32_e32 v33, v34, v37
	v_mul_f32_e32 v37, v24, v16
	v_fmac_f32_e32 v46, v38, v15
	v_fma_f32 v34, v23, v13, -v47
	v_fmac_f32_e32 v14, v24, v13
	v_mul_f32_e32 v38, v23, v16
	v_fma_f32 v13, v23, v15, -v37
	v_add_f32_e32 v32, v32, v46
	v_add_f32_e32 v34, v35, v34
	s_waitcnt lgkmcnt(1)
	v_mul_f32_e32 v16, v40, v18
	v_add_f32_e32 v23, v36, v14
	v_fmac_f32_e32 v38, v24, v15
	v_mul_f32_e32 v24, v39, v18
	v_add_f32_e32 v21, v21, v13
	v_fma_f32 v35, v39, v17, -v16
	ds_read2_b64 v[13:16], v7 offset0:192 offset1:208
	v_mul_f32_e32 v36, v40, v20
	v_fmac_f32_e32 v24, v40, v17
	v_add_f32_e32 v37, v22, v38
	v_mul_f32_e32 v22, v39, v20
	v_add_f32_e32 v35, v45, v35
	v_fma_f32 v36, v39, v19, -v36
	v_add_f32_e32 v31, v31, v24
	v_mul_f32_e32 v24, v26, v18
	v_mul_f32_e32 v18, v25, v18
	v_fmac_f32_e32 v22, v40, v19
	v_add_f32_e32 v33, v33, v36
	v_mul_f32_e32 v36, v26, v20
	v_fma_f32 v24, v25, v17, -v24
	v_fmac_f32_e32 v18, v26, v17
	v_add_f32_e32 v17, v32, v22
	v_mul_f32_e32 v20, v25, v20
	v_fma_f32 v22, v25, v19, -v36
	v_add_f32_e32 v25, v34, v24
	v_add_f32_e32 v18, v23, v18
	s_waitcnt lgkmcnt(0)
	v_mul_f32_e32 v32, v42, v14
	v_fmac_f32_e32 v20, v26, v19
	v_add_f32_e32 v19, v21, v22
	ds_read2_b64 v[21:24], v7 offset0:224 offset1:240
	v_mul_f32_e32 v26, v41, v14
	v_fma_f32 v32, v41, v13, -v32
	v_mul_f32_e32 v34, v42, v16
	v_mul_f32_e32 v36, v41, v16
	v_add_f32_e32 v20, v37, v20
	v_fmac_f32_e32 v26, v42, v13
	v_add_f32_e32 v32, v35, v32
	v_mul_f32_e32 v35, v28, v14
	v_fma_f32 v34, v41, v15, -v34
	v_fmac_f32_e32 v36, v42, v15
	v_add_f32_e32 v26, v31, v26
	v_mul_f32_e32 v14, v27, v14
	v_fma_f32 v31, v27, v13, -v35
	v_add_f32_e32 v33, v33, v34
	v_mul_f32_e32 v34, v28, v16
	v_add_f32_e32 v35, v17, v36
	v_fmac_f32_e32 v14, v28, v13
	v_add_f32_e32 v13, v25, v31
	v_mul_f32_e32 v16, v27, v16
	v_fma_f32 v17, v27, v15, -v34
	s_waitcnt lgkmcnt(0)
	v_mul_f32_e32 v25, v44, v22
	v_mul_f32_e32 v27, v43, v22
	v_add_f32_e32 v14, v18, v14
	v_fmac_f32_e32 v16, v28, v15
	v_add_f32_e32 v28, v19, v17
	v_fma_f32 v15, v43, v21, -v25
	v_fmac_f32_e32 v27, v44, v21
	v_mul_f32_e32 v17, v44, v24
	v_mul_f32_e32 v18, v43, v24
	v_add_f32_e32 v25, v20, v16
	v_add_f32_e32 v19, v32, v15
	;; [unrolled: 1-line block ×3, first 2 shown]
	v_fma_f32 v15, v43, v23, -v17
	v_mul_f32_e32 v16, v30, v22
	v_mul_f32_e32 v22, v29, v22
	v_mul_f32_e32 v26, v30, v24
	v_mul_f32_e32 v24, v29, v24
	v_fmac_f32_e32 v18, v44, v23
	v_add_f32_e32 v17, v33, v15
	v_fma_f32 v15, v29, v21, -v16
	v_fmac_f32_e32 v22, v30, v21
	v_fma_f32 v21, v29, v23, -v26
	v_fmac_f32_e32 v24, v30, v23
	v_add_f32_e32 v18, v35, v18
	v_add_f32_e32 v15, v13, v15
	;; [unrolled: 1-line block ×5, first 2 shown]
	s_barrier
	buffer_gl0_inv
	s_cbranch_scc0 .LBB80_16
.LBB80_8:                               ; =>This Inner Loop Header: Depth=1
	v_add_nc_u32_e32 v21, s26, v9
	v_cmp_le_i32_e32 vcc_lo, s21, v21
	s_or_b32 s6, s1, vcc_lo
	s_and_saveexec_b32 s7, s6
	s_xor_b32 s6, exec_lo, s7
; %bb.9:                                ;   in Loop: Header=BB80_8 Depth=1
	ds_write_b32 v10, v12
; %bb.10:                               ;   in Loop: Header=BB80_8 Depth=1
	s_or_saveexec_b32 s6, s6
	v_mov_b32_e32 v21, 0
	s_xor_b32 exec_lo, exec_lo, s6
	s_cbranch_execz .LBB80_12
; %bb.11:                               ;   in Loop: Header=BB80_8 Depth=1
	global_load_dwordx2 v[22:23], v[2:3], off
	s_waitcnt vmcnt(0)
	v_xor_b32_e32 v21, 0x80000000, v23
	ds_write_b32 v10, v22
.LBB80_12:                              ;   in Loop: Header=BB80_8 Depth=1
	s_or_b32 exec_lo, exec_lo, s6
	v_add_nc_u32_e32 v22, s26, v6
	ds_write_b32 v10, v21 offset:4
	v_cmp_le_i32_e32 vcc_lo, s21, v22
	s_or_b32 s6, vcc_lo, s0
	s_and_saveexec_b32 s7, s6
	s_xor_b32 s6, exec_lo, s7
; %bb.13:                               ;   in Loop: Header=BB80_8 Depth=1
	ds_write_b32 v11, v12
; %bb.14:                               ;   in Loop: Header=BB80_8 Depth=1
	s_or_saveexec_b32 s6, s6
	v_mov_b32_e32 v21, 0
	s_xor_b32 exec_lo, exec_lo, s6
	s_cbranch_execz .LBB80_7
; %bb.15:                               ;   in Loop: Header=BB80_8 Depth=1
	global_load_dwordx2 v[22:23], v[4:5], off offset:-4
	s_waitcnt vmcnt(0)
	v_xor_b32_e32 v21, 0x80000000, v23
	ds_write_b32 v11, v22
	s_branch .LBB80_7
.LBB80_16:
	s_clause 0x1
	s_load_dword s2, s[4:5], 0x50
	s_load_dwordx2 s[4:5], s[4:5], 0x58
	v_add_nc_u32_e32 v9, s25, v1
	v_add_nc_u32_e32 v0, s24, v0
	v_cmp_neq_f32_e64 s6, s10, 0
	v_cmp_gt_i32_e64 s0, s20, v9
	v_cmp_le_i32_e32 vcc_lo, v0, v9
	s_waitcnt lgkmcnt(0)
	v_mad_i64_i32 v[1:2], null, v9, s2, 0
	s_mul_i32 s1, s5, s8
	s_mul_hi_u32 s3, s4, s8
	s_mul_i32 s4, s4, s8
	s_add_i32 s5, s3, s1
	s_lshl_b64 s[4:5], s[4:5], 3
	v_lshlrev_b64 v[2:3], 3, v[1:2]
	s_add_u32 s3, s22, s4
	s_addc_u32 s4, s23, s5
	s_xor_b32 s5, s9, -1
	v_ashrrev_i32_e32 v1, 31, v0
	s_or_b32 s5, s6, s5
	v_add_co_u32 v6, s1, s3, v2
	v_add_co_ci_u32_e64 v7, null, s4, v3, s1
	v_cndmask_b32_e64 v8, 0, 1, s5
	s_and_b32 s6, s0, vcc_lo
	s_and_saveexec_b32 s1, s6
	s_cbranch_execz .LBB80_20
; %bb.17:
	v_lshlrev_b64 v[4:5], 3, v[0:1]
	v_mul_f32_e32 v2, s15, v20
	v_mul_f32_e32 v3, s14, v20
	v_fma_f32 v2, v19, s14, -v2
	v_add_co_u32 v4, vcc_lo, v6, v4
	v_fmac_f32_e32 v3, s15, v19
	v_add_co_ci_u32_e64 v5, null, v7, v5, vcc_lo
	s_andn2_b32 vcc_lo, exec_lo, s5
	s_cbranch_vccnz .LBB80_19
; %bb.18:
	global_load_dwordx2 v[10:11], v[4:5], off
	s_waitcnt vmcnt(0)
	v_mul_f32_e32 v12, s11, v11
	v_mul_f32_e32 v11, s10, v11
	v_fma_f32 v12, v10, s10, -v12
	v_fmac_f32_e32 v11, s11, v10
	v_add_f32_e32 v2, v2, v12
	v_add_f32_e32 v3, v3, v11
.LBB80_19:
	global_store_dwordx2 v[4:5], v[2:3], off
.LBB80_20:
	s_or_b32 exec_lo, exec_lo, s1
	v_add_nc_u32_e32 v2, 16, v0
	v_cmp_le_i32_e32 vcc_lo, v2, v9
	v_ashrrev_i32_e32 v3, 31, v2
	s_and_b32 s0, s0, vcc_lo
	s_and_saveexec_b32 s1, s0
	s_cbranch_execz .LBB80_24
; %bb.21:
	v_lshlrev_b64 v[10:11], 3, v[2:3]
	v_mul_f32_e32 v4, s15, v18
	v_mul_f32_e32 v5, s14, v18
	v_cmp_ne_u32_e32 vcc_lo, 1, v8
	v_fma_f32 v4, v17, s14, -v4
	v_add_co_u32 v6, s0, v6, v10
	v_fmac_f32_e32 v5, s15, v17
	v_add_co_ci_u32_e64 v7, null, v7, v11, s0
	s_cbranch_vccnz .LBB80_23
; %bb.22:
	global_load_dwordx2 v[10:11], v[6:7], off
	s_waitcnt vmcnt(0)
	v_mul_f32_e32 v12, s11, v11
	v_mul_f32_e32 v11, s10, v11
	v_fma_f32 v12, v10, s10, -v12
	v_fmac_f32_e32 v11, s11, v10
	v_add_f32_e32 v4, v4, v12
	v_add_f32_e32 v5, v5, v11
.LBB80_23:
	global_store_dwordx2 v[6:7], v[4:5], off
.LBB80_24:
	s_or_b32 exec_lo, exec_lo, s1
	v_add_nc_u32_e32 v9, 16, v9
	v_mad_i64_i32 v[4:5], null, v9, s2, 0
	v_cmp_gt_i32_e64 s0, s20, v9
	v_cmp_le_i32_e32 vcc_lo, v0, v9
	v_lshlrev_b64 v[4:5], 3, v[4:5]
	v_add_co_u32 v6, s1, s3, v4
	v_add_co_ci_u32_e64 v7, null, s4, v5, s1
	s_and_b32 s1, s0, vcc_lo
	s_and_saveexec_b32 s2, s1
	s_cbranch_execz .LBB80_28
; %bb.25:
	v_lshlrev_b64 v[0:1], 3, v[0:1]
	v_mul_f32_e32 v4, s15, v16
	v_mul_f32_e32 v5, s14, v16
	v_cmp_ne_u32_e32 vcc_lo, 1, v8
	v_fma_f32 v4, v15, s14, -v4
	v_add_co_u32 v0, s1, v6, v0
	v_fmac_f32_e32 v5, s15, v15
	v_add_co_ci_u32_e64 v1, null, v7, v1, s1
	s_cbranch_vccnz .LBB80_27
; %bb.26:
	global_load_dwordx2 v[10:11], v[0:1], off
	s_waitcnt vmcnt(0)
	v_mul_f32_e32 v12, s11, v11
	v_mul_f32_e32 v11, s10, v11
	v_fma_f32 v12, v10, s10, -v12
	v_fmac_f32_e32 v11, s11, v10
	v_add_f32_e32 v4, v4, v12
	v_add_f32_e32 v5, v5, v11
.LBB80_27:
	global_store_dwordx2 v[0:1], v[4:5], off
.LBB80_28:
	s_or_b32 exec_lo, exec_lo, s2
	v_cmp_le_i32_e32 vcc_lo, v2, v9
	s_and_b32 s0, s0, vcc_lo
	s_and_saveexec_b32 s1, s0
	s_cbranch_execz .LBB80_32
; %bb.29:
	v_lshlrev_b64 v[2:3], 3, v[2:3]
	v_mul_f32_e32 v0, s15, v14
	v_mul_f32_e32 v1, s14, v14
	v_cmp_ne_u32_e32 vcc_lo, 1, v8
	v_fma_f32 v0, v13, s14, -v0
	v_add_co_u32 v2, s0, v6, v2
	v_fmac_f32_e32 v1, s15, v13
	v_add_co_ci_u32_e64 v3, null, v7, v3, s0
	s_cbranch_vccnz .LBB80_31
; %bb.30:
	global_load_dwordx2 v[4:5], v[2:3], off
	s_waitcnt vmcnt(0)
	v_mul_f32_e32 v6, s11, v5
	v_mul_f32_e32 v5, s10, v5
	v_fma_f32 v6, v4, s10, -v6
	v_fmac_f32_e32 v5, s11, v4
	v_add_f32_e32 v0, v0, v6
	v_add_f32_e32 v1, v1, v5
.LBB80_31:
	global_store_dwordx2 v[2:3], v[0:1], off
.LBB80_32:
	s_endpgm
	.section	.rodata,"a",@progbits
	.p2align	6, 0x0
	.amdhsa_kernel _ZL29rocblas_internal_gemmt_kernelIiLi16ELi32ELi8ELc67ELc67ELc85ELb1ELb1E19rocblas_complex_numIfEPKS1_S3_PS1_EviT_T9_T10_S5_lS7_S5_lS6_T11_S5_li
		.amdhsa_group_segment_fixed_size 4096
		.amdhsa_private_segment_fixed_size 0
		.amdhsa_kernarg_size 100
		.amdhsa_user_sgpr_count 6
		.amdhsa_user_sgpr_private_segment_buffer 1
		.amdhsa_user_sgpr_dispatch_ptr 0
		.amdhsa_user_sgpr_queue_ptr 0
		.amdhsa_user_sgpr_kernarg_segment_ptr 1
		.amdhsa_user_sgpr_dispatch_id 0
		.amdhsa_user_sgpr_flat_scratch_init 0
		.amdhsa_user_sgpr_private_segment_size 0
		.amdhsa_wavefront_size32 1
		.amdhsa_uses_dynamic_stack 0
		.amdhsa_system_sgpr_private_segment_wavefront_offset 0
		.amdhsa_system_sgpr_workgroup_id_x 1
		.amdhsa_system_sgpr_workgroup_id_y 1
		.amdhsa_system_sgpr_workgroup_id_z 1
		.amdhsa_system_sgpr_workgroup_info 0
		.amdhsa_system_vgpr_workitem_id 1
		.amdhsa_next_free_vgpr 59
		.amdhsa_next_free_sgpr 28
		.amdhsa_reserve_vcc 1
		.amdhsa_reserve_flat_scratch 0
		.amdhsa_float_round_mode_32 0
		.amdhsa_float_round_mode_16_64 0
		.amdhsa_float_denorm_mode_32 3
		.amdhsa_float_denorm_mode_16_64 3
		.amdhsa_dx10_clamp 1
		.amdhsa_ieee_mode 1
		.amdhsa_fp16_overflow 0
		.amdhsa_workgroup_processor_mode 1
		.amdhsa_memory_ordered 1
		.amdhsa_forward_progress 1
		.amdhsa_shared_vgpr_count 0
		.amdhsa_exception_fp_ieee_invalid_op 0
		.amdhsa_exception_fp_denorm_src 0
		.amdhsa_exception_fp_ieee_div_zero 0
		.amdhsa_exception_fp_ieee_overflow 0
		.amdhsa_exception_fp_ieee_underflow 0
		.amdhsa_exception_fp_ieee_inexact 0
		.amdhsa_exception_int_div_zero 0
	.end_amdhsa_kernel
	.section	.text._ZL29rocblas_internal_gemmt_kernelIiLi16ELi32ELi8ELc67ELc67ELc85ELb1ELb1E19rocblas_complex_numIfEPKS1_S3_PS1_EviT_T9_T10_S5_lS7_S5_lS6_T11_S5_li,"axG",@progbits,_ZL29rocblas_internal_gemmt_kernelIiLi16ELi32ELi8ELc67ELc67ELc85ELb1ELb1E19rocblas_complex_numIfEPKS1_S3_PS1_EviT_T9_T10_S5_lS7_S5_lS6_T11_S5_li,comdat
.Lfunc_end80:
	.size	_ZL29rocblas_internal_gemmt_kernelIiLi16ELi32ELi8ELc67ELc67ELc85ELb1ELb1E19rocblas_complex_numIfEPKS1_S3_PS1_EviT_T9_T10_S5_lS7_S5_lS6_T11_S5_li, .Lfunc_end80-_ZL29rocblas_internal_gemmt_kernelIiLi16ELi32ELi8ELc67ELc67ELc85ELb1ELb1E19rocblas_complex_numIfEPKS1_S3_PS1_EviT_T9_T10_S5_lS7_S5_lS6_T11_S5_li
                                        ; -- End function
	.set _ZL29rocblas_internal_gemmt_kernelIiLi16ELi32ELi8ELc67ELc67ELc85ELb1ELb1E19rocblas_complex_numIfEPKS1_S3_PS1_EviT_T9_T10_S5_lS7_S5_lS6_T11_S5_li.num_vgpr, 59
	.set _ZL29rocblas_internal_gemmt_kernelIiLi16ELi32ELi8ELc67ELc67ELc85ELb1ELb1E19rocblas_complex_numIfEPKS1_S3_PS1_EviT_T9_T10_S5_lS7_S5_lS6_T11_S5_li.num_agpr, 0
	.set _ZL29rocblas_internal_gemmt_kernelIiLi16ELi32ELi8ELc67ELc67ELc85ELb1ELb1E19rocblas_complex_numIfEPKS1_S3_PS1_EviT_T9_T10_S5_lS7_S5_lS6_T11_S5_li.numbered_sgpr, 28
	.set _ZL29rocblas_internal_gemmt_kernelIiLi16ELi32ELi8ELc67ELc67ELc85ELb1ELb1E19rocblas_complex_numIfEPKS1_S3_PS1_EviT_T9_T10_S5_lS7_S5_lS6_T11_S5_li.num_named_barrier, 0
	.set _ZL29rocblas_internal_gemmt_kernelIiLi16ELi32ELi8ELc67ELc67ELc85ELb1ELb1E19rocblas_complex_numIfEPKS1_S3_PS1_EviT_T9_T10_S5_lS7_S5_lS6_T11_S5_li.private_seg_size, 0
	.set _ZL29rocblas_internal_gemmt_kernelIiLi16ELi32ELi8ELc67ELc67ELc85ELb1ELb1E19rocblas_complex_numIfEPKS1_S3_PS1_EviT_T9_T10_S5_lS7_S5_lS6_T11_S5_li.uses_vcc, 1
	.set _ZL29rocblas_internal_gemmt_kernelIiLi16ELi32ELi8ELc67ELc67ELc85ELb1ELb1E19rocblas_complex_numIfEPKS1_S3_PS1_EviT_T9_T10_S5_lS7_S5_lS6_T11_S5_li.uses_flat_scratch, 0
	.set _ZL29rocblas_internal_gemmt_kernelIiLi16ELi32ELi8ELc67ELc67ELc85ELb1ELb1E19rocblas_complex_numIfEPKS1_S3_PS1_EviT_T9_T10_S5_lS7_S5_lS6_T11_S5_li.has_dyn_sized_stack, 0
	.set _ZL29rocblas_internal_gemmt_kernelIiLi16ELi32ELi8ELc67ELc67ELc85ELb1ELb1E19rocblas_complex_numIfEPKS1_S3_PS1_EviT_T9_T10_S5_lS7_S5_lS6_T11_S5_li.has_recursion, 0
	.set _ZL29rocblas_internal_gemmt_kernelIiLi16ELi32ELi8ELc67ELc67ELc85ELb1ELb1E19rocblas_complex_numIfEPKS1_S3_PS1_EviT_T9_T10_S5_lS7_S5_lS6_T11_S5_li.has_indirect_call, 0
	.section	.AMDGPU.csdata,"",@progbits
; Kernel info:
; codeLenInByte = 2580
; TotalNumSgprs: 30
; NumVgprs: 59
; ScratchSize: 0
; MemoryBound: 0
; FloatMode: 240
; IeeeMode: 1
; LDSByteSize: 4096 bytes/workgroup (compile time only)
; SGPRBlocks: 0
; VGPRBlocks: 7
; NumSGPRsForWavesPerEU: 30
; NumVGPRsForWavesPerEU: 59
; Occupancy: 16
; WaveLimiterHint : 0
; COMPUTE_PGM_RSRC2:SCRATCH_EN: 0
; COMPUTE_PGM_RSRC2:USER_SGPR: 6
; COMPUTE_PGM_RSRC2:TRAP_HANDLER: 0
; COMPUTE_PGM_RSRC2:TGID_X_EN: 1
; COMPUTE_PGM_RSRC2:TGID_Y_EN: 1
; COMPUTE_PGM_RSRC2:TGID_Z_EN: 1
; COMPUTE_PGM_RSRC2:TIDIG_COMP_CNT: 1
	.section	.text._ZL29rocblas_internal_gemmt_kernelIiLi16ELi32ELi8ELc78ELc78ELc76ELb0ELb0E19rocblas_complex_numIfEPKS1_S3_PS1_EviT_T9_T10_S5_lS7_S5_lS6_T11_S5_li,"axG",@progbits,_ZL29rocblas_internal_gemmt_kernelIiLi16ELi32ELi8ELc78ELc78ELc76ELb0ELb0E19rocblas_complex_numIfEPKS1_S3_PS1_EviT_T9_T10_S5_lS7_S5_lS6_T11_S5_li,comdat
	.globl	_ZL29rocblas_internal_gemmt_kernelIiLi16ELi32ELi8ELc78ELc78ELc76ELb0ELb0E19rocblas_complex_numIfEPKS1_S3_PS1_EviT_T9_T10_S5_lS7_S5_lS6_T11_S5_li ; -- Begin function _ZL29rocblas_internal_gemmt_kernelIiLi16ELi32ELi8ELc78ELc78ELc76ELb0ELb0E19rocblas_complex_numIfEPKS1_S3_PS1_EviT_T9_T10_S5_lS7_S5_lS6_T11_S5_li
	.p2align	8
	.type	_ZL29rocblas_internal_gemmt_kernelIiLi16ELi32ELi8ELc78ELc78ELc76ELb0ELb0E19rocblas_complex_numIfEPKS1_S3_PS1_EviT_T9_T10_S5_lS7_S5_lS6_T11_S5_li,@function
_ZL29rocblas_internal_gemmt_kernelIiLi16ELi32ELi8ELc78ELc78ELc76ELb0ELb0E19rocblas_complex_numIfEPKS1_S3_PS1_EviT_T9_T10_S5_lS7_S5_lS6_T11_S5_li: ; @_ZL29rocblas_internal_gemmt_kernelIiLi16ELi32ELi8ELc78ELc78ELc76ELb0ELb0E19rocblas_complex_numIfEPKS1_S3_PS1_EviT_T9_T10_S5_lS7_S5_lS6_T11_S5_li
; %bb.0:
	s_clause 0x1
	s_load_dwordx4 s[12:15], s[4:5], 0x38
	s_load_dwordx4 s[0:3], s[4:5], 0x8
	s_waitcnt lgkmcnt(0)
	s_load_dwordx2 s[10:11], s[14:15], 0x0
	s_load_dwordx2 s[20:21], s[4:5], 0x0
	;; [unrolled: 1-line block ×3, first 2 shown]
	s_waitcnt lgkmcnt(0)
	s_and_b32 s0, s11, 0x7fffffff
	v_cmp_eq_f32_e64 s1, s10, 1.0
	s_cmp_eq_u32 s0, 0
	s_mov_b32 s0, 0
	s_cselect_b32 s9, -1, 0
	s_and_b32 s1, s1, s9
	s_andn2_b32 vcc_lo, exec_lo, s1
	s_mov_b32 s1, -1
	s_cbranch_vccnz .LBB81_4
; %bb.1:
	s_cmp_lg_u32 s21, 0
	s_cbranch_scc0 .LBB81_3
; %bb.2:
	v_cmp_neq_f32_e64 s0, s14, 0
	v_cmp_neq_f32_e64 s1, s15, 0
	s_or_b32 s0, s0, s1
.LBB81_3:
	s_mov_b32 s1, s0
.LBB81_4:
	s_and_b32 vcc_lo, exec_lo, s1
	s_cbranch_vccz .LBB81_32
; %bb.5:
	s_load_dwordx2 s[22:23], s[4:5], 0x48
	v_cmp_eq_f32_e64 s0, s14, 0
	v_cmp_eq_f32_e64 s1, s15, 0
	s_lshl_b32 s24, s6, 5
	s_lshl_b32 s25, s7, 5
	v_mov_b32_e32 v20, 0
	v_mov_b32_e32 v21, 0
	s_and_b32 s0, s0, s1
	s_cmp_lt_i32 s21, 1
	v_mov_b32_e32 v18, 0
	s_cselect_b32 s1, -1, 0
	v_mov_b32_e32 v19, 0
	v_mov_b32_e32 v16, 0
	;; [unrolled: 1-line block ×5, first 2 shown]
	s_or_b32 s0, s0, s1
	s_mov_b32 s26, 0
	s_and_b32 vcc_lo, exec_lo, s0
	s_cbranch_vccnz .LBB81_16
; %bb.6:
	s_load_dword s6, s[4:5], 0x18
	v_lshl_add_u32 v2, v1, 4, v0
	s_clause 0x1
	s_load_dwordx4 s[16:19], s[4:5], 0x20
	s_load_dword s1, s[4:5], 0x30
	v_and_b32_e32 v8, 7, v0
	v_lshlrev_b32_e32 v9, 3, v0
	v_lshl_add_u32 v10, v1, 6, 0x800
	v_and_b32_e32 v3, 31, v2
	v_lshrrev_b32_e32 v4, 3, v2
	v_lshlrev_b32_e32 v14, 3, v8
	v_lshrrev_b32_e32 v11, 5, v2
	v_mov_b32_e32 v17, 0
	v_or_b32_e32 v5, s24, v3
	v_add_nc_u32_e32 v7, s25, v4
	v_lshl_or_b32 v13, v4, 6, v14
	v_lshlrev_b32_e32 v6, 3, v3
	v_add_nc_u32_e32 v2, s24, v3
	v_cmp_gt_i32_e32 vcc_lo, s20, v5
	v_cmp_gt_i32_e64 s0, s20, v7
	v_add_nc_u32_e32 v13, 0x800, v13
	v_lshl_or_b32 v12, v11, 8, v6
	s_waitcnt lgkmcnt(0)
	v_mad_i64_i32 v[4:5], null, v11, s6, 0
	s_mul_i32 s17, s17, s8
	s_mul_hi_u32 s27, s16, s8
	v_mad_i64_i32 v[6:7], null, s1, v7, 0
	v_ashrrev_i32_e32 v3, 31, v2
	s_mul_i32 s16, s16, s8
	v_lshlrev_b64 v[4:5], 3, v[4:5]
	s_add_i32 s17, s27, s17
	v_mov_b32_e32 v19, 0
	s_lshl_b64 s[16:17], s[16:17], 3
	v_lshlrev_b64 v[2:3], 3, v[2:3]
	v_mov_b32_e32 v18, 0
	v_add_co_u32 v15, s1, v4, s16
	v_add_co_ci_u32_e64 v16, null, s17, v5, s1
	s_mul_i32 s1, s13, s8
	s_mul_hi_u32 s13, s12, s8
	v_lshlrev_b64 v[4:5], 3, v[6:7]
	s_add_i32 s13, s13, s1
	s_mul_i32 s12, s12, s8
	v_add_co_u32 v2, s1, v15, v2
	s_lshl_b64 s[12:13], s[12:13], 3
	v_add_co_ci_u32_e64 v3, null, v16, v3, s1
	v_add_co_u32 v4, s1, v4, s12
	v_add_co_ci_u32_e64 v5, null, s13, v5, s1
	v_add_co_u32 v2, s1, s2, v2
	;; [unrolled: 2-line block ×3, first 2 shown]
	v_add_co_ci_u32_e64 v5, null, 0, v5, s1
	v_mov_b32_e32 v4, 0
	v_add_co_u32 v6, s1, s18, v6
	v_add_co_ci_u32_e64 v7, null, s19, v5, s1
	v_mov_b32_e32 v15, 0
	v_mov_b32_e32 v14, 0
	;; [unrolled: 1-line block ×5, first 2 shown]
	s_ashr_i32 s7, s6, 31
	s_xor_b32 s1, vcc_lo, -1
	s_lshl_b64 s[2:3], s[6:7], 6
	s_xor_b32 s0, s0, -1
	s_branch .LBB81_8
.LBB81_7:                               ;   in Loop: Header=BB81_8 Depth=1
	s_or_b32 exec_lo, exec_lo, s6
	s_waitcnt lgkmcnt(0)
	s_barrier
	buffer_gl0_inv
	ds_read_b128 v[22:25], v10
	ds_read2_b64 v[26:29], v9 offset1:16
	ds_read_b128 v[30:33], v10 offset:1024
	ds_read_b128 v[34:37], v10 offset:16
	;; [unrolled: 1-line block ×4, first 2 shown]
	ds_read2_b64 v[46:49], v9 offset0:32 offset1:48
	ds_read_b128 v[50:53], v10 offset:1040
	v_add_co_u32 v2, vcc_lo, v2, s2
	v_add_co_ci_u32_e64 v3, null, s3, v3, vcc_lo
	v_add_co_u32 v6, vcc_lo, v6, 64
	v_add_co_ci_u32_e64 v7, null, 0, v7, vcc_lo
	s_add_i32 s26, s26, 8
	s_cmp_lt_i32 s26, s21
	s_waitcnt lgkmcnt(6)
	v_mul_f32_e32 v5, v23, v27
	v_mul_f32_e32 v54, v22, v27
	;; [unrolled: 1-line block ×4, first 2 shown]
	s_waitcnt lgkmcnt(5)
	v_mul_f32_e32 v57, v31, v27
	v_mul_f32_e32 v27, v30, v27
	;; [unrolled: 1-line block ×3, first 2 shown]
	v_fma_f32 v5, v22, v26, -v5
	v_fmac_f32_e32 v54, v23, v26
	v_fma_f32 v22, v22, v28, -v55
	v_fmac_f32_e32 v56, v23, v28
	;; [unrolled: 2-line block ×3, first 2 shown]
	v_mul_f32_e32 v29, v30, v29
	v_fma_f32 v26, v30, v28, -v58
	v_add_f32_e32 v5, v20, v5
	v_add_f32_e32 v20, v21, v54
	;; [unrolled: 1-line block ×6, first 2 shown]
	s_waitcnt lgkmcnt(1)
	v_mul_f32_e32 v30, v25, v47
	ds_read2_b64 v[16:19], v9 offset0:64 offset1:80
	v_fmac_f32_e32 v29, v31, v28
	v_add_f32_e32 v14, v14, v26
	v_mul_f32_e32 v26, v24, v47
	v_fma_f32 v28, v24, v46, -v30
	v_mul_f32_e32 v30, v25, v49
	v_add_f32_e32 v15, v15, v29
	v_mul_f32_e32 v29, v24, v49
	v_fmac_f32_e32 v26, v25, v46
	v_add_f32_e32 v5, v5, v28
	v_fma_f32 v24, v24, v48, -v30
	v_mul_f32_e32 v28, v33, v47
	v_fmac_f32_e32 v29, v25, v48
	v_add_f32_e32 v26, v20, v26
	v_mul_f32_e32 v20, v32, v47
	v_add_f32_e32 v24, v21, v24
	v_fma_f32 v21, v32, v46, -v28
	v_mul_f32_e32 v25, v33, v49
	v_add_f32_e32 v28, v22, v29
	v_fmac_f32_e32 v20, v33, v46
	v_mul_f32_e32 v29, v32, v49
	v_add_f32_e32 v30, v23, v21
	v_fma_f32 v21, v32, v48, -v25
	s_waitcnt lgkmcnt(0)
	v_mul_f32_e32 v22, v35, v17
	v_add_f32_e32 v25, v27, v20
	v_fmac_f32_e32 v29, v33, v48
	v_mul_f32_e32 v27, v34, v17
	v_add_f32_e32 v14, v14, v21
	v_fma_f32 v31, v34, v16, -v22
	v_mul_f32_e32 v32, v35, v19
	ds_read2_b64 v[20:23], v9 offset0:96 offset1:112
	v_fmac_f32_e32 v27, v35, v16
	v_add_f32_e32 v29, v15, v29
	v_add_f32_e32 v5, v5, v31
	v_mul_f32_e32 v15, v34, v19
	v_fma_f32 v31, v34, v18, -v32
	v_add_f32_e32 v26, v26, v27
	v_mul_f32_e32 v27, v51, v17
	v_mul_f32_e32 v17, v50, v17
	v_fmac_f32_e32 v15, v35, v18
	v_add_f32_e32 v24, v24, v31
	v_mul_f32_e32 v31, v51, v19
	v_mul_f32_e32 v19, v50, v19
	v_fmac_f32_e32 v17, v51, v16
	v_add_f32_e32 v28, v28, v15
	v_fma_f32 v27, v50, v16, -v27
	v_fma_f32 v15, v50, v18, -v31
	v_fmac_f32_e32 v19, v51, v18
	v_add_f32_e32 v31, v25, v17
	s_waitcnt lgkmcnt(0)
	v_mul_f32_e32 v18, v37, v21
	v_add_f32_e32 v32, v14, v15
	ds_read2_b64 v[14:17], v9 offset0:128 offset1:144
	v_add_f32_e32 v30, v30, v27
	v_mul_f32_e32 v25, v36, v21
	v_fma_f32 v18, v36, v20, -v18
	v_mul_f32_e32 v27, v37, v23
	v_add_f32_e32 v29, v29, v19
	v_mul_f32_e32 v19, v36, v23
	v_fmac_f32_e32 v25, v37, v20
	v_add_f32_e32 v5, v5, v18
	v_mul_f32_e32 v18, v53, v21
	v_fma_f32 v27, v36, v22, -v27
	v_fmac_f32_e32 v19, v37, v22
	v_mul_f32_e32 v21, v52, v21
	v_mul_f32_e32 v35, v53, v23
	v_fma_f32 v18, v52, v20, -v18
	v_add_f32_e32 v33, v26, v25
	v_add_f32_e32 v34, v24, v27
	ds_read_b128 v[24:27], v10 offset:1056
	v_add_f32_e32 v36, v28, v19
	v_fmac_f32_e32 v21, v53, v20
	v_mul_f32_e32 v23, v52, v23
	v_fma_f32 v19, v52, v22, -v35
	v_add_f32_e32 v35, v30, v18
	s_waitcnt lgkmcnt(1)
	v_mul_f32_e32 v18, v39, v15
	v_add_f32_e32 v37, v31, v21
	v_fmac_f32_e32 v23, v53, v22
	v_add_f32_e32 v22, v32, v19
	v_mul_f32_e32 v32, v38, v15
	v_fma_f32 v28, v38, v14, -v18
	ds_read2_b64 v[18:21], v9 offset0:160 offset1:176
	v_mul_f32_e32 v30, v39, v17
	v_mul_f32_e32 v46, v38, v17
	v_fmac_f32_e32 v32, v39, v14
	v_add_f32_e32 v23, v29, v23
	v_add_f32_e32 v5, v5, v28
	v_fma_f32 v38, v38, v16, -v30
	ds_read_b128 v[28:31], v10 offset:1072
	s_waitcnt lgkmcnt(2)
	v_mul_f32_e32 v47, v25, v15
	v_add_f32_e32 v32, v33, v32
	v_mul_f32_e32 v15, v24, v15
	v_add_f32_e32 v33, v34, v38
	v_mul_f32_e32 v38, v25, v17
	v_fmac_f32_e32 v46, v39, v16
	v_fma_f32 v34, v24, v14, -v47
	v_fmac_f32_e32 v15, v25, v14
	v_mul_f32_e32 v39, v24, v17
	v_fma_f32 v14, v24, v16, -v38
	v_add_f32_e32 v36, v36, v46
	v_add_f32_e32 v34, v35, v34
	s_waitcnt lgkmcnt(1)
	v_mul_f32_e32 v17, v41, v19
	v_add_f32_e32 v24, v37, v15
	v_fmac_f32_e32 v39, v25, v16
	v_mul_f32_e32 v25, v40, v19
	v_add_f32_e32 v22, v22, v14
	v_fma_f32 v35, v40, v18, -v17
	ds_read2_b64 v[14:17], v9 offset0:192 offset1:208
	v_mul_f32_e32 v37, v41, v21
	v_fmac_f32_e32 v25, v41, v18
	v_add_f32_e32 v38, v23, v39
	v_add_f32_e32 v5, v5, v35
	v_mul_f32_e32 v23, v40, v21
	v_fma_f32 v35, v40, v20, -v37
	v_add_f32_e32 v32, v32, v25
	v_mul_f32_e32 v25, v27, v19
	v_mul_f32_e32 v19, v26, v19
	v_fmac_f32_e32 v23, v41, v20
	v_add_f32_e32 v33, v33, v35
	v_mul_f32_e32 v35, v27, v21
	v_fma_f32 v25, v26, v18, -v25
	v_fmac_f32_e32 v19, v27, v18
	v_add_f32_e32 v18, v36, v23
	v_mul_f32_e32 v21, v26, v21
	v_fma_f32 v23, v26, v20, -v35
	v_add_f32_e32 v26, v34, v25
	v_add_f32_e32 v19, v24, v19
	s_waitcnt lgkmcnt(0)
	v_mul_f32_e32 v34, v43, v15
	v_fmac_f32_e32 v21, v27, v20
	v_add_f32_e32 v20, v22, v23
	ds_read2_b64 v[22:25], v9 offset0:224 offset1:240
	v_mul_f32_e32 v27, v42, v15
	v_fma_f32 v34, v42, v14, -v34
	v_mul_f32_e32 v35, v43, v17
	v_mul_f32_e32 v36, v42, v17
	v_add_f32_e32 v21, v38, v21
	v_fmac_f32_e32 v27, v43, v14
	v_add_f32_e32 v5, v5, v34
	v_mul_f32_e32 v34, v29, v15
	v_fma_f32 v35, v42, v16, -v35
	v_fmac_f32_e32 v36, v43, v16
	v_add_f32_e32 v27, v32, v27
	v_mul_f32_e32 v15, v28, v15
	v_fma_f32 v32, v28, v14, -v34
	v_mul_f32_e32 v34, v29, v17
	v_add_f32_e32 v33, v33, v35
	v_add_f32_e32 v35, v18, v36
	v_fmac_f32_e32 v15, v29, v14
	v_add_f32_e32 v14, v26, v32
	v_mul_f32_e32 v17, v28, v17
	v_fma_f32 v18, v28, v16, -v34
	s_waitcnt lgkmcnt(0)
	v_mul_f32_e32 v26, v45, v23
	v_mul_f32_e32 v28, v44, v23
	v_add_f32_e32 v15, v19, v15
	v_fmac_f32_e32 v17, v29, v16
	v_add_f32_e32 v29, v20, v18
	v_fma_f32 v16, v44, v22, -v26
	v_mul_f32_e32 v18, v45, v25
	v_mul_f32_e32 v19, v44, v25
	v_add_f32_e32 v26, v21, v17
	v_mul_f32_e32 v17, v30, v23
	v_add_f32_e32 v20, v5, v16
	v_fma_f32 v5, v44, v24, -v18
	v_mul_f32_e32 v16, v31, v23
	v_mul_f32_e32 v23, v31, v25
	;; [unrolled: 1-line block ×3, first 2 shown]
	v_fmac_f32_e32 v28, v45, v22
	v_fmac_f32_e32 v19, v45, v24
	v_add_f32_e32 v18, v33, v5
	v_fma_f32 v5, v30, v22, -v16
	v_fmac_f32_e32 v17, v31, v22
	v_fma_f32 v22, v30, v24, -v23
	v_fmac_f32_e32 v25, v31, v24
	v_add_f32_e32 v21, v27, v28
	v_add_f32_e32 v19, v35, v19
	v_add_f32_e32 v16, v14, v5
	v_add_f32_e32 v17, v15, v17
	v_add_f32_e32 v14, v29, v22
	v_add_f32_e32 v15, v26, v25
	s_barrier
	buffer_gl0_inv
	s_cbranch_scc0 .LBB81_16
.LBB81_8:                               ; =>This Inner Loop Header: Depth=1
	v_add_nc_u32_e32 v5, s26, v11
	v_cmp_le_i32_e32 vcc_lo, s21, v5
	s_or_b32 s6, s1, vcc_lo
	s_and_saveexec_b32 s7, s6
	s_xor_b32 s6, exec_lo, s7
; %bb.9:                                ;   in Loop: Header=BB81_8 Depth=1
	v_mov_b32_e32 v5, v4
	ds_write_b64 v12, v[4:5]
; %bb.10:                               ;   in Loop: Header=BB81_8 Depth=1
	s_andn2_saveexec_b32 s6, s6
	s_cbranch_execz .LBB81_12
; %bb.11:                               ;   in Loop: Header=BB81_8 Depth=1
	global_load_dwordx2 v[22:23], v[2:3], off
	s_waitcnt vmcnt(0)
	ds_write_b64 v12, v[22:23]
.LBB81_12:                              ;   in Loop: Header=BB81_8 Depth=1
	s_or_b32 exec_lo, exec_lo, s6
	v_add_nc_u32_e32 v5, s26, v8
	v_cmp_le_i32_e32 vcc_lo, s21, v5
	s_or_b32 s6, vcc_lo, s0
	s_and_saveexec_b32 s7, s6
	s_xor_b32 s6, exec_lo, s7
; %bb.13:                               ;   in Loop: Header=BB81_8 Depth=1
	v_mov_b32_e32 v5, v4
	ds_write_b64 v13, v[4:5]
; %bb.14:                               ;   in Loop: Header=BB81_8 Depth=1
	s_andn2_saveexec_b32 s6, s6
	s_cbranch_execz .LBB81_7
; %bb.15:                               ;   in Loop: Header=BB81_8 Depth=1
	global_load_dwordx2 v[22:23], v[6:7], off
	s_waitcnt vmcnt(0)
	ds_write_b64 v13, v[22:23]
	s_branch .LBB81_7
.LBB81_16:
	s_clause 0x1
	s_load_dword s3, s[4:5], 0x50
	s_load_dwordx2 s[0:1], s[4:5], 0x58
	v_add_nc_u32_e32 v9, s25, v1
	v_add_nc_u32_e32 v0, s24, v0
	v_cmp_neq_f32_e64 s2, s10, 0
	v_cmp_le_i32_e32 vcc_lo, v9, v0
	s_waitcnt lgkmcnt(0)
	v_mad_i64_i32 v[1:2], null, v9, s3, 0
	s_mul_i32 s1, s1, s8
	s_mul_hi_u32 s5, s0, s8
	s_mul_i32 s4, s0, s8
	s_add_i32 s5, s5, s1
	v_cmp_gt_i32_e64 s0, s20, v0
	s_lshl_b64 s[4:5], s[4:5], 3
	v_lshlrev_b64 v[2:3], 3, v[1:2]
	s_add_u32 s4, s22, s4
	s_addc_u32 s5, s23, s5
	s_xor_b32 s6, s9, -1
	v_ashrrev_i32_e32 v1, 31, v0
	s_or_b32 s2, s2, s6
	v_add_co_u32 v6, s1, s4, v2
	v_add_co_ci_u32_e64 v7, null, s5, v3, s1
	v_cndmask_b32_e64 v8, 0, 1, s2
	s_and_b32 s6, vcc_lo, s0
	s_and_saveexec_b32 s1, s6
	s_cbranch_execz .LBB81_20
; %bb.17:
	v_lshlrev_b64 v[4:5], 3, v[0:1]
	v_mul_f32_e32 v2, s15, v21
	v_mul_f32_e32 v3, s14, v21
	v_fma_f32 v2, v20, s14, -v2
	v_add_co_u32 v4, vcc_lo, v6, v4
	v_fmac_f32_e32 v3, s15, v20
	v_add_co_ci_u32_e64 v5, null, v7, v5, vcc_lo
	s_andn2_b32 vcc_lo, exec_lo, s2
	s_cbranch_vccnz .LBB81_19
; %bb.18:
	global_load_dwordx2 v[10:11], v[4:5], off
	s_waitcnt vmcnt(0)
	v_mul_f32_e32 v12, s11, v11
	v_mul_f32_e32 v11, s10, v11
	v_fma_f32 v12, v10, s10, -v12
	v_fmac_f32_e32 v11, s11, v10
	v_add_f32_e32 v2, v2, v12
	v_add_f32_e32 v3, v3, v11
.LBB81_19:
	global_store_dwordx2 v[4:5], v[2:3], off
.LBB81_20:
	s_or_b32 exec_lo, exec_lo, s1
	v_add_nc_u32_e32 v2, 16, v0
	v_cmp_le_i32_e32 vcc_lo, v9, v2
	v_cmp_gt_i32_e64 s1, s20, v2
	v_ashrrev_i32_e32 v3, 31, v2
	s_and_b32 s2, vcc_lo, s1
	s_and_saveexec_b32 s6, s2
	s_cbranch_execz .LBB81_24
; %bb.21:
	v_lshlrev_b64 v[10:11], 3, v[2:3]
	v_mul_f32_e32 v4, s15, v19
	v_mul_f32_e32 v5, s14, v19
	v_cmp_ne_u32_e32 vcc_lo, 1, v8
	v_fma_f32 v4, v18, s14, -v4
	v_add_co_u32 v6, s2, v6, v10
	v_fmac_f32_e32 v5, s15, v18
	v_add_co_ci_u32_e64 v7, null, v7, v11, s2
	s_cbranch_vccnz .LBB81_23
; %bb.22:
	global_load_dwordx2 v[10:11], v[6:7], off
	s_waitcnt vmcnt(0)
	v_mul_f32_e32 v12, s11, v11
	v_mul_f32_e32 v11, s10, v11
	v_fma_f32 v12, v10, s10, -v12
	v_fmac_f32_e32 v11, s11, v10
	v_add_f32_e32 v4, v4, v12
	v_add_f32_e32 v5, v5, v11
.LBB81_23:
	global_store_dwordx2 v[6:7], v[4:5], off
.LBB81_24:
	s_or_b32 exec_lo, exec_lo, s6
	v_add_nc_u32_e32 v9, 16, v9
	v_mad_i64_i32 v[4:5], null, v9, s3, 0
	v_cmp_le_i32_e32 vcc_lo, v9, v0
	s_and_b32 s0, vcc_lo, s0
	v_lshlrev_b64 v[4:5], 3, v[4:5]
	v_add_co_u32 v6, s2, s4, v4
	v_add_co_ci_u32_e64 v7, null, s5, v5, s2
	s_and_saveexec_b32 s2, s0
	s_cbranch_execz .LBB81_28
; %bb.25:
	v_lshlrev_b64 v[0:1], 3, v[0:1]
	v_mul_f32_e32 v4, s15, v17
	v_mul_f32_e32 v5, s14, v17
	v_cmp_ne_u32_e32 vcc_lo, 1, v8
	v_fma_f32 v4, v16, s14, -v4
	v_add_co_u32 v0, s0, v6, v0
	v_fmac_f32_e32 v5, s15, v16
	v_add_co_ci_u32_e64 v1, null, v7, v1, s0
	s_cbranch_vccnz .LBB81_27
; %bb.26:
	global_load_dwordx2 v[10:11], v[0:1], off
	s_waitcnt vmcnt(0)
	v_mul_f32_e32 v12, s11, v11
	v_mul_f32_e32 v11, s10, v11
	v_fma_f32 v12, v10, s10, -v12
	v_fmac_f32_e32 v11, s11, v10
	v_add_f32_e32 v4, v4, v12
	v_add_f32_e32 v5, v5, v11
.LBB81_27:
	global_store_dwordx2 v[0:1], v[4:5], off
.LBB81_28:
	s_or_b32 exec_lo, exec_lo, s2
	v_cmp_le_i32_e32 vcc_lo, v9, v2
	s_and_b32 s0, vcc_lo, s1
	s_and_saveexec_b32 s1, s0
	s_cbranch_execz .LBB81_32
; %bb.29:
	v_lshlrev_b64 v[2:3], 3, v[2:3]
	v_mul_f32_e32 v0, s15, v15
	v_mul_f32_e32 v1, s14, v15
	v_cmp_ne_u32_e32 vcc_lo, 1, v8
	v_fma_f32 v0, v14, s14, -v0
	v_add_co_u32 v2, s0, v6, v2
	v_fmac_f32_e32 v1, s15, v14
	v_add_co_ci_u32_e64 v3, null, v7, v3, s0
	s_cbranch_vccnz .LBB81_31
; %bb.30:
	global_load_dwordx2 v[4:5], v[2:3], off
	s_waitcnt vmcnt(0)
	v_mul_f32_e32 v6, s11, v5
	v_mul_f32_e32 v5, s10, v5
	v_fma_f32 v6, v4, s10, -v6
	v_fmac_f32_e32 v5, s11, v4
	v_add_f32_e32 v0, v0, v6
	v_add_f32_e32 v1, v1, v5
.LBB81_31:
	global_store_dwordx2 v[2:3], v[0:1], off
.LBB81_32:
	s_endpgm
	.section	.rodata,"a",@progbits
	.p2align	6, 0x0
	.amdhsa_kernel _ZL29rocblas_internal_gemmt_kernelIiLi16ELi32ELi8ELc78ELc78ELc76ELb0ELb0E19rocblas_complex_numIfEPKS1_S3_PS1_EviT_T9_T10_S5_lS7_S5_lS6_T11_S5_li
		.amdhsa_group_segment_fixed_size 4096
		.amdhsa_private_segment_fixed_size 0
		.amdhsa_kernarg_size 100
		.amdhsa_user_sgpr_count 6
		.amdhsa_user_sgpr_private_segment_buffer 1
		.amdhsa_user_sgpr_dispatch_ptr 0
		.amdhsa_user_sgpr_queue_ptr 0
		.amdhsa_user_sgpr_kernarg_segment_ptr 1
		.amdhsa_user_sgpr_dispatch_id 0
		.amdhsa_user_sgpr_flat_scratch_init 0
		.amdhsa_user_sgpr_private_segment_size 0
		.amdhsa_wavefront_size32 1
		.amdhsa_uses_dynamic_stack 0
		.amdhsa_system_sgpr_private_segment_wavefront_offset 0
		.amdhsa_system_sgpr_workgroup_id_x 1
		.amdhsa_system_sgpr_workgroup_id_y 1
		.amdhsa_system_sgpr_workgroup_id_z 1
		.amdhsa_system_sgpr_workgroup_info 0
		.amdhsa_system_vgpr_workitem_id 1
		.amdhsa_next_free_vgpr 59
		.amdhsa_next_free_sgpr 28
		.amdhsa_reserve_vcc 1
		.amdhsa_reserve_flat_scratch 0
		.amdhsa_float_round_mode_32 0
		.amdhsa_float_round_mode_16_64 0
		.amdhsa_float_denorm_mode_32 3
		.amdhsa_float_denorm_mode_16_64 3
		.amdhsa_dx10_clamp 1
		.amdhsa_ieee_mode 1
		.amdhsa_fp16_overflow 0
		.amdhsa_workgroup_processor_mode 1
		.amdhsa_memory_ordered 1
		.amdhsa_forward_progress 1
		.amdhsa_shared_vgpr_count 0
		.amdhsa_exception_fp_ieee_invalid_op 0
		.amdhsa_exception_fp_denorm_src 0
		.amdhsa_exception_fp_ieee_div_zero 0
		.amdhsa_exception_fp_ieee_overflow 0
		.amdhsa_exception_fp_ieee_underflow 0
		.amdhsa_exception_fp_ieee_inexact 0
		.amdhsa_exception_int_div_zero 0
	.end_amdhsa_kernel
	.section	.text._ZL29rocblas_internal_gemmt_kernelIiLi16ELi32ELi8ELc78ELc78ELc76ELb0ELb0E19rocblas_complex_numIfEPKS1_S3_PS1_EviT_T9_T10_S5_lS7_S5_lS6_T11_S5_li,"axG",@progbits,_ZL29rocblas_internal_gemmt_kernelIiLi16ELi32ELi8ELc78ELc78ELc76ELb0ELb0E19rocblas_complex_numIfEPKS1_S3_PS1_EviT_T9_T10_S5_lS7_S5_lS6_T11_S5_li,comdat
.Lfunc_end81:
	.size	_ZL29rocblas_internal_gemmt_kernelIiLi16ELi32ELi8ELc78ELc78ELc76ELb0ELb0E19rocblas_complex_numIfEPKS1_S3_PS1_EviT_T9_T10_S5_lS7_S5_lS6_T11_S5_li, .Lfunc_end81-_ZL29rocblas_internal_gemmt_kernelIiLi16ELi32ELi8ELc78ELc78ELc76ELb0ELb0E19rocblas_complex_numIfEPKS1_S3_PS1_EviT_T9_T10_S5_lS7_S5_lS6_T11_S5_li
                                        ; -- End function
	.set _ZL29rocblas_internal_gemmt_kernelIiLi16ELi32ELi8ELc78ELc78ELc76ELb0ELb0E19rocblas_complex_numIfEPKS1_S3_PS1_EviT_T9_T10_S5_lS7_S5_lS6_T11_S5_li.num_vgpr, 59
	.set _ZL29rocblas_internal_gemmt_kernelIiLi16ELi32ELi8ELc78ELc78ELc76ELb0ELb0E19rocblas_complex_numIfEPKS1_S3_PS1_EviT_T9_T10_S5_lS7_S5_lS6_T11_S5_li.num_agpr, 0
	.set _ZL29rocblas_internal_gemmt_kernelIiLi16ELi32ELi8ELc78ELc78ELc76ELb0ELb0E19rocblas_complex_numIfEPKS1_S3_PS1_EviT_T9_T10_S5_lS7_S5_lS6_T11_S5_li.numbered_sgpr, 28
	.set _ZL29rocblas_internal_gemmt_kernelIiLi16ELi32ELi8ELc78ELc78ELc76ELb0ELb0E19rocblas_complex_numIfEPKS1_S3_PS1_EviT_T9_T10_S5_lS7_S5_lS6_T11_S5_li.num_named_barrier, 0
	.set _ZL29rocblas_internal_gemmt_kernelIiLi16ELi32ELi8ELc78ELc78ELc76ELb0ELb0E19rocblas_complex_numIfEPKS1_S3_PS1_EviT_T9_T10_S5_lS7_S5_lS6_T11_S5_li.private_seg_size, 0
	.set _ZL29rocblas_internal_gemmt_kernelIiLi16ELi32ELi8ELc78ELc78ELc76ELb0ELb0E19rocblas_complex_numIfEPKS1_S3_PS1_EviT_T9_T10_S5_lS7_S5_lS6_T11_S5_li.uses_vcc, 1
	.set _ZL29rocblas_internal_gemmt_kernelIiLi16ELi32ELi8ELc78ELc78ELc76ELb0ELb0E19rocblas_complex_numIfEPKS1_S3_PS1_EviT_T9_T10_S5_lS7_S5_lS6_T11_S5_li.uses_flat_scratch, 0
	.set _ZL29rocblas_internal_gemmt_kernelIiLi16ELi32ELi8ELc78ELc78ELc76ELb0ELb0E19rocblas_complex_numIfEPKS1_S3_PS1_EviT_T9_T10_S5_lS7_S5_lS6_T11_S5_li.has_dyn_sized_stack, 0
	.set _ZL29rocblas_internal_gemmt_kernelIiLi16ELi32ELi8ELc78ELc78ELc76ELb0ELb0E19rocblas_complex_numIfEPKS1_S3_PS1_EviT_T9_T10_S5_lS7_S5_lS6_T11_S5_li.has_recursion, 0
	.set _ZL29rocblas_internal_gemmt_kernelIiLi16ELi32ELi8ELc78ELc78ELc76ELb0ELb0E19rocblas_complex_numIfEPKS1_S3_PS1_EviT_T9_T10_S5_lS7_S5_lS6_T11_S5_li.has_indirect_call, 0
	.section	.AMDGPU.csdata,"",@progbits
; Kernel info:
; codeLenInByte = 2520
; TotalNumSgprs: 30
; NumVgprs: 59
; ScratchSize: 0
; MemoryBound: 1
; FloatMode: 240
; IeeeMode: 1
; LDSByteSize: 4096 bytes/workgroup (compile time only)
; SGPRBlocks: 0
; VGPRBlocks: 7
; NumSGPRsForWavesPerEU: 30
; NumVGPRsForWavesPerEU: 59
; Occupancy: 16
; WaveLimiterHint : 0
; COMPUTE_PGM_RSRC2:SCRATCH_EN: 0
; COMPUTE_PGM_RSRC2:USER_SGPR: 6
; COMPUTE_PGM_RSRC2:TRAP_HANDLER: 0
; COMPUTE_PGM_RSRC2:TGID_X_EN: 1
; COMPUTE_PGM_RSRC2:TGID_Y_EN: 1
; COMPUTE_PGM_RSRC2:TGID_Z_EN: 1
; COMPUTE_PGM_RSRC2:TIDIG_COMP_CNT: 1
	.section	.text._ZL29rocblas_internal_gemmt_kernelIiLi16ELi32ELi8ELc78ELc84ELc76ELb0ELb0E19rocblas_complex_numIfEPKS1_S3_PS1_EviT_T9_T10_S5_lS7_S5_lS6_T11_S5_li,"axG",@progbits,_ZL29rocblas_internal_gemmt_kernelIiLi16ELi32ELi8ELc78ELc84ELc76ELb0ELb0E19rocblas_complex_numIfEPKS1_S3_PS1_EviT_T9_T10_S5_lS7_S5_lS6_T11_S5_li,comdat
	.globl	_ZL29rocblas_internal_gemmt_kernelIiLi16ELi32ELi8ELc78ELc84ELc76ELb0ELb0E19rocblas_complex_numIfEPKS1_S3_PS1_EviT_T9_T10_S5_lS7_S5_lS6_T11_S5_li ; -- Begin function _ZL29rocblas_internal_gemmt_kernelIiLi16ELi32ELi8ELc78ELc84ELc76ELb0ELb0E19rocblas_complex_numIfEPKS1_S3_PS1_EviT_T9_T10_S5_lS7_S5_lS6_T11_S5_li
	.p2align	8
	.type	_ZL29rocblas_internal_gemmt_kernelIiLi16ELi32ELi8ELc78ELc84ELc76ELb0ELb0E19rocblas_complex_numIfEPKS1_S3_PS1_EviT_T9_T10_S5_lS7_S5_lS6_T11_S5_li,@function
_ZL29rocblas_internal_gemmt_kernelIiLi16ELi32ELi8ELc78ELc84ELc76ELb0ELb0E19rocblas_complex_numIfEPKS1_S3_PS1_EviT_T9_T10_S5_lS7_S5_lS6_T11_S5_li: ; @_ZL29rocblas_internal_gemmt_kernelIiLi16ELi32ELi8ELc78ELc84ELc76ELb0ELb0E19rocblas_complex_numIfEPKS1_S3_PS1_EviT_T9_T10_S5_lS7_S5_lS6_T11_S5_li
; %bb.0:
	s_clause 0x1
	s_load_dwordx4 s[12:15], s[4:5], 0x38
	s_load_dwordx4 s[0:3], s[4:5], 0x8
	s_waitcnt lgkmcnt(0)
	s_load_dwordx2 s[10:11], s[14:15], 0x0
	s_load_dwordx2 s[20:21], s[4:5], 0x0
	s_load_dwordx2 s[14:15], s[0:1], 0x0
	s_waitcnt lgkmcnt(0)
	s_and_b32 s0, s11, 0x7fffffff
	v_cmp_eq_f32_e64 s1, s10, 1.0
	s_cmp_eq_u32 s0, 0
	s_mov_b32 s0, 0
	s_cselect_b32 s9, -1, 0
	s_and_b32 s1, s1, s9
	s_andn2_b32 vcc_lo, exec_lo, s1
	s_mov_b32 s1, -1
	s_cbranch_vccnz .LBB82_4
; %bb.1:
	s_cmp_lg_u32 s21, 0
	s_cbranch_scc0 .LBB82_3
; %bb.2:
	v_cmp_neq_f32_e64 s0, s14, 0
	v_cmp_neq_f32_e64 s1, s15, 0
	s_or_b32 s0, s0, s1
.LBB82_3:
	s_mov_b32 s1, s0
.LBB82_4:
	s_and_b32 vcc_lo, exec_lo, s1
	s_cbranch_vccz .LBB82_32
; %bb.5:
	s_load_dwordx2 s[22:23], s[4:5], 0x48
	v_cmp_eq_f32_e64 s0, s14, 0
	v_cmp_eq_f32_e64 s1, s15, 0
	s_lshl_b32 s24, s6, 5
	s_lshl_b32 s25, s7, 5
	v_mov_b32_e32 v20, 0
	v_mov_b32_e32 v21, 0
	s_and_b32 s0, s0, s1
	s_cmp_lt_i32 s21, 1
	v_mov_b32_e32 v18, 0
	s_cselect_b32 s1, -1, 0
	v_mov_b32_e32 v19, 0
	v_mov_b32_e32 v16, 0
	;; [unrolled: 1-line block ×5, first 2 shown]
	s_or_b32 s0, s0, s1
	s_mov_b32 s26, 0
	s_and_b32 vcc_lo, exec_lo, s0
	s_cbranch_vccnz .LBB82_16
; %bb.6:
	s_clause 0x1
	s_load_dword s28, s[4:5], 0x18
	s_load_dword s6, s[4:5], 0x30
	v_lshl_add_u32 v2, v1, 4, v0
	s_load_dwordx4 s[16:19], s[4:5], 0x20
	v_and_b32_e32 v8, 7, v0
	s_mul_i32 s13, s13, s8
	s_mul_hi_u32 s27, s12, s8
	v_and_b32_e32 v6, 31, v2
	v_lshrrev_b32_e32 v3, 3, v2
	v_lshlrev_b32_e32 v4, 3, v8
	v_lshrrev_b32_e32 v9, 5, v2
	s_add_i32 s13, s27, s13
	v_or_b32_e32 v5, s24, v6
	v_add_nc_u32_e32 v2, s25, v3
	v_lshl_or_b32 v3, v3, 6, v4
	v_lshlrev_b32_e32 v7, 3, v6
	v_add_nc_u32_e32 v6, s24, v6
	v_cmp_gt_i32_e32 vcc_lo, s20, v5
	s_mul_i32 s12, s12, s8
	v_add_nc_u32_e32 v11, 0x800, v3
	s_waitcnt lgkmcnt(0)
	v_mad_i64_i32 v[4:5], null, v9, s28, 0
	v_mad_i64_i32 v[14:15], null, s6, v8, 0
	s_mul_i32 s1, s17, s8
	s_mul_hi_u32 s17, s16, s8
	v_lshl_or_b32 v10, v9, 8, v7
	v_ashrrev_i32_e32 v7, 31, v6
	v_lshlrev_b64 v[4:5], 3, v[4:5]
	s_add_i32 s17, s17, s1
	s_mul_i32 s16, s16, s8
	v_ashrrev_i32_e32 v3, 31, v2
	s_lshl_b64 s[16:17], s[16:17], 3
	v_lshlrev_b64 v[6:7], 3, v[6:7]
	v_add_co_u32 v16, s1, v4, s16
	v_add_co_ci_u32_e64 v17, null, s17, v5, s1
	v_lshlrev_b64 v[4:5], 3, v[14:15]
	v_add_co_u32 v6, s1, v16, v6
	s_lshl_b64 s[12:13], s[12:13], 3
	v_add_co_ci_u32_e64 v7, null, v17, v7, s1
	v_add_co_u32 v14, s1, s12, v4
	v_add_co_ci_u32_e64 v15, null, s13, v5, s1
	v_lshlrev_b64 v[4:5], 3, v[2:3]
	v_cmp_gt_i32_e64 s0, s20, v2
	v_add_co_u32 v2, s1, s2, v6
	v_add_co_ci_u32_e64 v3, null, s3, v7, s1
	v_add_co_u32 v4, s1, v14, v4
	v_add_co_ci_u32_e64 v5, null, v15, v5, s1
	v_lshlrev_b32_e32 v12, 3, v0
	v_add_co_u32 v4, s1, s18, v4
	v_lshl_add_u32 v13, v1, 6, 0x800
	v_add_co_ci_u32_e64 v5, null, s19, v5, s1
	v_mov_b32_e32 v6, 0
	v_mov_b32_e32 v15, 0
	;; [unrolled: 1-line block ×9, first 2 shown]
	s_ashr_i32 s29, s28, 31
	s_ashr_i32 s7, s6, 31
	s_lshl_b64 s[2:3], s[28:29], 6
	s_lshl_b64 s[6:7], s[6:7], 6
	s_xor_b32 s1, vcc_lo, -1
	s_xor_b32 s0, s0, -1
	s_branch .LBB82_8
.LBB82_7:                               ;   in Loop: Header=BB82_8 Depth=1
	s_or_b32 exec_lo, exec_lo, s12
	s_waitcnt lgkmcnt(0)
	s_barrier
	buffer_gl0_inv
	ds_read_b128 v[22:25], v13
	ds_read2_b64 v[26:29], v12 offset1:16
	ds_read_b128 v[30:33], v13 offset:1024
	ds_read_b128 v[34:37], v13 offset:16
	;; [unrolled: 1-line block ×4, first 2 shown]
	ds_read2_b64 v[46:49], v12 offset0:32 offset1:48
	ds_read_b128 v[50:53], v13 offset:1040
	v_add_co_u32 v2, vcc_lo, v2, s2
	v_add_co_ci_u32_e64 v3, null, s3, v3, vcc_lo
	v_add_co_u32 v4, vcc_lo, v4, s6
	v_add_co_ci_u32_e64 v5, null, s7, v5, vcc_lo
	s_add_i32 s26, s26, 8
	s_cmp_lt_i32 s26, s21
	s_waitcnt lgkmcnt(6)
	v_mul_f32_e32 v7, v23, v27
	v_mul_f32_e32 v54, v22, v27
	;; [unrolled: 1-line block ×4, first 2 shown]
	s_waitcnt lgkmcnt(5)
	v_mul_f32_e32 v57, v31, v27
	v_mul_f32_e32 v27, v30, v27
	;; [unrolled: 1-line block ×3, first 2 shown]
	v_fma_f32 v7, v22, v26, -v7
	v_fmac_f32_e32 v54, v23, v26
	v_fma_f32 v22, v22, v28, -v55
	v_fmac_f32_e32 v56, v23, v28
	;; [unrolled: 2-line block ×3, first 2 shown]
	v_mul_f32_e32 v29, v30, v29
	v_fma_f32 v26, v30, v28, -v58
	v_add_f32_e32 v7, v20, v7
	v_add_f32_e32 v20, v21, v54
	;; [unrolled: 1-line block ×6, first 2 shown]
	s_waitcnt lgkmcnt(1)
	v_mul_f32_e32 v30, v25, v47
	ds_read2_b64 v[16:19], v12 offset0:64 offset1:80
	v_fmac_f32_e32 v29, v31, v28
	v_add_f32_e32 v14, v14, v26
	v_mul_f32_e32 v26, v24, v47
	v_fma_f32 v28, v24, v46, -v30
	v_mul_f32_e32 v30, v25, v49
	v_add_f32_e32 v15, v15, v29
	v_mul_f32_e32 v29, v24, v49
	v_fmac_f32_e32 v26, v25, v46
	v_add_f32_e32 v7, v7, v28
	v_fma_f32 v24, v24, v48, -v30
	v_mul_f32_e32 v28, v33, v47
	v_fmac_f32_e32 v29, v25, v48
	v_add_f32_e32 v26, v20, v26
	v_mul_f32_e32 v20, v32, v47
	v_add_f32_e32 v24, v21, v24
	v_fma_f32 v21, v32, v46, -v28
	v_mul_f32_e32 v25, v33, v49
	v_add_f32_e32 v28, v22, v29
	v_fmac_f32_e32 v20, v33, v46
	v_mul_f32_e32 v29, v32, v49
	v_add_f32_e32 v30, v23, v21
	v_fma_f32 v21, v32, v48, -v25
	s_waitcnt lgkmcnt(0)
	v_mul_f32_e32 v22, v35, v17
	v_add_f32_e32 v25, v27, v20
	v_fmac_f32_e32 v29, v33, v48
	v_mul_f32_e32 v27, v34, v17
	v_add_f32_e32 v14, v14, v21
	v_fma_f32 v31, v34, v16, -v22
	v_mul_f32_e32 v32, v35, v19
	ds_read2_b64 v[20:23], v12 offset0:96 offset1:112
	v_fmac_f32_e32 v27, v35, v16
	v_add_f32_e32 v29, v15, v29
	v_add_f32_e32 v7, v7, v31
	v_mul_f32_e32 v15, v34, v19
	v_fma_f32 v31, v34, v18, -v32
	v_add_f32_e32 v26, v26, v27
	v_mul_f32_e32 v27, v51, v17
	v_mul_f32_e32 v17, v50, v17
	v_fmac_f32_e32 v15, v35, v18
	v_add_f32_e32 v24, v24, v31
	v_mul_f32_e32 v31, v51, v19
	v_mul_f32_e32 v19, v50, v19
	v_fmac_f32_e32 v17, v51, v16
	v_add_f32_e32 v28, v28, v15
	v_fma_f32 v27, v50, v16, -v27
	v_fma_f32 v15, v50, v18, -v31
	v_fmac_f32_e32 v19, v51, v18
	v_add_f32_e32 v31, v25, v17
	s_waitcnt lgkmcnt(0)
	v_mul_f32_e32 v18, v37, v21
	v_add_f32_e32 v32, v14, v15
	ds_read2_b64 v[14:17], v12 offset0:128 offset1:144
	v_add_f32_e32 v30, v30, v27
	v_mul_f32_e32 v25, v36, v21
	v_fma_f32 v18, v36, v20, -v18
	v_mul_f32_e32 v27, v37, v23
	v_add_f32_e32 v29, v29, v19
	v_mul_f32_e32 v19, v36, v23
	v_fmac_f32_e32 v25, v37, v20
	v_add_f32_e32 v7, v7, v18
	v_mul_f32_e32 v18, v53, v21
	v_fma_f32 v27, v36, v22, -v27
	v_fmac_f32_e32 v19, v37, v22
	v_mul_f32_e32 v21, v52, v21
	v_mul_f32_e32 v35, v53, v23
	v_fma_f32 v18, v52, v20, -v18
	v_add_f32_e32 v33, v26, v25
	v_add_f32_e32 v34, v24, v27
	ds_read_b128 v[24:27], v13 offset:1056
	v_add_f32_e32 v36, v28, v19
	v_fmac_f32_e32 v21, v53, v20
	v_mul_f32_e32 v23, v52, v23
	v_fma_f32 v19, v52, v22, -v35
	v_add_f32_e32 v35, v30, v18
	s_waitcnt lgkmcnt(1)
	v_mul_f32_e32 v18, v39, v15
	v_add_f32_e32 v37, v31, v21
	v_fmac_f32_e32 v23, v53, v22
	v_add_f32_e32 v22, v32, v19
	v_mul_f32_e32 v32, v38, v15
	v_fma_f32 v28, v38, v14, -v18
	ds_read2_b64 v[18:21], v12 offset0:160 offset1:176
	v_mul_f32_e32 v30, v39, v17
	v_mul_f32_e32 v46, v38, v17
	v_fmac_f32_e32 v32, v39, v14
	v_add_f32_e32 v23, v29, v23
	v_add_f32_e32 v7, v7, v28
	v_fma_f32 v38, v38, v16, -v30
	ds_read_b128 v[28:31], v13 offset:1072
	s_waitcnt lgkmcnt(2)
	v_mul_f32_e32 v47, v25, v15
	v_add_f32_e32 v32, v33, v32
	v_mul_f32_e32 v15, v24, v15
	v_add_f32_e32 v33, v34, v38
	v_mul_f32_e32 v38, v25, v17
	v_fmac_f32_e32 v46, v39, v16
	v_fma_f32 v34, v24, v14, -v47
	v_fmac_f32_e32 v15, v25, v14
	v_mul_f32_e32 v39, v24, v17
	v_fma_f32 v14, v24, v16, -v38
	v_add_f32_e32 v36, v36, v46
	v_add_f32_e32 v34, v35, v34
	s_waitcnt lgkmcnt(1)
	v_mul_f32_e32 v17, v41, v19
	v_add_f32_e32 v24, v37, v15
	v_fmac_f32_e32 v39, v25, v16
	v_mul_f32_e32 v25, v40, v19
	v_add_f32_e32 v22, v22, v14
	v_fma_f32 v35, v40, v18, -v17
	ds_read2_b64 v[14:17], v12 offset0:192 offset1:208
	v_mul_f32_e32 v37, v41, v21
	v_fmac_f32_e32 v25, v41, v18
	v_add_f32_e32 v38, v23, v39
	v_add_f32_e32 v7, v7, v35
	v_mul_f32_e32 v23, v40, v21
	v_fma_f32 v35, v40, v20, -v37
	v_add_f32_e32 v32, v32, v25
	v_mul_f32_e32 v25, v27, v19
	v_mul_f32_e32 v19, v26, v19
	v_fmac_f32_e32 v23, v41, v20
	v_add_f32_e32 v33, v33, v35
	v_mul_f32_e32 v35, v27, v21
	v_fma_f32 v25, v26, v18, -v25
	v_fmac_f32_e32 v19, v27, v18
	v_add_f32_e32 v18, v36, v23
	v_mul_f32_e32 v21, v26, v21
	v_fma_f32 v23, v26, v20, -v35
	v_add_f32_e32 v26, v34, v25
	v_add_f32_e32 v19, v24, v19
	s_waitcnt lgkmcnt(0)
	v_mul_f32_e32 v34, v43, v15
	v_fmac_f32_e32 v21, v27, v20
	v_add_f32_e32 v20, v22, v23
	ds_read2_b64 v[22:25], v12 offset0:224 offset1:240
	v_mul_f32_e32 v27, v42, v15
	v_fma_f32 v34, v42, v14, -v34
	v_mul_f32_e32 v35, v43, v17
	v_mul_f32_e32 v36, v42, v17
	v_add_f32_e32 v21, v38, v21
	v_fmac_f32_e32 v27, v43, v14
	v_add_f32_e32 v7, v7, v34
	v_mul_f32_e32 v34, v29, v15
	v_fma_f32 v35, v42, v16, -v35
	v_fmac_f32_e32 v36, v43, v16
	v_add_f32_e32 v27, v32, v27
	v_mul_f32_e32 v15, v28, v15
	v_fma_f32 v32, v28, v14, -v34
	v_mul_f32_e32 v34, v29, v17
	v_add_f32_e32 v33, v33, v35
	v_add_f32_e32 v35, v18, v36
	v_fmac_f32_e32 v15, v29, v14
	v_add_f32_e32 v14, v26, v32
	v_mul_f32_e32 v17, v28, v17
	v_fma_f32 v18, v28, v16, -v34
	s_waitcnt lgkmcnt(0)
	v_mul_f32_e32 v26, v45, v23
	v_mul_f32_e32 v28, v44, v23
	v_add_f32_e32 v15, v19, v15
	v_fmac_f32_e32 v17, v29, v16
	v_add_f32_e32 v29, v20, v18
	v_fma_f32 v16, v44, v22, -v26
	v_mul_f32_e32 v18, v45, v25
	v_mul_f32_e32 v19, v44, v25
	v_add_f32_e32 v26, v21, v17
	v_mul_f32_e32 v17, v30, v23
	v_add_f32_e32 v20, v7, v16
	v_fma_f32 v7, v44, v24, -v18
	v_mul_f32_e32 v16, v31, v23
	v_mul_f32_e32 v23, v31, v25
	;; [unrolled: 1-line block ×3, first 2 shown]
	v_fmac_f32_e32 v28, v45, v22
	v_fmac_f32_e32 v19, v45, v24
	v_add_f32_e32 v18, v33, v7
	v_fma_f32 v7, v30, v22, -v16
	v_fmac_f32_e32 v17, v31, v22
	v_fma_f32 v22, v30, v24, -v23
	v_fmac_f32_e32 v25, v31, v24
	v_add_f32_e32 v21, v27, v28
	v_add_f32_e32 v19, v35, v19
	v_add_f32_e32 v16, v14, v7
	v_add_f32_e32 v17, v15, v17
	v_add_f32_e32 v14, v29, v22
	v_add_f32_e32 v15, v26, v25
	s_barrier
	buffer_gl0_inv
	s_cbranch_scc0 .LBB82_16
.LBB82_8:                               ; =>This Inner Loop Header: Depth=1
	v_add_nc_u32_e32 v7, s26, v9
	v_cmp_le_i32_e32 vcc_lo, s21, v7
	s_or_b32 s12, s1, vcc_lo
	s_and_saveexec_b32 s13, s12
	s_xor_b32 s12, exec_lo, s13
; %bb.9:                                ;   in Loop: Header=BB82_8 Depth=1
	v_mov_b32_e32 v7, v6
	ds_write_b64 v10, v[6:7]
; %bb.10:                               ;   in Loop: Header=BB82_8 Depth=1
	s_andn2_saveexec_b32 s12, s12
	s_cbranch_execz .LBB82_12
; %bb.11:                               ;   in Loop: Header=BB82_8 Depth=1
	global_load_dwordx2 v[22:23], v[2:3], off
	s_waitcnt vmcnt(0)
	ds_write_b64 v10, v[22:23]
.LBB82_12:                              ;   in Loop: Header=BB82_8 Depth=1
	s_or_b32 exec_lo, exec_lo, s12
	v_add_nc_u32_e32 v7, s26, v8
	v_cmp_le_i32_e32 vcc_lo, s21, v7
	s_or_b32 s12, vcc_lo, s0
	s_and_saveexec_b32 s13, s12
	s_xor_b32 s12, exec_lo, s13
; %bb.13:                               ;   in Loop: Header=BB82_8 Depth=1
	v_mov_b32_e32 v7, v6
	ds_write_b64 v11, v[6:7]
; %bb.14:                               ;   in Loop: Header=BB82_8 Depth=1
	s_andn2_saveexec_b32 s12, s12
	s_cbranch_execz .LBB82_7
; %bb.15:                               ;   in Loop: Header=BB82_8 Depth=1
	global_load_dwordx2 v[22:23], v[4:5], off
	s_waitcnt vmcnt(0)
	ds_write_b64 v11, v[22:23]
	s_branch .LBB82_7
.LBB82_16:
	s_clause 0x1
	s_load_dword s3, s[4:5], 0x50
	s_load_dwordx2 s[0:1], s[4:5], 0x58
	v_add_nc_u32_e32 v9, s25, v1
	v_add_nc_u32_e32 v0, s24, v0
	v_cmp_neq_f32_e64 s2, s10, 0
	v_cmp_le_i32_e32 vcc_lo, v9, v0
	s_waitcnt lgkmcnt(0)
	v_mad_i64_i32 v[1:2], null, v9, s3, 0
	s_mul_i32 s1, s1, s8
	s_mul_hi_u32 s5, s0, s8
	s_mul_i32 s4, s0, s8
	s_add_i32 s5, s5, s1
	v_cmp_gt_i32_e64 s0, s20, v0
	s_lshl_b64 s[4:5], s[4:5], 3
	v_lshlrev_b64 v[2:3], 3, v[1:2]
	s_add_u32 s4, s22, s4
	s_addc_u32 s5, s23, s5
	s_xor_b32 s6, s9, -1
	v_ashrrev_i32_e32 v1, 31, v0
	s_or_b32 s2, s2, s6
	v_add_co_u32 v6, s1, s4, v2
	v_add_co_ci_u32_e64 v7, null, s5, v3, s1
	v_cndmask_b32_e64 v8, 0, 1, s2
	s_and_b32 s6, vcc_lo, s0
	s_and_saveexec_b32 s1, s6
	s_cbranch_execz .LBB82_20
; %bb.17:
	v_lshlrev_b64 v[4:5], 3, v[0:1]
	v_mul_f32_e32 v2, s15, v21
	v_mul_f32_e32 v3, s14, v21
	v_fma_f32 v2, v20, s14, -v2
	v_add_co_u32 v4, vcc_lo, v6, v4
	v_fmac_f32_e32 v3, s15, v20
	v_add_co_ci_u32_e64 v5, null, v7, v5, vcc_lo
	s_andn2_b32 vcc_lo, exec_lo, s2
	s_cbranch_vccnz .LBB82_19
; %bb.18:
	global_load_dwordx2 v[10:11], v[4:5], off
	s_waitcnt vmcnt(0)
	v_mul_f32_e32 v12, s11, v11
	v_mul_f32_e32 v11, s10, v11
	v_fma_f32 v12, v10, s10, -v12
	v_fmac_f32_e32 v11, s11, v10
	v_add_f32_e32 v2, v2, v12
	v_add_f32_e32 v3, v3, v11
.LBB82_19:
	global_store_dwordx2 v[4:5], v[2:3], off
.LBB82_20:
	s_or_b32 exec_lo, exec_lo, s1
	v_add_nc_u32_e32 v2, 16, v0
	v_cmp_le_i32_e32 vcc_lo, v9, v2
	v_cmp_gt_i32_e64 s1, s20, v2
	v_ashrrev_i32_e32 v3, 31, v2
	s_and_b32 s2, vcc_lo, s1
	s_and_saveexec_b32 s6, s2
	s_cbranch_execz .LBB82_24
; %bb.21:
	v_lshlrev_b64 v[10:11], 3, v[2:3]
	v_mul_f32_e32 v4, s15, v19
	v_mul_f32_e32 v5, s14, v19
	v_cmp_ne_u32_e32 vcc_lo, 1, v8
	v_fma_f32 v4, v18, s14, -v4
	v_add_co_u32 v6, s2, v6, v10
	v_fmac_f32_e32 v5, s15, v18
	v_add_co_ci_u32_e64 v7, null, v7, v11, s2
	s_cbranch_vccnz .LBB82_23
; %bb.22:
	global_load_dwordx2 v[10:11], v[6:7], off
	s_waitcnt vmcnt(0)
	v_mul_f32_e32 v12, s11, v11
	v_mul_f32_e32 v11, s10, v11
	v_fma_f32 v12, v10, s10, -v12
	v_fmac_f32_e32 v11, s11, v10
	v_add_f32_e32 v4, v4, v12
	v_add_f32_e32 v5, v5, v11
.LBB82_23:
	global_store_dwordx2 v[6:7], v[4:5], off
.LBB82_24:
	s_or_b32 exec_lo, exec_lo, s6
	v_add_nc_u32_e32 v9, 16, v9
	v_mad_i64_i32 v[4:5], null, v9, s3, 0
	v_cmp_le_i32_e32 vcc_lo, v9, v0
	s_and_b32 s0, vcc_lo, s0
	v_lshlrev_b64 v[4:5], 3, v[4:5]
	v_add_co_u32 v6, s2, s4, v4
	v_add_co_ci_u32_e64 v7, null, s5, v5, s2
	s_and_saveexec_b32 s2, s0
	s_cbranch_execz .LBB82_28
; %bb.25:
	v_lshlrev_b64 v[0:1], 3, v[0:1]
	v_mul_f32_e32 v4, s15, v17
	v_mul_f32_e32 v5, s14, v17
	v_cmp_ne_u32_e32 vcc_lo, 1, v8
	v_fma_f32 v4, v16, s14, -v4
	v_add_co_u32 v0, s0, v6, v0
	v_fmac_f32_e32 v5, s15, v16
	v_add_co_ci_u32_e64 v1, null, v7, v1, s0
	s_cbranch_vccnz .LBB82_27
; %bb.26:
	global_load_dwordx2 v[10:11], v[0:1], off
	s_waitcnt vmcnt(0)
	v_mul_f32_e32 v12, s11, v11
	v_mul_f32_e32 v11, s10, v11
	v_fma_f32 v12, v10, s10, -v12
	v_fmac_f32_e32 v11, s11, v10
	v_add_f32_e32 v4, v4, v12
	v_add_f32_e32 v5, v5, v11
.LBB82_27:
	global_store_dwordx2 v[0:1], v[4:5], off
.LBB82_28:
	s_or_b32 exec_lo, exec_lo, s2
	v_cmp_le_i32_e32 vcc_lo, v9, v2
	s_and_b32 s0, vcc_lo, s1
	s_and_saveexec_b32 s1, s0
	s_cbranch_execz .LBB82_32
; %bb.29:
	v_lshlrev_b64 v[2:3], 3, v[2:3]
	v_mul_f32_e32 v0, s15, v15
	v_mul_f32_e32 v1, s14, v15
	v_cmp_ne_u32_e32 vcc_lo, 1, v8
	v_fma_f32 v0, v14, s14, -v0
	v_add_co_u32 v2, s0, v6, v2
	v_fmac_f32_e32 v1, s15, v14
	v_add_co_ci_u32_e64 v3, null, v7, v3, s0
	s_cbranch_vccnz .LBB82_31
; %bb.30:
	global_load_dwordx2 v[4:5], v[2:3], off
	s_waitcnt vmcnt(0)
	v_mul_f32_e32 v6, s11, v5
	v_mul_f32_e32 v5, s10, v5
	v_fma_f32 v6, v4, s10, -v6
	v_fmac_f32_e32 v5, s11, v4
	v_add_f32_e32 v0, v0, v6
	v_add_f32_e32 v1, v1, v5
.LBB82_31:
	global_store_dwordx2 v[2:3], v[0:1], off
.LBB82_32:
	s_endpgm
	.section	.rodata,"a",@progbits
	.p2align	6, 0x0
	.amdhsa_kernel _ZL29rocblas_internal_gemmt_kernelIiLi16ELi32ELi8ELc78ELc84ELc76ELb0ELb0E19rocblas_complex_numIfEPKS1_S3_PS1_EviT_T9_T10_S5_lS7_S5_lS6_T11_S5_li
		.amdhsa_group_segment_fixed_size 4096
		.amdhsa_private_segment_fixed_size 0
		.amdhsa_kernarg_size 100
		.amdhsa_user_sgpr_count 6
		.amdhsa_user_sgpr_private_segment_buffer 1
		.amdhsa_user_sgpr_dispatch_ptr 0
		.amdhsa_user_sgpr_queue_ptr 0
		.amdhsa_user_sgpr_kernarg_segment_ptr 1
		.amdhsa_user_sgpr_dispatch_id 0
		.amdhsa_user_sgpr_flat_scratch_init 0
		.amdhsa_user_sgpr_private_segment_size 0
		.amdhsa_wavefront_size32 1
		.amdhsa_uses_dynamic_stack 0
		.amdhsa_system_sgpr_private_segment_wavefront_offset 0
		.amdhsa_system_sgpr_workgroup_id_x 1
		.amdhsa_system_sgpr_workgroup_id_y 1
		.amdhsa_system_sgpr_workgroup_id_z 1
		.amdhsa_system_sgpr_workgroup_info 0
		.amdhsa_system_vgpr_workitem_id 1
		.amdhsa_next_free_vgpr 59
		.amdhsa_next_free_sgpr 30
		.amdhsa_reserve_vcc 1
		.amdhsa_reserve_flat_scratch 0
		.amdhsa_float_round_mode_32 0
		.amdhsa_float_round_mode_16_64 0
		.amdhsa_float_denorm_mode_32 3
		.amdhsa_float_denorm_mode_16_64 3
		.amdhsa_dx10_clamp 1
		.amdhsa_ieee_mode 1
		.amdhsa_fp16_overflow 0
		.amdhsa_workgroup_processor_mode 1
		.amdhsa_memory_ordered 1
		.amdhsa_forward_progress 1
		.amdhsa_shared_vgpr_count 0
		.amdhsa_exception_fp_ieee_invalid_op 0
		.amdhsa_exception_fp_denorm_src 0
		.amdhsa_exception_fp_ieee_div_zero 0
		.amdhsa_exception_fp_ieee_overflow 0
		.amdhsa_exception_fp_ieee_underflow 0
		.amdhsa_exception_fp_ieee_inexact 0
		.amdhsa_exception_int_div_zero 0
	.end_amdhsa_kernel
	.section	.text._ZL29rocblas_internal_gemmt_kernelIiLi16ELi32ELi8ELc78ELc84ELc76ELb0ELb0E19rocblas_complex_numIfEPKS1_S3_PS1_EviT_T9_T10_S5_lS7_S5_lS6_T11_S5_li,"axG",@progbits,_ZL29rocblas_internal_gemmt_kernelIiLi16ELi32ELi8ELc78ELc84ELc76ELb0ELb0E19rocblas_complex_numIfEPKS1_S3_PS1_EviT_T9_T10_S5_lS7_S5_lS6_T11_S5_li,comdat
.Lfunc_end82:
	.size	_ZL29rocblas_internal_gemmt_kernelIiLi16ELi32ELi8ELc78ELc84ELc76ELb0ELb0E19rocblas_complex_numIfEPKS1_S3_PS1_EviT_T9_T10_S5_lS7_S5_lS6_T11_S5_li, .Lfunc_end82-_ZL29rocblas_internal_gemmt_kernelIiLi16ELi32ELi8ELc78ELc84ELc76ELb0ELb0E19rocblas_complex_numIfEPKS1_S3_PS1_EviT_T9_T10_S5_lS7_S5_lS6_T11_S5_li
                                        ; -- End function
	.set _ZL29rocblas_internal_gemmt_kernelIiLi16ELi32ELi8ELc78ELc84ELc76ELb0ELb0E19rocblas_complex_numIfEPKS1_S3_PS1_EviT_T9_T10_S5_lS7_S5_lS6_T11_S5_li.num_vgpr, 59
	.set _ZL29rocblas_internal_gemmt_kernelIiLi16ELi32ELi8ELc78ELc84ELc76ELb0ELb0E19rocblas_complex_numIfEPKS1_S3_PS1_EviT_T9_T10_S5_lS7_S5_lS6_T11_S5_li.num_agpr, 0
	.set _ZL29rocblas_internal_gemmt_kernelIiLi16ELi32ELi8ELc78ELc84ELc76ELb0ELb0E19rocblas_complex_numIfEPKS1_S3_PS1_EviT_T9_T10_S5_lS7_S5_lS6_T11_S5_li.numbered_sgpr, 30
	.set _ZL29rocblas_internal_gemmt_kernelIiLi16ELi32ELi8ELc78ELc84ELc76ELb0ELb0E19rocblas_complex_numIfEPKS1_S3_PS1_EviT_T9_T10_S5_lS7_S5_lS6_T11_S5_li.num_named_barrier, 0
	.set _ZL29rocblas_internal_gemmt_kernelIiLi16ELi32ELi8ELc78ELc84ELc76ELb0ELb0E19rocblas_complex_numIfEPKS1_S3_PS1_EviT_T9_T10_S5_lS7_S5_lS6_T11_S5_li.private_seg_size, 0
	.set _ZL29rocblas_internal_gemmt_kernelIiLi16ELi32ELi8ELc78ELc84ELc76ELb0ELb0E19rocblas_complex_numIfEPKS1_S3_PS1_EviT_T9_T10_S5_lS7_S5_lS6_T11_S5_li.uses_vcc, 1
	.set _ZL29rocblas_internal_gemmt_kernelIiLi16ELi32ELi8ELc78ELc84ELc76ELb0ELb0E19rocblas_complex_numIfEPKS1_S3_PS1_EviT_T9_T10_S5_lS7_S5_lS6_T11_S5_li.uses_flat_scratch, 0
	.set _ZL29rocblas_internal_gemmt_kernelIiLi16ELi32ELi8ELc78ELc84ELc76ELb0ELb0E19rocblas_complex_numIfEPKS1_S3_PS1_EviT_T9_T10_S5_lS7_S5_lS6_T11_S5_li.has_dyn_sized_stack, 0
	.set _ZL29rocblas_internal_gemmt_kernelIiLi16ELi32ELi8ELc78ELc84ELc76ELb0ELb0E19rocblas_complex_numIfEPKS1_S3_PS1_EviT_T9_T10_S5_lS7_S5_lS6_T11_S5_li.has_recursion, 0
	.set _ZL29rocblas_internal_gemmt_kernelIiLi16ELi32ELi8ELc78ELc84ELc76ELb0ELb0E19rocblas_complex_numIfEPKS1_S3_PS1_EviT_T9_T10_S5_lS7_S5_lS6_T11_S5_li.has_indirect_call, 0
	.section	.AMDGPU.csdata,"",@progbits
; Kernel info:
; codeLenInByte = 2540
; TotalNumSgprs: 32
; NumVgprs: 59
; ScratchSize: 0
; MemoryBound: 1
; FloatMode: 240
; IeeeMode: 1
; LDSByteSize: 4096 bytes/workgroup (compile time only)
; SGPRBlocks: 0
; VGPRBlocks: 7
; NumSGPRsForWavesPerEU: 32
; NumVGPRsForWavesPerEU: 59
; Occupancy: 16
; WaveLimiterHint : 0
; COMPUTE_PGM_RSRC2:SCRATCH_EN: 0
; COMPUTE_PGM_RSRC2:USER_SGPR: 6
; COMPUTE_PGM_RSRC2:TRAP_HANDLER: 0
; COMPUTE_PGM_RSRC2:TGID_X_EN: 1
; COMPUTE_PGM_RSRC2:TGID_Y_EN: 1
; COMPUTE_PGM_RSRC2:TGID_Z_EN: 1
; COMPUTE_PGM_RSRC2:TIDIG_COMP_CNT: 1
	.section	.text._ZL29rocblas_internal_gemmt_kernelIiLi16ELi32ELi8ELc78ELc67ELc76ELb0ELb1E19rocblas_complex_numIfEPKS1_S3_PS1_EviT_T9_T10_S5_lS7_S5_lS6_T11_S5_li,"axG",@progbits,_ZL29rocblas_internal_gemmt_kernelIiLi16ELi32ELi8ELc78ELc67ELc76ELb0ELb1E19rocblas_complex_numIfEPKS1_S3_PS1_EviT_T9_T10_S5_lS7_S5_lS6_T11_S5_li,comdat
	.globl	_ZL29rocblas_internal_gemmt_kernelIiLi16ELi32ELi8ELc78ELc67ELc76ELb0ELb1E19rocblas_complex_numIfEPKS1_S3_PS1_EviT_T9_T10_S5_lS7_S5_lS6_T11_S5_li ; -- Begin function _ZL29rocblas_internal_gemmt_kernelIiLi16ELi32ELi8ELc78ELc67ELc76ELb0ELb1E19rocblas_complex_numIfEPKS1_S3_PS1_EviT_T9_T10_S5_lS7_S5_lS6_T11_S5_li
	.p2align	8
	.type	_ZL29rocblas_internal_gemmt_kernelIiLi16ELi32ELi8ELc78ELc67ELc76ELb0ELb1E19rocblas_complex_numIfEPKS1_S3_PS1_EviT_T9_T10_S5_lS7_S5_lS6_T11_S5_li,@function
_ZL29rocblas_internal_gemmt_kernelIiLi16ELi32ELi8ELc78ELc67ELc76ELb0ELb1E19rocblas_complex_numIfEPKS1_S3_PS1_EviT_T9_T10_S5_lS7_S5_lS6_T11_S5_li: ; @_ZL29rocblas_internal_gemmt_kernelIiLi16ELi32ELi8ELc78ELc67ELc76ELb0ELb1E19rocblas_complex_numIfEPKS1_S3_PS1_EviT_T9_T10_S5_lS7_S5_lS6_T11_S5_li
; %bb.0:
	s_clause 0x1
	s_load_dwordx4 s[12:15], s[4:5], 0x38
	s_load_dwordx4 s[0:3], s[4:5], 0x8
	s_waitcnt lgkmcnt(0)
	s_load_dwordx2 s[10:11], s[14:15], 0x0
	s_load_dwordx2 s[20:21], s[4:5], 0x0
	;; [unrolled: 1-line block ×3, first 2 shown]
	s_waitcnt lgkmcnt(0)
	s_and_b32 s0, s11, 0x7fffffff
	v_cmp_eq_f32_e64 s1, s10, 1.0
	s_cmp_eq_u32 s0, 0
	s_mov_b32 s0, 0
	s_cselect_b32 s9, -1, 0
	s_and_b32 s1, s1, s9
	s_andn2_b32 vcc_lo, exec_lo, s1
	s_mov_b32 s1, -1
	s_cbranch_vccnz .LBB83_4
; %bb.1:
	s_cmp_lg_u32 s21, 0
	s_cbranch_scc0 .LBB83_3
; %bb.2:
	v_cmp_neq_f32_e64 s0, s14, 0
	v_cmp_neq_f32_e64 s1, s15, 0
	s_or_b32 s0, s0, s1
.LBB83_3:
	s_mov_b32 s1, s0
.LBB83_4:
	s_and_b32 vcc_lo, exec_lo, s1
	s_cbranch_vccz .LBB83_32
; %bb.5:
	s_load_dwordx2 s[22:23], s[4:5], 0x48
	v_cmp_eq_f32_e64 s0, s14, 0
	v_cmp_eq_f32_e64 s1, s15, 0
	s_lshl_b32 s26, s6, 5
	s_lshl_b32 s27, s7, 5
	v_mov_b32_e32 v20, 0
	v_mov_b32_e32 v21, 0
	s_and_b32 s0, s0, s1
	s_cmp_lt_i32 s21, 1
	v_mov_b32_e32 v18, 0
	s_cselect_b32 s1, -1, 0
	v_mov_b32_e32 v19, 0
	v_mov_b32_e32 v16, 0
	;; [unrolled: 1-line block ×5, first 2 shown]
	s_or_b32 s0, s0, s1
	s_mov_b32 s28, 0
	s_and_b32 vcc_lo, exec_lo, s0
	s_cbranch_vccnz .LBB83_16
; %bb.6:
	s_load_dword s24, s[4:5], 0x18
	v_lshl_add_u32 v2, v1, 4, v0
	s_clause 0x1
	s_load_dwordx4 s[16:19], s[4:5], 0x20
	s_load_dword s6, s[4:5], 0x30
	v_and_b32_e32 v8, 7, v0
	v_lshlrev_b32_e32 v9, 3, v0
	v_lshl_add_u32 v10, v1, 6, 0x800
	v_and_b32_e32 v3, 31, v2
	v_lshrrev_b32_e32 v4, 3, v2
	v_lshlrev_b32_e32 v5, 3, v8
	v_lshrrev_b32_e32 v11, 5, v2
	v_mov_b32_e32 v19, 0
	v_or_b32_e32 v6, s26, v3
	v_add_nc_u32_e32 v2, s27, v4
	v_lshl_or_b32 v13, v4, 6, v5
	v_add_nc_u32_e32 v4, s26, v3
	v_lshlrev_b32_e32 v7, 3, v3
	v_cmp_gt_i32_e32 vcc_lo, s20, v6
	v_ashrrev_i32_e32 v3, 31, v2
	v_cmp_gt_i32_e64 s0, s20, v2
	v_add_nc_u32_e32 v13, 0x800, v13
	s_waitcnt lgkmcnt(0)
	v_mad_i64_i32 v[5:6], null, v11, s24, 0
	s_mul_i32 s1, s17, s8
	s_mul_hi_u32 s17, s16, s8
	v_mad_i64_i32 v[14:15], null, s6, v8, 0
	s_mul_i32 s16, s16, s8
	s_add_i32 s17, s17, s1
	v_lshlrev_b64 v[5:6], 3, v[5:6]
	s_lshl_b64 s[16:17], s[16:17], 3
	v_lshl_or_b32 v12, v11, 8, v7
	v_lshlrev_b64 v[2:3], 3, v[2:3]
	v_mov_b32_e32 v18, 0
	v_mov_b32_e32 v21, 0
	v_add_co_u32 v16, s1, v5, s16
	v_ashrrev_i32_e32 v5, 31, v4
	v_add_co_ci_u32_e64 v17, null, s17, v6, s1
	s_mul_i32 s1, s13, s8
	s_mul_hi_u32 s13, s12, s8
	v_lshlrev_b64 v[6:7], 3, v[14:15]
	s_add_i32 s13, s13, s1
	s_mul_i32 s12, s12, s8
	v_lshlrev_b64 v[4:5], 3, v[4:5]
	s_lshl_b64 s[12:13], s[12:13], 3
	v_mov_b32_e32 v15, 0
	v_add_co_u32 v6, s1, s12, v6
	v_add_co_ci_u32_e64 v7, null, s13, v7, s1
	v_add_co_u32 v4, s1, v16, v4
	v_add_co_ci_u32_e64 v5, null, v17, v5, s1
	v_add_co_u32 v6, s1, v6, v2
	v_add_co_ci_u32_e64 v7, null, v7, v3, s1
	v_add_co_u32 v2, s1, s2, v4
	v_add_co_ci_u32_e64 v3, null, s3, v5, s1
	v_add_co_u32 v4, s1, s18, v6
	v_add_co_ci_u32_e64 v5, null, s19, v7, s1
	v_mov_b32_e32 v6, 0
	v_add_co_u32 v4, s1, v4, 4
	v_add_co_ci_u32_e64 v5, null, 0, v5, s1
	v_mov_b32_e32 v14, 0
	v_mov_b32_e32 v17, 0
	;; [unrolled: 1-line block ×4, first 2 shown]
	s_ashr_i32 s25, s24, 31
	s_ashr_i32 s7, s6, 31
	s_lshl_b64 s[2:3], s[24:25], 6
	s_lshl_b64 s[6:7], s[6:7], 6
	s_xor_b32 s1, vcc_lo, -1
	s_xor_b32 s0, s0, -1
	s_branch .LBB83_8
.LBB83_7:                               ;   in Loop: Header=BB83_8 Depth=1
	s_or_b32 exec_lo, exec_lo, s12
	ds_write_b32 v13, v7 offset:4
	s_waitcnt lgkmcnt(0)
	s_barrier
	buffer_gl0_inv
	ds_read_b128 v[22:25], v10
	ds_read2_b64 v[26:29], v9 offset1:16
	ds_read_b128 v[30:33], v10 offset:1024
	ds_read_b128 v[34:37], v10 offset:16
	;; [unrolled: 1-line block ×4, first 2 shown]
	ds_read2_b64 v[46:49], v9 offset0:32 offset1:48
	ds_read_b128 v[50:53], v10 offset:1040
	v_add_co_u32 v2, vcc_lo, v2, s2
	v_add_co_ci_u32_e64 v3, null, s3, v3, vcc_lo
	v_add_co_u32 v4, vcc_lo, v4, s6
	v_add_co_ci_u32_e64 v5, null, s7, v5, vcc_lo
	s_add_i32 s28, s28, 8
	s_cmp_lt_i32 s28, s21
	s_waitcnt lgkmcnt(6)
	v_mul_f32_e32 v7, v23, v27
	v_mul_f32_e32 v54, v22, v27
	;; [unrolled: 1-line block ×4, first 2 shown]
	s_waitcnt lgkmcnt(5)
	v_mul_f32_e32 v57, v31, v27
	v_mul_f32_e32 v27, v30, v27
	;; [unrolled: 1-line block ×3, first 2 shown]
	v_fma_f32 v7, v22, v26, -v7
	v_fmac_f32_e32 v54, v23, v26
	v_fma_f32 v22, v22, v28, -v55
	v_fmac_f32_e32 v56, v23, v28
	;; [unrolled: 2-line block ×3, first 2 shown]
	v_mul_f32_e32 v29, v30, v29
	v_fma_f32 v26, v30, v28, -v58
	v_add_f32_e32 v7, v20, v7
	v_add_f32_e32 v20, v21, v54
	;; [unrolled: 1-line block ×6, first 2 shown]
	s_waitcnt lgkmcnt(1)
	v_mul_f32_e32 v30, v25, v47
	ds_read2_b64 v[16:19], v9 offset0:64 offset1:80
	v_fmac_f32_e32 v29, v31, v28
	v_add_f32_e32 v14, v14, v26
	v_mul_f32_e32 v26, v24, v47
	v_fma_f32 v28, v24, v46, -v30
	v_mul_f32_e32 v30, v25, v49
	v_add_f32_e32 v15, v15, v29
	v_mul_f32_e32 v29, v24, v49
	v_fmac_f32_e32 v26, v25, v46
	v_add_f32_e32 v7, v7, v28
	v_fma_f32 v24, v24, v48, -v30
	v_mul_f32_e32 v28, v33, v47
	v_fmac_f32_e32 v29, v25, v48
	v_add_f32_e32 v26, v20, v26
	v_mul_f32_e32 v20, v32, v47
	v_add_f32_e32 v24, v21, v24
	v_fma_f32 v21, v32, v46, -v28
	v_mul_f32_e32 v25, v33, v49
	v_add_f32_e32 v28, v22, v29
	v_fmac_f32_e32 v20, v33, v46
	v_mul_f32_e32 v29, v32, v49
	v_add_f32_e32 v30, v23, v21
	v_fma_f32 v21, v32, v48, -v25
	s_waitcnt lgkmcnt(0)
	v_mul_f32_e32 v22, v35, v17
	v_add_f32_e32 v25, v27, v20
	v_fmac_f32_e32 v29, v33, v48
	v_mul_f32_e32 v27, v34, v17
	v_add_f32_e32 v14, v14, v21
	v_fma_f32 v31, v34, v16, -v22
	v_mul_f32_e32 v32, v35, v19
	ds_read2_b64 v[20:23], v9 offset0:96 offset1:112
	v_fmac_f32_e32 v27, v35, v16
	v_add_f32_e32 v29, v15, v29
	v_add_f32_e32 v7, v7, v31
	v_mul_f32_e32 v15, v34, v19
	v_fma_f32 v31, v34, v18, -v32
	v_add_f32_e32 v26, v26, v27
	v_mul_f32_e32 v27, v51, v17
	v_mul_f32_e32 v17, v50, v17
	v_fmac_f32_e32 v15, v35, v18
	v_add_f32_e32 v24, v24, v31
	v_mul_f32_e32 v31, v51, v19
	v_mul_f32_e32 v19, v50, v19
	v_fmac_f32_e32 v17, v51, v16
	v_add_f32_e32 v28, v28, v15
	v_fma_f32 v27, v50, v16, -v27
	v_fma_f32 v15, v50, v18, -v31
	v_fmac_f32_e32 v19, v51, v18
	v_add_f32_e32 v31, v25, v17
	s_waitcnt lgkmcnt(0)
	v_mul_f32_e32 v18, v37, v21
	v_add_f32_e32 v32, v14, v15
	ds_read2_b64 v[14:17], v9 offset0:128 offset1:144
	v_add_f32_e32 v30, v30, v27
	v_mul_f32_e32 v25, v36, v21
	v_fma_f32 v18, v36, v20, -v18
	v_mul_f32_e32 v27, v37, v23
	v_add_f32_e32 v29, v29, v19
	v_mul_f32_e32 v19, v36, v23
	v_fmac_f32_e32 v25, v37, v20
	v_add_f32_e32 v7, v7, v18
	v_mul_f32_e32 v18, v53, v21
	v_fma_f32 v27, v36, v22, -v27
	v_fmac_f32_e32 v19, v37, v22
	v_mul_f32_e32 v21, v52, v21
	v_mul_f32_e32 v35, v53, v23
	v_fma_f32 v18, v52, v20, -v18
	v_add_f32_e32 v33, v26, v25
	v_add_f32_e32 v34, v24, v27
	ds_read_b128 v[24:27], v10 offset:1056
	v_add_f32_e32 v36, v28, v19
	v_fmac_f32_e32 v21, v53, v20
	v_mul_f32_e32 v23, v52, v23
	v_fma_f32 v19, v52, v22, -v35
	v_add_f32_e32 v35, v30, v18
	s_waitcnt lgkmcnt(1)
	v_mul_f32_e32 v18, v39, v15
	v_add_f32_e32 v37, v31, v21
	v_fmac_f32_e32 v23, v53, v22
	v_add_f32_e32 v22, v32, v19
	v_mul_f32_e32 v32, v38, v15
	v_fma_f32 v28, v38, v14, -v18
	ds_read2_b64 v[18:21], v9 offset0:160 offset1:176
	v_mul_f32_e32 v30, v39, v17
	v_mul_f32_e32 v46, v38, v17
	v_fmac_f32_e32 v32, v39, v14
	v_add_f32_e32 v23, v29, v23
	v_add_f32_e32 v7, v7, v28
	v_fma_f32 v38, v38, v16, -v30
	ds_read_b128 v[28:31], v10 offset:1072
	s_waitcnt lgkmcnt(2)
	v_mul_f32_e32 v47, v25, v15
	v_add_f32_e32 v32, v33, v32
	v_mul_f32_e32 v15, v24, v15
	v_add_f32_e32 v33, v34, v38
	v_mul_f32_e32 v38, v25, v17
	v_fmac_f32_e32 v46, v39, v16
	v_fma_f32 v34, v24, v14, -v47
	v_fmac_f32_e32 v15, v25, v14
	v_mul_f32_e32 v39, v24, v17
	v_fma_f32 v14, v24, v16, -v38
	v_add_f32_e32 v36, v36, v46
	v_add_f32_e32 v34, v35, v34
	s_waitcnt lgkmcnt(1)
	v_mul_f32_e32 v17, v41, v19
	v_add_f32_e32 v24, v37, v15
	v_fmac_f32_e32 v39, v25, v16
	v_mul_f32_e32 v25, v40, v19
	v_add_f32_e32 v22, v22, v14
	v_fma_f32 v35, v40, v18, -v17
	ds_read2_b64 v[14:17], v9 offset0:192 offset1:208
	v_mul_f32_e32 v37, v41, v21
	v_fmac_f32_e32 v25, v41, v18
	v_add_f32_e32 v38, v23, v39
	v_add_f32_e32 v7, v7, v35
	v_mul_f32_e32 v23, v40, v21
	v_fma_f32 v35, v40, v20, -v37
	v_add_f32_e32 v32, v32, v25
	v_mul_f32_e32 v25, v27, v19
	v_mul_f32_e32 v19, v26, v19
	v_fmac_f32_e32 v23, v41, v20
	v_add_f32_e32 v33, v33, v35
	v_mul_f32_e32 v35, v27, v21
	v_fma_f32 v25, v26, v18, -v25
	v_fmac_f32_e32 v19, v27, v18
	v_add_f32_e32 v18, v36, v23
	v_mul_f32_e32 v21, v26, v21
	v_fma_f32 v23, v26, v20, -v35
	v_add_f32_e32 v26, v34, v25
	v_add_f32_e32 v19, v24, v19
	s_waitcnt lgkmcnt(0)
	v_mul_f32_e32 v34, v43, v15
	v_fmac_f32_e32 v21, v27, v20
	v_add_f32_e32 v20, v22, v23
	ds_read2_b64 v[22:25], v9 offset0:224 offset1:240
	v_mul_f32_e32 v27, v42, v15
	v_fma_f32 v34, v42, v14, -v34
	v_mul_f32_e32 v35, v43, v17
	v_mul_f32_e32 v36, v42, v17
	v_add_f32_e32 v21, v38, v21
	v_fmac_f32_e32 v27, v43, v14
	v_add_f32_e32 v7, v7, v34
	v_mul_f32_e32 v34, v29, v15
	v_fma_f32 v35, v42, v16, -v35
	v_fmac_f32_e32 v36, v43, v16
	v_add_f32_e32 v27, v32, v27
	v_mul_f32_e32 v15, v28, v15
	v_fma_f32 v32, v28, v14, -v34
	v_mul_f32_e32 v34, v29, v17
	v_add_f32_e32 v33, v33, v35
	v_add_f32_e32 v35, v18, v36
	v_fmac_f32_e32 v15, v29, v14
	v_add_f32_e32 v14, v26, v32
	v_mul_f32_e32 v17, v28, v17
	v_fma_f32 v18, v28, v16, -v34
	s_waitcnt lgkmcnt(0)
	v_mul_f32_e32 v26, v45, v23
	v_mul_f32_e32 v28, v44, v23
	v_add_f32_e32 v15, v19, v15
	v_fmac_f32_e32 v17, v29, v16
	v_add_f32_e32 v29, v20, v18
	v_fma_f32 v16, v44, v22, -v26
	v_mul_f32_e32 v18, v45, v25
	v_mul_f32_e32 v19, v44, v25
	v_add_f32_e32 v26, v21, v17
	v_mul_f32_e32 v17, v30, v23
	v_add_f32_e32 v20, v7, v16
	v_fma_f32 v7, v44, v24, -v18
	v_mul_f32_e32 v16, v31, v23
	v_mul_f32_e32 v23, v31, v25
	;; [unrolled: 1-line block ×3, first 2 shown]
	v_fmac_f32_e32 v28, v45, v22
	v_fmac_f32_e32 v19, v45, v24
	v_add_f32_e32 v18, v33, v7
	v_fma_f32 v7, v30, v22, -v16
	v_fmac_f32_e32 v17, v31, v22
	v_fma_f32 v22, v30, v24, -v23
	v_fmac_f32_e32 v25, v31, v24
	v_add_f32_e32 v21, v27, v28
	v_add_f32_e32 v19, v35, v19
	;; [unrolled: 1-line block ×6, first 2 shown]
	s_barrier
	buffer_gl0_inv
	s_cbranch_scc0 .LBB83_16
.LBB83_8:                               ; =>This Inner Loop Header: Depth=1
	v_add_nc_u32_e32 v7, s28, v11
	v_cmp_le_i32_e32 vcc_lo, s21, v7
	s_or_b32 s12, s1, vcc_lo
	s_and_saveexec_b32 s13, s12
	s_xor_b32 s12, exec_lo, s13
; %bb.9:                                ;   in Loop: Header=BB83_8 Depth=1
	v_mov_b32_e32 v7, v6
	ds_write_b64 v12, v[6:7]
; %bb.10:                               ;   in Loop: Header=BB83_8 Depth=1
	s_andn2_saveexec_b32 s12, s12
	s_cbranch_execz .LBB83_12
; %bb.11:                               ;   in Loop: Header=BB83_8 Depth=1
	global_load_dwordx2 v[22:23], v[2:3], off
	s_waitcnt vmcnt(0)
	ds_write_b64 v12, v[22:23]
.LBB83_12:                              ;   in Loop: Header=BB83_8 Depth=1
	s_or_b32 exec_lo, exec_lo, s12
	v_add_nc_u32_e32 v7, s28, v8
	v_cmp_le_i32_e32 vcc_lo, s21, v7
	s_or_b32 s12, vcc_lo, s0
	s_and_saveexec_b32 s13, s12
	s_xor_b32 s12, exec_lo, s13
; %bb.13:                               ;   in Loop: Header=BB83_8 Depth=1
	ds_write_b32 v13, v6
; %bb.14:                               ;   in Loop: Header=BB83_8 Depth=1
	s_or_saveexec_b32 s12, s12
	v_mov_b32_e32 v7, 0
	s_xor_b32 exec_lo, exec_lo, s12
	s_cbranch_execz .LBB83_7
; %bb.15:                               ;   in Loop: Header=BB83_8 Depth=1
	global_load_dwordx2 v[22:23], v[4:5], off offset:-4
	s_waitcnt vmcnt(0)
	v_xor_b32_e32 v7, 0x80000000, v23
	ds_write_b32 v13, v22
	s_branch .LBB83_7
.LBB83_16:
	s_clause 0x1
	s_load_dword s3, s[4:5], 0x50
	s_load_dwordx2 s[0:1], s[4:5], 0x58
	v_add_nc_u32_e32 v9, s27, v1
	v_add_nc_u32_e32 v0, s26, v0
	v_cmp_neq_f32_e64 s2, s10, 0
	v_cmp_le_i32_e32 vcc_lo, v9, v0
	s_waitcnt lgkmcnt(0)
	v_mad_i64_i32 v[1:2], null, v9, s3, 0
	s_mul_i32 s1, s1, s8
	s_mul_hi_u32 s5, s0, s8
	s_mul_i32 s4, s0, s8
	s_add_i32 s5, s5, s1
	v_cmp_gt_i32_e64 s0, s20, v0
	s_lshl_b64 s[4:5], s[4:5], 3
	v_lshlrev_b64 v[2:3], 3, v[1:2]
	s_add_u32 s4, s22, s4
	s_addc_u32 s5, s23, s5
	s_xor_b32 s6, s9, -1
	v_ashrrev_i32_e32 v1, 31, v0
	s_or_b32 s2, s2, s6
	v_add_co_u32 v6, s1, s4, v2
	v_add_co_ci_u32_e64 v7, null, s5, v3, s1
	v_cndmask_b32_e64 v8, 0, 1, s2
	s_and_b32 s6, vcc_lo, s0
	s_and_saveexec_b32 s1, s6
	s_cbranch_execz .LBB83_20
; %bb.17:
	v_lshlrev_b64 v[4:5], 3, v[0:1]
	v_mul_f32_e32 v2, s15, v21
	v_mul_f32_e32 v3, s14, v21
	v_fma_f32 v2, v20, s14, -v2
	v_add_co_u32 v4, vcc_lo, v6, v4
	v_fmac_f32_e32 v3, s15, v20
	v_add_co_ci_u32_e64 v5, null, v7, v5, vcc_lo
	s_andn2_b32 vcc_lo, exec_lo, s2
	s_cbranch_vccnz .LBB83_19
; %bb.18:
	global_load_dwordx2 v[10:11], v[4:5], off
	s_waitcnt vmcnt(0)
	v_mul_f32_e32 v12, s11, v11
	v_mul_f32_e32 v11, s10, v11
	v_fma_f32 v12, v10, s10, -v12
	v_fmac_f32_e32 v11, s11, v10
	v_add_f32_e32 v2, v2, v12
	v_add_f32_e32 v3, v3, v11
.LBB83_19:
	global_store_dwordx2 v[4:5], v[2:3], off
.LBB83_20:
	s_or_b32 exec_lo, exec_lo, s1
	v_add_nc_u32_e32 v2, 16, v0
	v_cmp_le_i32_e32 vcc_lo, v9, v2
	v_cmp_gt_i32_e64 s1, s20, v2
	v_ashrrev_i32_e32 v3, 31, v2
	s_and_b32 s2, vcc_lo, s1
	s_and_saveexec_b32 s6, s2
	s_cbranch_execz .LBB83_24
; %bb.21:
	v_lshlrev_b64 v[10:11], 3, v[2:3]
	v_mul_f32_e32 v4, s15, v19
	v_mul_f32_e32 v5, s14, v19
	v_cmp_ne_u32_e32 vcc_lo, 1, v8
	v_fma_f32 v4, v18, s14, -v4
	v_add_co_u32 v6, s2, v6, v10
	v_fmac_f32_e32 v5, s15, v18
	v_add_co_ci_u32_e64 v7, null, v7, v11, s2
	s_cbranch_vccnz .LBB83_23
; %bb.22:
	global_load_dwordx2 v[10:11], v[6:7], off
	s_waitcnt vmcnt(0)
	v_mul_f32_e32 v12, s11, v11
	v_mul_f32_e32 v11, s10, v11
	v_fma_f32 v12, v10, s10, -v12
	v_fmac_f32_e32 v11, s11, v10
	v_add_f32_e32 v4, v4, v12
	v_add_f32_e32 v5, v5, v11
.LBB83_23:
	global_store_dwordx2 v[6:7], v[4:5], off
.LBB83_24:
	s_or_b32 exec_lo, exec_lo, s6
	v_add_nc_u32_e32 v9, 16, v9
	v_mad_i64_i32 v[4:5], null, v9, s3, 0
	v_cmp_le_i32_e32 vcc_lo, v9, v0
	s_and_b32 s0, vcc_lo, s0
	v_lshlrev_b64 v[4:5], 3, v[4:5]
	v_add_co_u32 v6, s2, s4, v4
	v_add_co_ci_u32_e64 v7, null, s5, v5, s2
	s_and_saveexec_b32 s2, s0
	s_cbranch_execz .LBB83_28
; %bb.25:
	v_lshlrev_b64 v[0:1], 3, v[0:1]
	v_mul_f32_e32 v4, s15, v17
	v_mul_f32_e32 v5, s14, v17
	v_cmp_ne_u32_e32 vcc_lo, 1, v8
	v_fma_f32 v4, v16, s14, -v4
	v_add_co_u32 v0, s0, v6, v0
	v_fmac_f32_e32 v5, s15, v16
	v_add_co_ci_u32_e64 v1, null, v7, v1, s0
	s_cbranch_vccnz .LBB83_27
; %bb.26:
	global_load_dwordx2 v[10:11], v[0:1], off
	s_waitcnt vmcnt(0)
	v_mul_f32_e32 v12, s11, v11
	v_mul_f32_e32 v11, s10, v11
	v_fma_f32 v12, v10, s10, -v12
	v_fmac_f32_e32 v11, s11, v10
	v_add_f32_e32 v4, v4, v12
	v_add_f32_e32 v5, v5, v11
.LBB83_27:
	global_store_dwordx2 v[0:1], v[4:5], off
.LBB83_28:
	s_or_b32 exec_lo, exec_lo, s2
	v_cmp_le_i32_e32 vcc_lo, v9, v2
	s_and_b32 s0, vcc_lo, s1
	s_and_saveexec_b32 s1, s0
	s_cbranch_execz .LBB83_32
; %bb.29:
	v_lshlrev_b64 v[2:3], 3, v[2:3]
	v_mul_f32_e32 v0, s15, v15
	v_mul_f32_e32 v1, s14, v15
	v_cmp_ne_u32_e32 vcc_lo, 1, v8
	v_fma_f32 v0, v14, s14, -v0
	v_add_co_u32 v2, s0, v6, v2
	v_fmac_f32_e32 v1, s15, v14
	v_add_co_ci_u32_e64 v3, null, v7, v3, s0
	s_cbranch_vccnz .LBB83_31
; %bb.30:
	global_load_dwordx2 v[4:5], v[2:3], off
	s_waitcnt vmcnt(0)
	v_mul_f32_e32 v6, s11, v5
	v_mul_f32_e32 v5, s10, v5
	v_fma_f32 v6, v4, s10, -v6
	v_fmac_f32_e32 v5, s11, v4
	v_add_f32_e32 v0, v0, v6
	v_add_f32_e32 v1, v1, v5
.LBB83_31:
	global_store_dwordx2 v[2:3], v[0:1], off
.LBB83_32:
	s_endpgm
	.section	.rodata,"a",@progbits
	.p2align	6, 0x0
	.amdhsa_kernel _ZL29rocblas_internal_gemmt_kernelIiLi16ELi32ELi8ELc78ELc67ELc76ELb0ELb1E19rocblas_complex_numIfEPKS1_S3_PS1_EviT_T9_T10_S5_lS7_S5_lS6_T11_S5_li
		.amdhsa_group_segment_fixed_size 4096
		.amdhsa_private_segment_fixed_size 0
		.amdhsa_kernarg_size 100
		.amdhsa_user_sgpr_count 6
		.amdhsa_user_sgpr_private_segment_buffer 1
		.amdhsa_user_sgpr_dispatch_ptr 0
		.amdhsa_user_sgpr_queue_ptr 0
		.amdhsa_user_sgpr_kernarg_segment_ptr 1
		.amdhsa_user_sgpr_dispatch_id 0
		.amdhsa_user_sgpr_flat_scratch_init 0
		.amdhsa_user_sgpr_private_segment_size 0
		.amdhsa_wavefront_size32 1
		.amdhsa_uses_dynamic_stack 0
		.amdhsa_system_sgpr_private_segment_wavefront_offset 0
		.amdhsa_system_sgpr_workgroup_id_x 1
		.amdhsa_system_sgpr_workgroup_id_y 1
		.amdhsa_system_sgpr_workgroup_id_z 1
		.amdhsa_system_sgpr_workgroup_info 0
		.amdhsa_system_vgpr_workitem_id 1
		.amdhsa_next_free_vgpr 59
		.amdhsa_next_free_sgpr 29
		.amdhsa_reserve_vcc 1
		.amdhsa_reserve_flat_scratch 0
		.amdhsa_float_round_mode_32 0
		.amdhsa_float_round_mode_16_64 0
		.amdhsa_float_denorm_mode_32 3
		.amdhsa_float_denorm_mode_16_64 3
		.amdhsa_dx10_clamp 1
		.amdhsa_ieee_mode 1
		.amdhsa_fp16_overflow 0
		.amdhsa_workgroup_processor_mode 1
		.amdhsa_memory_ordered 1
		.amdhsa_forward_progress 1
		.amdhsa_shared_vgpr_count 0
		.amdhsa_exception_fp_ieee_invalid_op 0
		.amdhsa_exception_fp_denorm_src 0
		.amdhsa_exception_fp_ieee_div_zero 0
		.amdhsa_exception_fp_ieee_overflow 0
		.amdhsa_exception_fp_ieee_underflow 0
		.amdhsa_exception_fp_ieee_inexact 0
		.amdhsa_exception_int_div_zero 0
	.end_amdhsa_kernel
	.section	.text._ZL29rocblas_internal_gemmt_kernelIiLi16ELi32ELi8ELc78ELc67ELc76ELb0ELb1E19rocblas_complex_numIfEPKS1_S3_PS1_EviT_T9_T10_S5_lS7_S5_lS6_T11_S5_li,"axG",@progbits,_ZL29rocblas_internal_gemmt_kernelIiLi16ELi32ELi8ELc78ELc67ELc76ELb0ELb1E19rocblas_complex_numIfEPKS1_S3_PS1_EviT_T9_T10_S5_lS7_S5_lS6_T11_S5_li,comdat
.Lfunc_end83:
	.size	_ZL29rocblas_internal_gemmt_kernelIiLi16ELi32ELi8ELc78ELc67ELc76ELb0ELb1E19rocblas_complex_numIfEPKS1_S3_PS1_EviT_T9_T10_S5_lS7_S5_lS6_T11_S5_li, .Lfunc_end83-_ZL29rocblas_internal_gemmt_kernelIiLi16ELi32ELi8ELc78ELc67ELc76ELb0ELb1E19rocblas_complex_numIfEPKS1_S3_PS1_EviT_T9_T10_S5_lS7_S5_lS6_T11_S5_li
                                        ; -- End function
	.set _ZL29rocblas_internal_gemmt_kernelIiLi16ELi32ELi8ELc78ELc67ELc76ELb0ELb1E19rocblas_complex_numIfEPKS1_S3_PS1_EviT_T9_T10_S5_lS7_S5_lS6_T11_S5_li.num_vgpr, 59
	.set _ZL29rocblas_internal_gemmt_kernelIiLi16ELi32ELi8ELc78ELc67ELc76ELb0ELb1E19rocblas_complex_numIfEPKS1_S3_PS1_EviT_T9_T10_S5_lS7_S5_lS6_T11_S5_li.num_agpr, 0
	.set _ZL29rocblas_internal_gemmt_kernelIiLi16ELi32ELi8ELc78ELc67ELc76ELb0ELb1E19rocblas_complex_numIfEPKS1_S3_PS1_EviT_T9_T10_S5_lS7_S5_lS6_T11_S5_li.numbered_sgpr, 29
	.set _ZL29rocblas_internal_gemmt_kernelIiLi16ELi32ELi8ELc78ELc67ELc76ELb0ELb1E19rocblas_complex_numIfEPKS1_S3_PS1_EviT_T9_T10_S5_lS7_S5_lS6_T11_S5_li.num_named_barrier, 0
	.set _ZL29rocblas_internal_gemmt_kernelIiLi16ELi32ELi8ELc78ELc67ELc76ELb0ELb1E19rocblas_complex_numIfEPKS1_S3_PS1_EviT_T9_T10_S5_lS7_S5_lS6_T11_S5_li.private_seg_size, 0
	.set _ZL29rocblas_internal_gemmt_kernelIiLi16ELi32ELi8ELc78ELc67ELc76ELb0ELb1E19rocblas_complex_numIfEPKS1_S3_PS1_EviT_T9_T10_S5_lS7_S5_lS6_T11_S5_li.uses_vcc, 1
	.set _ZL29rocblas_internal_gemmt_kernelIiLi16ELi32ELi8ELc78ELc67ELc76ELb0ELb1E19rocblas_complex_numIfEPKS1_S3_PS1_EviT_T9_T10_S5_lS7_S5_lS6_T11_S5_li.uses_flat_scratch, 0
	.set _ZL29rocblas_internal_gemmt_kernelIiLi16ELi32ELi8ELc78ELc67ELc76ELb0ELb1E19rocblas_complex_numIfEPKS1_S3_PS1_EviT_T9_T10_S5_lS7_S5_lS6_T11_S5_li.has_dyn_sized_stack, 0
	.set _ZL29rocblas_internal_gemmt_kernelIiLi16ELi32ELi8ELc78ELc67ELc76ELb0ELb1E19rocblas_complex_numIfEPKS1_S3_PS1_EviT_T9_T10_S5_lS7_S5_lS6_T11_S5_li.has_recursion, 0
	.set _ZL29rocblas_internal_gemmt_kernelIiLi16ELi32ELi8ELc78ELc67ELc76ELb0ELb1E19rocblas_complex_numIfEPKS1_S3_PS1_EviT_T9_T10_S5_lS7_S5_lS6_T11_S5_li.has_indirect_call, 0
	.section	.AMDGPU.csdata,"",@progbits
; Kernel info:
; codeLenInByte = 2576
; TotalNumSgprs: 31
; NumVgprs: 59
; ScratchSize: 0
; MemoryBound: 1
; FloatMode: 240
; IeeeMode: 1
; LDSByteSize: 4096 bytes/workgroup (compile time only)
; SGPRBlocks: 0
; VGPRBlocks: 7
; NumSGPRsForWavesPerEU: 31
; NumVGPRsForWavesPerEU: 59
; Occupancy: 16
; WaveLimiterHint : 0
; COMPUTE_PGM_RSRC2:SCRATCH_EN: 0
; COMPUTE_PGM_RSRC2:USER_SGPR: 6
; COMPUTE_PGM_RSRC2:TRAP_HANDLER: 0
; COMPUTE_PGM_RSRC2:TGID_X_EN: 1
; COMPUTE_PGM_RSRC2:TGID_Y_EN: 1
; COMPUTE_PGM_RSRC2:TGID_Z_EN: 1
; COMPUTE_PGM_RSRC2:TIDIG_COMP_CNT: 1
	.section	.text._ZL29rocblas_internal_gemmt_kernelIiLi16ELi32ELi8ELc84ELc78ELc76ELb0ELb0E19rocblas_complex_numIfEPKS1_S3_PS1_EviT_T9_T10_S5_lS7_S5_lS6_T11_S5_li,"axG",@progbits,_ZL29rocblas_internal_gemmt_kernelIiLi16ELi32ELi8ELc84ELc78ELc76ELb0ELb0E19rocblas_complex_numIfEPKS1_S3_PS1_EviT_T9_T10_S5_lS7_S5_lS6_T11_S5_li,comdat
	.globl	_ZL29rocblas_internal_gemmt_kernelIiLi16ELi32ELi8ELc84ELc78ELc76ELb0ELb0E19rocblas_complex_numIfEPKS1_S3_PS1_EviT_T9_T10_S5_lS7_S5_lS6_T11_S5_li ; -- Begin function _ZL29rocblas_internal_gemmt_kernelIiLi16ELi32ELi8ELc84ELc78ELc76ELb0ELb0E19rocblas_complex_numIfEPKS1_S3_PS1_EviT_T9_T10_S5_lS7_S5_lS6_T11_S5_li
	.p2align	8
	.type	_ZL29rocblas_internal_gemmt_kernelIiLi16ELi32ELi8ELc84ELc78ELc76ELb0ELb0E19rocblas_complex_numIfEPKS1_S3_PS1_EviT_T9_T10_S5_lS7_S5_lS6_T11_S5_li,@function
_ZL29rocblas_internal_gemmt_kernelIiLi16ELi32ELi8ELc84ELc78ELc76ELb0ELb0E19rocblas_complex_numIfEPKS1_S3_PS1_EviT_T9_T10_S5_lS7_S5_lS6_T11_S5_li: ; @_ZL29rocblas_internal_gemmt_kernelIiLi16ELi32ELi8ELc84ELc78ELc76ELb0ELb0E19rocblas_complex_numIfEPKS1_S3_PS1_EviT_T9_T10_S5_lS7_S5_lS6_T11_S5_li
; %bb.0:
	s_clause 0x1
	s_load_dwordx4 s[12:15], s[4:5], 0x38
	s_load_dwordx4 s[0:3], s[4:5], 0x8
	s_waitcnt lgkmcnt(0)
	s_load_dwordx2 s[10:11], s[14:15], 0x0
	s_load_dwordx2 s[20:21], s[4:5], 0x0
	;; [unrolled: 1-line block ×3, first 2 shown]
	s_waitcnt lgkmcnt(0)
	s_and_b32 s0, s11, 0x7fffffff
	v_cmp_eq_f32_e64 s1, s10, 1.0
	s_cmp_eq_u32 s0, 0
	s_mov_b32 s0, 0
	s_cselect_b32 s9, -1, 0
	s_and_b32 s1, s1, s9
	s_andn2_b32 vcc_lo, exec_lo, s1
	s_mov_b32 s1, -1
	s_cbranch_vccnz .LBB84_4
; %bb.1:
	s_cmp_lg_u32 s21, 0
	s_cbranch_scc0 .LBB84_3
; %bb.2:
	v_cmp_neq_f32_e64 s0, s14, 0
	v_cmp_neq_f32_e64 s1, s15, 0
	s_or_b32 s0, s0, s1
.LBB84_3:
	s_mov_b32 s1, s0
.LBB84_4:
	s_and_b32 vcc_lo, exec_lo, s1
	s_cbranch_vccz .LBB84_32
; %bb.5:
	s_load_dwordx2 s[22:23], s[4:5], 0x48
	v_cmp_eq_f32_e64 s0, s14, 0
	v_cmp_eq_f32_e64 s1, s15, 0
	s_lshl_b32 s6, s6, 5
	s_lshl_b32 s7, s7, 5
	v_mov_b32_e32 v20, 0
	v_mov_b32_e32 v21, 0
	s_and_b32 s0, s0, s1
	s_cmp_lt_i32 s21, 1
	v_mov_b32_e32 v18, 0
	s_cselect_b32 s1, -1, 0
	v_mov_b32_e32 v19, 0
	v_mov_b32_e32 v16, 0
	;; [unrolled: 1-line block ×5, first 2 shown]
	s_or_b32 s0, s0, s1
	s_mov_b32 s24, 0
	s_and_b32 vcc_lo, exec_lo, s0
	s_cbranch_vccnz .LBB84_16
; %bb.6:
	s_load_dword s0, s[4:5], 0x18
	v_lshl_add_u32 v2, v1, 4, v0
	s_clause 0x1
	s_load_dwordx4 s[16:19], s[4:5], 0x20
	s_load_dword s1, s[4:5], 0x30
	v_and_b32_e32 v8, 7, v0
	v_lshlrev_b32_e32 v9, 3, v0
	v_lshl_add_u32 v10, v1, 6, 0x800
	v_and_b32_e32 v4, 31, v2
	v_lshrrev_b32_e32 v3, 3, v2
	v_lshrrev_b32_e32 v11, 5, v2
	v_lshlrev_b32_e32 v6, 3, v8
	v_mov_b32_e32 v17, 0
	v_add_nc_u32_e32 v2, s6, v4
	v_add_nc_u32_e32 v5, s7, v3
	v_or_b32_e32 v7, s6, v4
	v_lshl_or_b32 v13, v3, 6, v6
	v_lshlrev_b32_e32 v4, 3, v4
	v_lshlrev_b32_e32 v14, 3, v11
	v_mov_b32_e32 v16, 0
	v_cmp_gt_i32_e32 vcc_lo, s20, v7
	v_add_nc_u32_e32 v13, 0x800, v13
	s_waitcnt lgkmcnt(0)
	v_mad_i64_i32 v[2:3], null, s0, v2, 0
	v_lshl_or_b32 v12, v11, 8, v4
	v_cmp_gt_i32_e64 s0, s20, v5
	s_mul_i32 s17, s17, s8
	s_mul_hi_u32 s25, s16, s8
	v_mad_i64_i32 v[4:5], null, s1, v5, 0
	v_lshlrev_b64 v[2:3], 3, v[2:3]
	s_mul_i32 s16, s16, s8
	s_add_i32 s17, s25, s17
	v_mov_b32_e32 v19, 0
	s_lshl_b64 s[16:17], s[16:17], 3
	v_mov_b32_e32 v18, 0
	v_add_co_u32 v7, s1, v2, s16
	v_add_co_ci_u32_e64 v15, null, s17, v3, s1
	s_mul_i32 s1, s13, s8
	s_mul_hi_u32 s13, s12, s8
	v_lshlrev_b64 v[3:4], 3, v[4:5]
	s_add_i32 s13, s13, s1
	s_mul_i32 s12, s12, s8
	v_mov_b32_e32 v2, 0
	s_lshl_b64 s[12:13], s[12:13], 3
	v_mov_b32_e32 v21, 0
	v_add_co_u32 v3, s1, v3, s12
	v_add_co_ci_u32_e64 v4, null, s13, v4, s1
	v_add_co_u32 v5, s1, v7, v14
	v_add_co_ci_u32_e64 v7, null, 0, v15, s1
	;; [unrolled: 2-line block ×5, first 2 shown]
	v_mov_b32_e32 v15, 0
	v_mov_b32_e32 v14, 0
	;; [unrolled: 1-line block ×3, first 2 shown]
	s_xor_b32 s1, vcc_lo, -1
	s_xor_b32 s0, s0, -1
	s_branch .LBB84_8
.LBB84_7:                               ;   in Loop: Header=BB84_8 Depth=1
	s_or_b32 exec_lo, exec_lo, s2
	s_waitcnt lgkmcnt(0)
	s_barrier
	buffer_gl0_inv
	ds_read_b128 v[22:25], v10
	ds_read2_b64 v[26:29], v9 offset1:16
	ds_read_b128 v[30:33], v10 offset:1024
	ds_read_b128 v[34:37], v10 offset:16
	;; [unrolled: 1-line block ×4, first 2 shown]
	ds_read2_b64 v[46:49], v9 offset0:32 offset1:48
	ds_read_b128 v[50:53], v10 offset:1040
	v_add_co_u32 v4, vcc_lo, v4, 64
	v_add_co_ci_u32_e64 v5, null, 0, v5, vcc_lo
	v_add_co_u32 v6, vcc_lo, v6, 64
	v_add_co_ci_u32_e64 v7, null, 0, v7, vcc_lo
	s_add_i32 s24, s24, 8
	s_cmp_lt_i32 s24, s21
	s_waitcnt lgkmcnt(6)
	v_mul_f32_e32 v3, v23, v27
	v_mul_f32_e32 v54, v22, v27
	;; [unrolled: 1-line block ×4, first 2 shown]
	s_waitcnt lgkmcnt(5)
	v_mul_f32_e32 v57, v31, v27
	v_mul_f32_e32 v27, v30, v27
	;; [unrolled: 1-line block ×3, first 2 shown]
	v_fma_f32 v3, v22, v26, -v3
	v_fmac_f32_e32 v54, v23, v26
	v_fma_f32 v22, v22, v28, -v55
	v_fmac_f32_e32 v56, v23, v28
	v_fma_f32 v23, v30, v26, -v57
	v_fmac_f32_e32 v27, v31, v26
	v_mul_f32_e32 v29, v30, v29
	v_fma_f32 v26, v30, v28, -v58
	v_add_f32_e32 v3, v20, v3
	v_add_f32_e32 v20, v21, v54
	;; [unrolled: 1-line block ×6, first 2 shown]
	s_waitcnt lgkmcnt(1)
	v_mul_f32_e32 v30, v25, v47
	ds_read2_b64 v[16:19], v9 offset0:64 offset1:80
	v_fmac_f32_e32 v29, v31, v28
	v_add_f32_e32 v14, v14, v26
	v_mul_f32_e32 v26, v24, v47
	v_fma_f32 v28, v24, v46, -v30
	v_mul_f32_e32 v30, v25, v49
	v_add_f32_e32 v15, v15, v29
	v_mul_f32_e32 v29, v24, v49
	v_fmac_f32_e32 v26, v25, v46
	v_add_f32_e32 v3, v3, v28
	v_fma_f32 v24, v24, v48, -v30
	v_mul_f32_e32 v28, v33, v47
	v_fmac_f32_e32 v29, v25, v48
	v_add_f32_e32 v26, v20, v26
	v_mul_f32_e32 v20, v32, v47
	v_add_f32_e32 v24, v21, v24
	v_fma_f32 v21, v32, v46, -v28
	v_mul_f32_e32 v25, v33, v49
	v_add_f32_e32 v28, v22, v29
	v_fmac_f32_e32 v20, v33, v46
	v_mul_f32_e32 v29, v32, v49
	v_add_f32_e32 v30, v23, v21
	v_fma_f32 v21, v32, v48, -v25
	s_waitcnt lgkmcnt(0)
	v_mul_f32_e32 v22, v35, v17
	v_add_f32_e32 v25, v27, v20
	v_fmac_f32_e32 v29, v33, v48
	v_mul_f32_e32 v27, v34, v17
	v_add_f32_e32 v14, v14, v21
	v_fma_f32 v31, v34, v16, -v22
	v_mul_f32_e32 v32, v35, v19
	ds_read2_b64 v[20:23], v9 offset0:96 offset1:112
	v_fmac_f32_e32 v27, v35, v16
	v_add_f32_e32 v29, v15, v29
	v_add_f32_e32 v3, v3, v31
	v_mul_f32_e32 v15, v34, v19
	v_fma_f32 v31, v34, v18, -v32
	v_add_f32_e32 v26, v26, v27
	v_mul_f32_e32 v27, v51, v17
	v_mul_f32_e32 v17, v50, v17
	v_fmac_f32_e32 v15, v35, v18
	v_add_f32_e32 v24, v24, v31
	v_mul_f32_e32 v31, v51, v19
	v_mul_f32_e32 v19, v50, v19
	v_fmac_f32_e32 v17, v51, v16
	v_add_f32_e32 v28, v28, v15
	v_fma_f32 v27, v50, v16, -v27
	v_fma_f32 v15, v50, v18, -v31
	v_fmac_f32_e32 v19, v51, v18
	v_add_f32_e32 v31, v25, v17
	s_waitcnt lgkmcnt(0)
	v_mul_f32_e32 v18, v37, v21
	v_add_f32_e32 v32, v14, v15
	ds_read2_b64 v[14:17], v9 offset0:128 offset1:144
	v_add_f32_e32 v30, v30, v27
	v_mul_f32_e32 v25, v36, v21
	v_fma_f32 v18, v36, v20, -v18
	v_mul_f32_e32 v27, v37, v23
	v_add_f32_e32 v29, v29, v19
	v_mul_f32_e32 v19, v36, v23
	v_fmac_f32_e32 v25, v37, v20
	v_add_f32_e32 v3, v3, v18
	v_mul_f32_e32 v18, v53, v21
	v_fma_f32 v27, v36, v22, -v27
	v_fmac_f32_e32 v19, v37, v22
	v_mul_f32_e32 v21, v52, v21
	v_mul_f32_e32 v35, v53, v23
	v_fma_f32 v18, v52, v20, -v18
	v_add_f32_e32 v33, v26, v25
	v_add_f32_e32 v34, v24, v27
	ds_read_b128 v[24:27], v10 offset:1056
	v_add_f32_e32 v36, v28, v19
	v_fmac_f32_e32 v21, v53, v20
	v_mul_f32_e32 v23, v52, v23
	v_fma_f32 v19, v52, v22, -v35
	v_add_f32_e32 v35, v30, v18
	s_waitcnt lgkmcnt(1)
	v_mul_f32_e32 v18, v39, v15
	v_add_f32_e32 v37, v31, v21
	v_fmac_f32_e32 v23, v53, v22
	v_add_f32_e32 v22, v32, v19
	v_mul_f32_e32 v32, v38, v15
	v_fma_f32 v28, v38, v14, -v18
	ds_read2_b64 v[18:21], v9 offset0:160 offset1:176
	v_mul_f32_e32 v30, v39, v17
	v_mul_f32_e32 v46, v38, v17
	v_fmac_f32_e32 v32, v39, v14
	v_add_f32_e32 v23, v29, v23
	v_add_f32_e32 v3, v3, v28
	v_fma_f32 v38, v38, v16, -v30
	ds_read_b128 v[28:31], v10 offset:1072
	s_waitcnt lgkmcnt(2)
	v_mul_f32_e32 v47, v25, v15
	v_add_f32_e32 v32, v33, v32
	v_mul_f32_e32 v15, v24, v15
	v_add_f32_e32 v33, v34, v38
	v_mul_f32_e32 v38, v25, v17
	v_fmac_f32_e32 v46, v39, v16
	v_fma_f32 v34, v24, v14, -v47
	v_fmac_f32_e32 v15, v25, v14
	v_mul_f32_e32 v39, v24, v17
	v_fma_f32 v14, v24, v16, -v38
	v_add_f32_e32 v36, v36, v46
	v_add_f32_e32 v34, v35, v34
	s_waitcnt lgkmcnt(1)
	v_mul_f32_e32 v17, v41, v19
	v_add_f32_e32 v24, v37, v15
	v_fmac_f32_e32 v39, v25, v16
	v_mul_f32_e32 v25, v40, v19
	v_add_f32_e32 v22, v22, v14
	v_fma_f32 v35, v40, v18, -v17
	ds_read2_b64 v[14:17], v9 offset0:192 offset1:208
	v_mul_f32_e32 v37, v41, v21
	v_fmac_f32_e32 v25, v41, v18
	v_add_f32_e32 v38, v23, v39
	v_add_f32_e32 v3, v3, v35
	v_mul_f32_e32 v23, v40, v21
	v_fma_f32 v35, v40, v20, -v37
	v_add_f32_e32 v32, v32, v25
	v_mul_f32_e32 v25, v27, v19
	v_mul_f32_e32 v19, v26, v19
	v_fmac_f32_e32 v23, v41, v20
	v_add_f32_e32 v33, v33, v35
	v_mul_f32_e32 v35, v27, v21
	v_fma_f32 v25, v26, v18, -v25
	v_fmac_f32_e32 v19, v27, v18
	v_add_f32_e32 v18, v36, v23
	v_mul_f32_e32 v21, v26, v21
	v_fma_f32 v23, v26, v20, -v35
	v_add_f32_e32 v26, v34, v25
	v_add_f32_e32 v19, v24, v19
	s_waitcnt lgkmcnt(0)
	v_mul_f32_e32 v34, v43, v15
	v_fmac_f32_e32 v21, v27, v20
	v_add_f32_e32 v20, v22, v23
	ds_read2_b64 v[22:25], v9 offset0:224 offset1:240
	v_mul_f32_e32 v27, v42, v15
	v_fma_f32 v34, v42, v14, -v34
	v_mul_f32_e32 v35, v43, v17
	v_mul_f32_e32 v36, v42, v17
	v_add_f32_e32 v21, v38, v21
	v_fmac_f32_e32 v27, v43, v14
	v_add_f32_e32 v3, v3, v34
	v_mul_f32_e32 v34, v29, v15
	v_fma_f32 v35, v42, v16, -v35
	v_fmac_f32_e32 v36, v43, v16
	v_add_f32_e32 v27, v32, v27
	v_mul_f32_e32 v15, v28, v15
	v_fma_f32 v32, v28, v14, -v34
	v_mul_f32_e32 v34, v29, v17
	v_add_f32_e32 v33, v33, v35
	v_add_f32_e32 v35, v18, v36
	v_fmac_f32_e32 v15, v29, v14
	v_add_f32_e32 v14, v26, v32
	v_mul_f32_e32 v17, v28, v17
	v_fma_f32 v18, v28, v16, -v34
	s_waitcnt lgkmcnt(0)
	v_mul_f32_e32 v26, v45, v23
	v_mul_f32_e32 v28, v44, v23
	v_add_f32_e32 v15, v19, v15
	v_fmac_f32_e32 v17, v29, v16
	v_add_f32_e32 v29, v20, v18
	v_fma_f32 v16, v44, v22, -v26
	v_mul_f32_e32 v18, v45, v25
	v_mul_f32_e32 v19, v44, v25
	v_add_f32_e32 v26, v21, v17
	v_mul_f32_e32 v17, v30, v23
	v_add_f32_e32 v20, v3, v16
	v_fma_f32 v3, v44, v24, -v18
	v_mul_f32_e32 v16, v31, v23
	v_mul_f32_e32 v23, v31, v25
	;; [unrolled: 1-line block ×3, first 2 shown]
	v_fmac_f32_e32 v28, v45, v22
	v_fmac_f32_e32 v19, v45, v24
	v_add_f32_e32 v18, v33, v3
	v_fma_f32 v3, v30, v22, -v16
	v_fmac_f32_e32 v17, v31, v22
	v_fma_f32 v22, v30, v24, -v23
	v_fmac_f32_e32 v25, v31, v24
	v_add_f32_e32 v21, v27, v28
	v_add_f32_e32 v19, v35, v19
	;; [unrolled: 1-line block ×6, first 2 shown]
	s_barrier
	buffer_gl0_inv
	s_cbranch_scc0 .LBB84_16
.LBB84_8:                               ; =>This Inner Loop Header: Depth=1
	v_add_nc_u32_e32 v3, s24, v11
	v_cmp_le_i32_e32 vcc_lo, s21, v3
	s_or_b32 s2, s1, vcc_lo
	s_and_saveexec_b32 s3, s2
	s_xor_b32 s2, exec_lo, s3
; %bb.9:                                ;   in Loop: Header=BB84_8 Depth=1
	v_mov_b32_e32 v3, v2
	ds_write_b64 v12, v[2:3]
; %bb.10:                               ;   in Loop: Header=BB84_8 Depth=1
	s_andn2_saveexec_b32 s2, s2
	s_cbranch_execz .LBB84_12
; %bb.11:                               ;   in Loop: Header=BB84_8 Depth=1
	global_load_dwordx2 v[22:23], v[4:5], off
	s_waitcnt vmcnt(0)
	ds_write_b64 v12, v[22:23]
.LBB84_12:                              ;   in Loop: Header=BB84_8 Depth=1
	s_or_b32 exec_lo, exec_lo, s2
	v_add_nc_u32_e32 v3, s24, v8
	v_cmp_le_i32_e32 vcc_lo, s21, v3
	s_or_b32 s2, vcc_lo, s0
	s_and_saveexec_b32 s3, s2
	s_xor_b32 s2, exec_lo, s3
; %bb.13:                               ;   in Loop: Header=BB84_8 Depth=1
	v_mov_b32_e32 v3, v2
	ds_write_b64 v13, v[2:3]
; %bb.14:                               ;   in Loop: Header=BB84_8 Depth=1
	s_andn2_saveexec_b32 s2, s2
	s_cbranch_execz .LBB84_7
; %bb.15:                               ;   in Loop: Header=BB84_8 Depth=1
	global_load_dwordx2 v[22:23], v[6:7], off
	s_waitcnt vmcnt(0)
	ds_write_b64 v13, v[22:23]
	s_branch .LBB84_7
.LBB84_16:
	s_clause 0x1
	s_load_dword s3, s[4:5], 0x50
	s_load_dwordx2 s[0:1], s[4:5], 0x58
	v_add_nc_u32_e32 v9, s7, v1
	v_add_nc_u32_e32 v0, s6, v0
	v_cmp_neq_f32_e64 s2, s10, 0
	v_cmp_le_i32_e32 vcc_lo, v9, v0
	s_waitcnt lgkmcnt(0)
	v_mad_i64_i32 v[1:2], null, v9, s3, 0
	s_mul_i32 s1, s1, s8
	s_mul_hi_u32 s5, s0, s8
	s_mul_i32 s4, s0, s8
	s_add_i32 s5, s5, s1
	v_cmp_gt_i32_e64 s0, s20, v0
	s_lshl_b64 s[4:5], s[4:5], 3
	v_lshlrev_b64 v[2:3], 3, v[1:2]
	s_add_u32 s4, s22, s4
	s_addc_u32 s5, s23, s5
	s_xor_b32 s6, s9, -1
	v_ashrrev_i32_e32 v1, 31, v0
	s_or_b32 s2, s2, s6
	v_add_co_u32 v6, s1, s4, v2
	v_add_co_ci_u32_e64 v7, null, s5, v3, s1
	v_cndmask_b32_e64 v8, 0, 1, s2
	s_and_b32 s6, vcc_lo, s0
	s_and_saveexec_b32 s1, s6
	s_cbranch_execz .LBB84_20
; %bb.17:
	v_lshlrev_b64 v[4:5], 3, v[0:1]
	v_mul_f32_e32 v2, s15, v21
	v_mul_f32_e32 v3, s14, v21
	v_fma_f32 v2, v20, s14, -v2
	v_add_co_u32 v4, vcc_lo, v6, v4
	v_fmac_f32_e32 v3, s15, v20
	v_add_co_ci_u32_e64 v5, null, v7, v5, vcc_lo
	s_andn2_b32 vcc_lo, exec_lo, s2
	s_cbranch_vccnz .LBB84_19
; %bb.18:
	global_load_dwordx2 v[10:11], v[4:5], off
	s_waitcnt vmcnt(0)
	v_mul_f32_e32 v12, s11, v11
	v_mul_f32_e32 v11, s10, v11
	v_fma_f32 v12, v10, s10, -v12
	v_fmac_f32_e32 v11, s11, v10
	v_add_f32_e32 v2, v2, v12
	v_add_f32_e32 v3, v3, v11
.LBB84_19:
	global_store_dwordx2 v[4:5], v[2:3], off
.LBB84_20:
	s_or_b32 exec_lo, exec_lo, s1
	v_add_nc_u32_e32 v2, 16, v0
	v_cmp_le_i32_e32 vcc_lo, v9, v2
	v_cmp_gt_i32_e64 s1, s20, v2
	v_ashrrev_i32_e32 v3, 31, v2
	s_and_b32 s2, vcc_lo, s1
	s_and_saveexec_b32 s6, s2
	s_cbranch_execz .LBB84_24
; %bb.21:
	v_lshlrev_b64 v[10:11], 3, v[2:3]
	v_mul_f32_e32 v4, s15, v19
	v_mul_f32_e32 v5, s14, v19
	v_cmp_ne_u32_e32 vcc_lo, 1, v8
	v_fma_f32 v4, v18, s14, -v4
	v_add_co_u32 v6, s2, v6, v10
	v_fmac_f32_e32 v5, s15, v18
	v_add_co_ci_u32_e64 v7, null, v7, v11, s2
	s_cbranch_vccnz .LBB84_23
; %bb.22:
	global_load_dwordx2 v[10:11], v[6:7], off
	s_waitcnt vmcnt(0)
	v_mul_f32_e32 v12, s11, v11
	v_mul_f32_e32 v11, s10, v11
	v_fma_f32 v12, v10, s10, -v12
	v_fmac_f32_e32 v11, s11, v10
	v_add_f32_e32 v4, v4, v12
	v_add_f32_e32 v5, v5, v11
.LBB84_23:
	global_store_dwordx2 v[6:7], v[4:5], off
.LBB84_24:
	s_or_b32 exec_lo, exec_lo, s6
	v_add_nc_u32_e32 v9, 16, v9
	v_mad_i64_i32 v[4:5], null, v9, s3, 0
	v_cmp_le_i32_e32 vcc_lo, v9, v0
	s_and_b32 s0, vcc_lo, s0
	v_lshlrev_b64 v[4:5], 3, v[4:5]
	v_add_co_u32 v6, s2, s4, v4
	v_add_co_ci_u32_e64 v7, null, s5, v5, s2
	s_and_saveexec_b32 s2, s0
	s_cbranch_execz .LBB84_28
; %bb.25:
	v_lshlrev_b64 v[0:1], 3, v[0:1]
	v_mul_f32_e32 v4, s15, v17
	v_mul_f32_e32 v5, s14, v17
	v_cmp_ne_u32_e32 vcc_lo, 1, v8
	v_fma_f32 v4, v16, s14, -v4
	v_add_co_u32 v0, s0, v6, v0
	v_fmac_f32_e32 v5, s15, v16
	v_add_co_ci_u32_e64 v1, null, v7, v1, s0
	s_cbranch_vccnz .LBB84_27
; %bb.26:
	global_load_dwordx2 v[10:11], v[0:1], off
	s_waitcnt vmcnt(0)
	v_mul_f32_e32 v12, s11, v11
	v_mul_f32_e32 v11, s10, v11
	v_fma_f32 v12, v10, s10, -v12
	v_fmac_f32_e32 v11, s11, v10
	v_add_f32_e32 v4, v4, v12
	v_add_f32_e32 v5, v5, v11
.LBB84_27:
	global_store_dwordx2 v[0:1], v[4:5], off
.LBB84_28:
	s_or_b32 exec_lo, exec_lo, s2
	v_cmp_le_i32_e32 vcc_lo, v9, v2
	s_and_b32 s0, vcc_lo, s1
	s_and_saveexec_b32 s1, s0
	s_cbranch_execz .LBB84_32
; %bb.29:
	v_lshlrev_b64 v[2:3], 3, v[2:3]
	v_mul_f32_e32 v0, s15, v15
	v_mul_f32_e32 v1, s14, v15
	v_cmp_ne_u32_e32 vcc_lo, 1, v8
	v_fma_f32 v0, v14, s14, -v0
	v_add_co_u32 v2, s0, v6, v2
	v_fmac_f32_e32 v1, s15, v14
	v_add_co_ci_u32_e64 v3, null, v7, v3, s0
	s_cbranch_vccnz .LBB84_31
; %bb.30:
	global_load_dwordx2 v[4:5], v[2:3], off
	s_waitcnt vmcnt(0)
	v_mul_f32_e32 v6, s11, v5
	v_mul_f32_e32 v5, s10, v5
	v_fma_f32 v6, v4, s10, -v6
	v_fmac_f32_e32 v5, s11, v4
	v_add_f32_e32 v0, v0, v6
	v_add_f32_e32 v1, v1, v5
.LBB84_31:
	global_store_dwordx2 v[2:3], v[0:1], off
.LBB84_32:
	s_endpgm
	.section	.rodata,"a",@progbits
	.p2align	6, 0x0
	.amdhsa_kernel _ZL29rocblas_internal_gemmt_kernelIiLi16ELi32ELi8ELc84ELc78ELc76ELb0ELb0E19rocblas_complex_numIfEPKS1_S3_PS1_EviT_T9_T10_S5_lS7_S5_lS6_T11_S5_li
		.amdhsa_group_segment_fixed_size 4096
		.amdhsa_private_segment_fixed_size 0
		.amdhsa_kernarg_size 100
		.amdhsa_user_sgpr_count 6
		.amdhsa_user_sgpr_private_segment_buffer 1
		.amdhsa_user_sgpr_dispatch_ptr 0
		.amdhsa_user_sgpr_queue_ptr 0
		.amdhsa_user_sgpr_kernarg_segment_ptr 1
		.amdhsa_user_sgpr_dispatch_id 0
		.amdhsa_user_sgpr_flat_scratch_init 0
		.amdhsa_user_sgpr_private_segment_size 0
		.amdhsa_wavefront_size32 1
		.amdhsa_uses_dynamic_stack 0
		.amdhsa_system_sgpr_private_segment_wavefront_offset 0
		.amdhsa_system_sgpr_workgroup_id_x 1
		.amdhsa_system_sgpr_workgroup_id_y 1
		.amdhsa_system_sgpr_workgroup_id_z 1
		.amdhsa_system_sgpr_workgroup_info 0
		.amdhsa_system_vgpr_workitem_id 1
		.amdhsa_next_free_vgpr 59
		.amdhsa_next_free_sgpr 26
		.amdhsa_reserve_vcc 1
		.amdhsa_reserve_flat_scratch 0
		.amdhsa_float_round_mode_32 0
		.amdhsa_float_round_mode_16_64 0
		.amdhsa_float_denorm_mode_32 3
		.amdhsa_float_denorm_mode_16_64 3
		.amdhsa_dx10_clamp 1
		.amdhsa_ieee_mode 1
		.amdhsa_fp16_overflow 0
		.amdhsa_workgroup_processor_mode 1
		.amdhsa_memory_ordered 1
		.amdhsa_forward_progress 1
		.amdhsa_shared_vgpr_count 0
		.amdhsa_exception_fp_ieee_invalid_op 0
		.amdhsa_exception_fp_denorm_src 0
		.amdhsa_exception_fp_ieee_div_zero 0
		.amdhsa_exception_fp_ieee_overflow 0
		.amdhsa_exception_fp_ieee_underflow 0
		.amdhsa_exception_fp_ieee_inexact 0
		.amdhsa_exception_int_div_zero 0
	.end_amdhsa_kernel
	.section	.text._ZL29rocblas_internal_gemmt_kernelIiLi16ELi32ELi8ELc84ELc78ELc76ELb0ELb0E19rocblas_complex_numIfEPKS1_S3_PS1_EviT_T9_T10_S5_lS7_S5_lS6_T11_S5_li,"axG",@progbits,_ZL29rocblas_internal_gemmt_kernelIiLi16ELi32ELi8ELc84ELc78ELc76ELb0ELb0E19rocblas_complex_numIfEPKS1_S3_PS1_EviT_T9_T10_S5_lS7_S5_lS6_T11_S5_li,comdat
.Lfunc_end84:
	.size	_ZL29rocblas_internal_gemmt_kernelIiLi16ELi32ELi8ELc84ELc78ELc76ELb0ELb0E19rocblas_complex_numIfEPKS1_S3_PS1_EviT_T9_T10_S5_lS7_S5_lS6_T11_S5_li, .Lfunc_end84-_ZL29rocblas_internal_gemmt_kernelIiLi16ELi32ELi8ELc84ELc78ELc76ELb0ELb0E19rocblas_complex_numIfEPKS1_S3_PS1_EviT_T9_T10_S5_lS7_S5_lS6_T11_S5_li
                                        ; -- End function
	.set _ZL29rocblas_internal_gemmt_kernelIiLi16ELi32ELi8ELc84ELc78ELc76ELb0ELb0E19rocblas_complex_numIfEPKS1_S3_PS1_EviT_T9_T10_S5_lS7_S5_lS6_T11_S5_li.num_vgpr, 59
	.set _ZL29rocblas_internal_gemmt_kernelIiLi16ELi32ELi8ELc84ELc78ELc76ELb0ELb0E19rocblas_complex_numIfEPKS1_S3_PS1_EviT_T9_T10_S5_lS7_S5_lS6_T11_S5_li.num_agpr, 0
	.set _ZL29rocblas_internal_gemmt_kernelIiLi16ELi32ELi8ELc84ELc78ELc76ELb0ELb0E19rocblas_complex_numIfEPKS1_S3_PS1_EviT_T9_T10_S5_lS7_S5_lS6_T11_S5_li.numbered_sgpr, 26
	.set _ZL29rocblas_internal_gemmt_kernelIiLi16ELi32ELi8ELc84ELc78ELc76ELb0ELb0E19rocblas_complex_numIfEPKS1_S3_PS1_EviT_T9_T10_S5_lS7_S5_lS6_T11_S5_li.num_named_barrier, 0
	.set _ZL29rocblas_internal_gemmt_kernelIiLi16ELi32ELi8ELc84ELc78ELc76ELb0ELb0E19rocblas_complex_numIfEPKS1_S3_PS1_EviT_T9_T10_S5_lS7_S5_lS6_T11_S5_li.private_seg_size, 0
	.set _ZL29rocblas_internal_gemmt_kernelIiLi16ELi32ELi8ELc84ELc78ELc76ELb0ELb0E19rocblas_complex_numIfEPKS1_S3_PS1_EviT_T9_T10_S5_lS7_S5_lS6_T11_S5_li.uses_vcc, 1
	.set _ZL29rocblas_internal_gemmt_kernelIiLi16ELi32ELi8ELc84ELc78ELc76ELb0ELb0E19rocblas_complex_numIfEPKS1_S3_PS1_EviT_T9_T10_S5_lS7_S5_lS6_T11_S5_li.uses_flat_scratch, 0
	.set _ZL29rocblas_internal_gemmt_kernelIiLi16ELi32ELi8ELc84ELc78ELc76ELb0ELb0E19rocblas_complex_numIfEPKS1_S3_PS1_EviT_T9_T10_S5_lS7_S5_lS6_T11_S5_li.has_dyn_sized_stack, 0
	.set _ZL29rocblas_internal_gemmt_kernelIiLi16ELi32ELi8ELc84ELc78ELc76ELb0ELb0E19rocblas_complex_numIfEPKS1_S3_PS1_EviT_T9_T10_S5_lS7_S5_lS6_T11_S5_li.has_recursion, 0
	.set _ZL29rocblas_internal_gemmt_kernelIiLi16ELi32ELi8ELc84ELc78ELc76ELb0ELb0E19rocblas_complex_numIfEPKS1_S3_PS1_EviT_T9_T10_S5_lS7_S5_lS6_T11_S5_li.has_indirect_call, 0
	.section	.AMDGPU.csdata,"",@progbits
; Kernel info:
; codeLenInByte = 2504
; TotalNumSgprs: 28
; NumVgprs: 59
; ScratchSize: 0
; MemoryBound: 1
; FloatMode: 240
; IeeeMode: 1
; LDSByteSize: 4096 bytes/workgroup (compile time only)
; SGPRBlocks: 0
; VGPRBlocks: 7
; NumSGPRsForWavesPerEU: 28
; NumVGPRsForWavesPerEU: 59
; Occupancy: 16
; WaveLimiterHint : 0
; COMPUTE_PGM_RSRC2:SCRATCH_EN: 0
; COMPUTE_PGM_RSRC2:USER_SGPR: 6
; COMPUTE_PGM_RSRC2:TRAP_HANDLER: 0
; COMPUTE_PGM_RSRC2:TGID_X_EN: 1
; COMPUTE_PGM_RSRC2:TGID_Y_EN: 1
; COMPUTE_PGM_RSRC2:TGID_Z_EN: 1
; COMPUTE_PGM_RSRC2:TIDIG_COMP_CNT: 1
	.section	.text._ZL29rocblas_internal_gemmt_kernelIiLi16ELi32ELi8ELc84ELc84ELc76ELb0ELb0E19rocblas_complex_numIfEPKS1_S3_PS1_EviT_T9_T10_S5_lS7_S5_lS6_T11_S5_li,"axG",@progbits,_ZL29rocblas_internal_gemmt_kernelIiLi16ELi32ELi8ELc84ELc84ELc76ELb0ELb0E19rocblas_complex_numIfEPKS1_S3_PS1_EviT_T9_T10_S5_lS7_S5_lS6_T11_S5_li,comdat
	.globl	_ZL29rocblas_internal_gemmt_kernelIiLi16ELi32ELi8ELc84ELc84ELc76ELb0ELb0E19rocblas_complex_numIfEPKS1_S3_PS1_EviT_T9_T10_S5_lS7_S5_lS6_T11_S5_li ; -- Begin function _ZL29rocblas_internal_gemmt_kernelIiLi16ELi32ELi8ELc84ELc84ELc76ELb0ELb0E19rocblas_complex_numIfEPKS1_S3_PS1_EviT_T9_T10_S5_lS7_S5_lS6_T11_S5_li
	.p2align	8
	.type	_ZL29rocblas_internal_gemmt_kernelIiLi16ELi32ELi8ELc84ELc84ELc76ELb0ELb0E19rocblas_complex_numIfEPKS1_S3_PS1_EviT_T9_T10_S5_lS7_S5_lS6_T11_S5_li,@function
_ZL29rocblas_internal_gemmt_kernelIiLi16ELi32ELi8ELc84ELc84ELc76ELb0ELb0E19rocblas_complex_numIfEPKS1_S3_PS1_EviT_T9_T10_S5_lS7_S5_lS6_T11_S5_li: ; @_ZL29rocblas_internal_gemmt_kernelIiLi16ELi32ELi8ELc84ELc84ELc76ELb0ELb0E19rocblas_complex_numIfEPKS1_S3_PS1_EviT_T9_T10_S5_lS7_S5_lS6_T11_S5_li
; %bb.0:
	s_clause 0x1
	s_load_dwordx4 s[12:15], s[4:5], 0x38
	s_load_dwordx4 s[0:3], s[4:5], 0x8
	s_waitcnt lgkmcnt(0)
	s_load_dwordx2 s[10:11], s[14:15], 0x0
	s_load_dwordx2 s[20:21], s[4:5], 0x0
	;; [unrolled: 1-line block ×3, first 2 shown]
	s_waitcnt lgkmcnt(0)
	s_and_b32 s0, s11, 0x7fffffff
	v_cmp_eq_f32_e64 s1, s10, 1.0
	s_cmp_eq_u32 s0, 0
	s_mov_b32 s0, 0
	s_cselect_b32 s9, -1, 0
	s_and_b32 s1, s1, s9
	s_andn2_b32 vcc_lo, exec_lo, s1
	s_mov_b32 s1, -1
	s_cbranch_vccnz .LBB85_4
; %bb.1:
	s_cmp_lg_u32 s21, 0
	s_cbranch_scc0 .LBB85_3
; %bb.2:
	v_cmp_neq_f32_e64 s0, s14, 0
	v_cmp_neq_f32_e64 s1, s15, 0
	s_or_b32 s0, s0, s1
.LBB85_3:
	s_mov_b32 s1, s0
.LBB85_4:
	s_and_b32 vcc_lo, exec_lo, s1
	s_cbranch_vccz .LBB85_32
; %bb.5:
	s_load_dwordx2 s[22:23], s[4:5], 0x48
	v_cmp_eq_f32_e64 s0, s14, 0
	v_cmp_eq_f32_e64 s1, s15, 0
	s_lshl_b32 s24, s6, 5
	s_lshl_b32 s25, s7, 5
	v_mov_b32_e32 v20, 0
	v_mov_b32_e32 v21, 0
	s_and_b32 s0, s0, s1
	s_cmp_lt_i32 s21, 1
	v_mov_b32_e32 v18, 0
	s_cselect_b32 s1, -1, 0
	v_mov_b32_e32 v19, 0
	v_mov_b32_e32 v16, 0
	;; [unrolled: 1-line block ×5, first 2 shown]
	s_or_b32 s0, s0, s1
	s_mov_b32 s26, 0
	s_and_b32 vcc_lo, exec_lo, s0
	s_cbranch_vccnz .LBB85_16
; %bb.6:
	s_load_dword s0, s[4:5], 0x18
	v_lshl_add_u32 v2, v1, 4, v0
	s_clause 0x1
	s_load_dwordx4 s[16:19], s[4:5], 0x20
	s_load_dword s6, s[4:5], 0x30
	v_and_b32_e32 v8, 7, v0
	v_lshlrev_b32_e32 v9, 3, v0
	v_lshl_add_u32 v10, v1, 6, 0x800
	v_and_b32_e32 v4, 31, v2
	v_lshrrev_b32_e32 v5, 3, v2
	v_lshrrev_b32_e32 v11, 5, v2
	v_lshlrev_b32_e32 v2, 3, v8
	v_mov_b32_e32 v19, 0
	v_or_b32_e32 v6, s24, v4
	v_lshlrev_b32_e32 v7, 3, v4
	v_add_nc_u32_e32 v4, s24, v4
	v_add_nc_u32_e32 v3, s25, v5
	v_lshl_or_b32 v2, v5, 6, v2
	v_cmp_gt_i32_e32 vcc_lo, s20, v6
	v_lshl_or_b32 v12, v11, 8, v7
	v_lshlrev_b32_e32 v17, 3, v11
	v_mov_b32_e32 v18, 0
	s_waitcnt lgkmcnt(0)
	v_mad_i64_i32 v[5:6], null, s0, v4, 0
	s_mul_i32 s1, s17, s8
	s_mul_hi_u32 s17, s16, s8
	v_mad_i64_i32 v[14:15], null, s6, v8, 0
	s_mul_i32 s16, s16, s8
	s_add_i32 s17, s17, s1
	v_lshlrev_b64 v[5:6], 3, v[5:6]
	s_lshl_b64 s[16:17], s[16:17], 3
	v_ashrrev_i32_e32 v4, 31, v3
	v_cmp_gt_i32_e64 s0, s20, v3
	v_add_nc_u32_e32 v13, 0x800, v2
	v_mov_b32_e32 v2, 0
	v_add_co_u32 v7, s1, v5, s16
	v_add_co_ci_u32_e64 v16, null, s17, v6, s1
	s_mul_i32 s1, s13, s8
	s_mul_hi_u32 s13, s12, s8
	v_lshlrev_b64 v[5:6], 3, v[14:15]
	s_add_i32 s13, s13, s1
	s_mul_i32 s12, s12, s8
	v_lshlrev_b64 v[3:4], 3, v[3:4]
	s_lshl_b64 s[12:13], s[12:13], 3
	v_mov_b32_e32 v21, 0
	v_add_co_u32 v5, s1, s12, v5
	v_add_co_ci_u32_e64 v6, null, s13, v6, s1
	v_add_co_u32 v7, s1, v7, v17
	v_add_co_ci_u32_e64 v14, null, 0, v16, s1
	;; [unrolled: 2-line block ×5, first 2 shown]
	v_mov_b32_e32 v15, 0
	v_mov_b32_e32 v14, 0
	;; [unrolled: 1-line block ×5, first 2 shown]
	s_ashr_i32 s7, s6, 31
	s_xor_b32 s1, vcc_lo, -1
	s_lshl_b64 s[2:3], s[6:7], 6
	s_xor_b32 s0, s0, -1
	s_branch .LBB85_8
.LBB85_7:                               ;   in Loop: Header=BB85_8 Depth=1
	s_or_b32 exec_lo, exec_lo, s6
	s_waitcnt lgkmcnt(0)
	s_barrier
	buffer_gl0_inv
	ds_read_b128 v[22:25], v10
	ds_read2_b64 v[26:29], v9 offset1:16
	ds_read_b128 v[30:33], v10 offset:1024
	ds_read_b128 v[34:37], v10 offset:16
	;; [unrolled: 1-line block ×4, first 2 shown]
	ds_read2_b64 v[46:49], v9 offset0:32 offset1:48
	ds_read_b128 v[50:53], v10 offset:1040
	v_add_co_u32 v4, vcc_lo, v4, 64
	v_add_co_ci_u32_e64 v5, null, 0, v5, vcc_lo
	v_add_co_u32 v6, vcc_lo, v6, s2
	v_add_co_ci_u32_e64 v7, null, s3, v7, vcc_lo
	s_add_i32 s26, s26, 8
	s_cmp_lt_i32 s26, s21
	s_waitcnt lgkmcnt(6)
	v_mul_f32_e32 v3, v23, v27
	v_mul_f32_e32 v54, v22, v27
	;; [unrolled: 1-line block ×4, first 2 shown]
	s_waitcnt lgkmcnt(5)
	v_mul_f32_e32 v57, v31, v27
	v_mul_f32_e32 v27, v30, v27
	;; [unrolled: 1-line block ×3, first 2 shown]
	v_fma_f32 v3, v22, v26, -v3
	v_fmac_f32_e32 v54, v23, v26
	v_fma_f32 v22, v22, v28, -v55
	v_fmac_f32_e32 v56, v23, v28
	;; [unrolled: 2-line block ×3, first 2 shown]
	v_mul_f32_e32 v29, v30, v29
	v_fma_f32 v26, v30, v28, -v58
	v_add_f32_e32 v3, v20, v3
	v_add_f32_e32 v20, v21, v54
	;; [unrolled: 1-line block ×6, first 2 shown]
	s_waitcnt lgkmcnt(1)
	v_mul_f32_e32 v30, v25, v47
	ds_read2_b64 v[16:19], v9 offset0:64 offset1:80
	v_fmac_f32_e32 v29, v31, v28
	v_add_f32_e32 v14, v14, v26
	v_mul_f32_e32 v26, v24, v47
	v_fma_f32 v28, v24, v46, -v30
	v_mul_f32_e32 v30, v25, v49
	v_add_f32_e32 v15, v15, v29
	v_mul_f32_e32 v29, v24, v49
	v_fmac_f32_e32 v26, v25, v46
	v_add_f32_e32 v3, v3, v28
	v_fma_f32 v24, v24, v48, -v30
	v_mul_f32_e32 v28, v33, v47
	v_fmac_f32_e32 v29, v25, v48
	v_add_f32_e32 v26, v20, v26
	v_mul_f32_e32 v20, v32, v47
	v_add_f32_e32 v24, v21, v24
	v_fma_f32 v21, v32, v46, -v28
	v_mul_f32_e32 v25, v33, v49
	v_add_f32_e32 v28, v22, v29
	v_fmac_f32_e32 v20, v33, v46
	v_mul_f32_e32 v29, v32, v49
	v_add_f32_e32 v30, v23, v21
	v_fma_f32 v21, v32, v48, -v25
	s_waitcnt lgkmcnt(0)
	v_mul_f32_e32 v22, v35, v17
	v_add_f32_e32 v25, v27, v20
	v_fmac_f32_e32 v29, v33, v48
	v_mul_f32_e32 v27, v34, v17
	v_add_f32_e32 v14, v14, v21
	v_fma_f32 v31, v34, v16, -v22
	v_mul_f32_e32 v32, v35, v19
	ds_read2_b64 v[20:23], v9 offset0:96 offset1:112
	v_fmac_f32_e32 v27, v35, v16
	v_add_f32_e32 v29, v15, v29
	v_add_f32_e32 v3, v3, v31
	v_mul_f32_e32 v15, v34, v19
	v_fma_f32 v31, v34, v18, -v32
	v_add_f32_e32 v26, v26, v27
	v_mul_f32_e32 v27, v51, v17
	v_mul_f32_e32 v17, v50, v17
	v_fmac_f32_e32 v15, v35, v18
	v_add_f32_e32 v24, v24, v31
	v_mul_f32_e32 v31, v51, v19
	v_mul_f32_e32 v19, v50, v19
	v_fmac_f32_e32 v17, v51, v16
	v_add_f32_e32 v28, v28, v15
	v_fma_f32 v27, v50, v16, -v27
	v_fma_f32 v15, v50, v18, -v31
	v_fmac_f32_e32 v19, v51, v18
	v_add_f32_e32 v31, v25, v17
	s_waitcnt lgkmcnt(0)
	v_mul_f32_e32 v18, v37, v21
	v_add_f32_e32 v32, v14, v15
	ds_read2_b64 v[14:17], v9 offset0:128 offset1:144
	v_add_f32_e32 v30, v30, v27
	v_mul_f32_e32 v25, v36, v21
	v_fma_f32 v18, v36, v20, -v18
	v_mul_f32_e32 v27, v37, v23
	v_add_f32_e32 v29, v29, v19
	v_mul_f32_e32 v19, v36, v23
	v_fmac_f32_e32 v25, v37, v20
	v_add_f32_e32 v3, v3, v18
	v_mul_f32_e32 v18, v53, v21
	v_fma_f32 v27, v36, v22, -v27
	v_fmac_f32_e32 v19, v37, v22
	v_mul_f32_e32 v21, v52, v21
	v_mul_f32_e32 v35, v53, v23
	v_fma_f32 v18, v52, v20, -v18
	v_add_f32_e32 v33, v26, v25
	v_add_f32_e32 v34, v24, v27
	ds_read_b128 v[24:27], v10 offset:1056
	v_add_f32_e32 v36, v28, v19
	v_fmac_f32_e32 v21, v53, v20
	v_mul_f32_e32 v23, v52, v23
	v_fma_f32 v19, v52, v22, -v35
	v_add_f32_e32 v35, v30, v18
	s_waitcnt lgkmcnt(1)
	v_mul_f32_e32 v18, v39, v15
	v_add_f32_e32 v37, v31, v21
	v_fmac_f32_e32 v23, v53, v22
	v_add_f32_e32 v22, v32, v19
	v_mul_f32_e32 v32, v38, v15
	v_fma_f32 v28, v38, v14, -v18
	ds_read2_b64 v[18:21], v9 offset0:160 offset1:176
	v_mul_f32_e32 v30, v39, v17
	v_mul_f32_e32 v46, v38, v17
	v_fmac_f32_e32 v32, v39, v14
	v_add_f32_e32 v23, v29, v23
	v_add_f32_e32 v3, v3, v28
	v_fma_f32 v38, v38, v16, -v30
	ds_read_b128 v[28:31], v10 offset:1072
	s_waitcnt lgkmcnt(2)
	v_mul_f32_e32 v47, v25, v15
	v_add_f32_e32 v32, v33, v32
	v_mul_f32_e32 v15, v24, v15
	v_add_f32_e32 v33, v34, v38
	v_mul_f32_e32 v38, v25, v17
	v_fmac_f32_e32 v46, v39, v16
	v_fma_f32 v34, v24, v14, -v47
	v_fmac_f32_e32 v15, v25, v14
	v_mul_f32_e32 v39, v24, v17
	v_fma_f32 v14, v24, v16, -v38
	v_add_f32_e32 v36, v36, v46
	v_add_f32_e32 v34, v35, v34
	s_waitcnt lgkmcnt(1)
	v_mul_f32_e32 v17, v41, v19
	v_add_f32_e32 v24, v37, v15
	v_fmac_f32_e32 v39, v25, v16
	v_mul_f32_e32 v25, v40, v19
	v_add_f32_e32 v22, v22, v14
	v_fma_f32 v35, v40, v18, -v17
	ds_read2_b64 v[14:17], v9 offset0:192 offset1:208
	v_mul_f32_e32 v37, v41, v21
	v_fmac_f32_e32 v25, v41, v18
	v_add_f32_e32 v38, v23, v39
	v_add_f32_e32 v3, v3, v35
	v_mul_f32_e32 v23, v40, v21
	v_fma_f32 v35, v40, v20, -v37
	v_add_f32_e32 v32, v32, v25
	v_mul_f32_e32 v25, v27, v19
	v_mul_f32_e32 v19, v26, v19
	v_fmac_f32_e32 v23, v41, v20
	v_add_f32_e32 v33, v33, v35
	v_mul_f32_e32 v35, v27, v21
	v_fma_f32 v25, v26, v18, -v25
	v_fmac_f32_e32 v19, v27, v18
	v_add_f32_e32 v18, v36, v23
	v_mul_f32_e32 v21, v26, v21
	v_fma_f32 v23, v26, v20, -v35
	v_add_f32_e32 v26, v34, v25
	v_add_f32_e32 v19, v24, v19
	s_waitcnt lgkmcnt(0)
	v_mul_f32_e32 v34, v43, v15
	v_fmac_f32_e32 v21, v27, v20
	v_add_f32_e32 v20, v22, v23
	ds_read2_b64 v[22:25], v9 offset0:224 offset1:240
	v_mul_f32_e32 v27, v42, v15
	v_fma_f32 v34, v42, v14, -v34
	v_mul_f32_e32 v35, v43, v17
	v_mul_f32_e32 v36, v42, v17
	v_add_f32_e32 v21, v38, v21
	v_fmac_f32_e32 v27, v43, v14
	v_add_f32_e32 v3, v3, v34
	v_mul_f32_e32 v34, v29, v15
	v_fma_f32 v35, v42, v16, -v35
	v_fmac_f32_e32 v36, v43, v16
	v_add_f32_e32 v27, v32, v27
	v_mul_f32_e32 v15, v28, v15
	v_fma_f32 v32, v28, v14, -v34
	v_mul_f32_e32 v34, v29, v17
	v_add_f32_e32 v33, v33, v35
	v_add_f32_e32 v35, v18, v36
	v_fmac_f32_e32 v15, v29, v14
	v_add_f32_e32 v14, v26, v32
	v_mul_f32_e32 v17, v28, v17
	v_fma_f32 v18, v28, v16, -v34
	s_waitcnt lgkmcnt(0)
	v_mul_f32_e32 v26, v45, v23
	v_mul_f32_e32 v28, v44, v23
	v_add_f32_e32 v15, v19, v15
	v_fmac_f32_e32 v17, v29, v16
	v_add_f32_e32 v29, v20, v18
	v_fma_f32 v16, v44, v22, -v26
	v_mul_f32_e32 v18, v45, v25
	v_mul_f32_e32 v19, v44, v25
	v_add_f32_e32 v26, v21, v17
	v_mul_f32_e32 v17, v30, v23
	v_add_f32_e32 v20, v3, v16
	v_fma_f32 v3, v44, v24, -v18
	v_mul_f32_e32 v16, v31, v23
	v_mul_f32_e32 v23, v31, v25
	v_mul_f32_e32 v25, v30, v25
	v_fmac_f32_e32 v28, v45, v22
	v_fmac_f32_e32 v19, v45, v24
	v_add_f32_e32 v18, v33, v3
	v_fma_f32 v3, v30, v22, -v16
	v_fmac_f32_e32 v17, v31, v22
	v_fma_f32 v22, v30, v24, -v23
	v_fmac_f32_e32 v25, v31, v24
	v_add_f32_e32 v21, v27, v28
	v_add_f32_e32 v19, v35, v19
	;; [unrolled: 1-line block ×6, first 2 shown]
	s_barrier
	buffer_gl0_inv
	s_cbranch_scc0 .LBB85_16
.LBB85_8:                               ; =>This Inner Loop Header: Depth=1
	v_add_nc_u32_e32 v3, s26, v11
	v_cmp_le_i32_e32 vcc_lo, s21, v3
	s_or_b32 s6, s1, vcc_lo
	s_and_saveexec_b32 s7, s6
	s_xor_b32 s6, exec_lo, s7
; %bb.9:                                ;   in Loop: Header=BB85_8 Depth=1
	v_mov_b32_e32 v3, v2
	ds_write_b64 v12, v[2:3]
; %bb.10:                               ;   in Loop: Header=BB85_8 Depth=1
	s_andn2_saveexec_b32 s6, s6
	s_cbranch_execz .LBB85_12
; %bb.11:                               ;   in Loop: Header=BB85_8 Depth=1
	global_load_dwordx2 v[22:23], v[4:5], off
	s_waitcnt vmcnt(0)
	ds_write_b64 v12, v[22:23]
.LBB85_12:                              ;   in Loop: Header=BB85_8 Depth=1
	s_or_b32 exec_lo, exec_lo, s6
	v_add_nc_u32_e32 v3, s26, v8
	v_cmp_le_i32_e32 vcc_lo, s21, v3
	s_or_b32 s6, vcc_lo, s0
	s_and_saveexec_b32 s7, s6
	s_xor_b32 s6, exec_lo, s7
; %bb.13:                               ;   in Loop: Header=BB85_8 Depth=1
	v_mov_b32_e32 v3, v2
	ds_write_b64 v13, v[2:3]
; %bb.14:                               ;   in Loop: Header=BB85_8 Depth=1
	s_andn2_saveexec_b32 s6, s6
	s_cbranch_execz .LBB85_7
; %bb.15:                               ;   in Loop: Header=BB85_8 Depth=1
	global_load_dwordx2 v[22:23], v[6:7], off
	s_waitcnt vmcnt(0)
	ds_write_b64 v13, v[22:23]
	s_branch .LBB85_7
.LBB85_16:
	s_clause 0x1
	s_load_dword s3, s[4:5], 0x50
	s_load_dwordx2 s[0:1], s[4:5], 0x58
	v_add_nc_u32_e32 v9, s25, v1
	v_add_nc_u32_e32 v0, s24, v0
	v_cmp_neq_f32_e64 s2, s10, 0
	v_cmp_le_i32_e32 vcc_lo, v9, v0
	s_waitcnt lgkmcnt(0)
	v_mad_i64_i32 v[1:2], null, v9, s3, 0
	s_mul_i32 s1, s1, s8
	s_mul_hi_u32 s5, s0, s8
	s_mul_i32 s4, s0, s8
	s_add_i32 s5, s5, s1
	v_cmp_gt_i32_e64 s0, s20, v0
	s_lshl_b64 s[4:5], s[4:5], 3
	v_lshlrev_b64 v[2:3], 3, v[1:2]
	s_add_u32 s4, s22, s4
	s_addc_u32 s5, s23, s5
	s_xor_b32 s6, s9, -1
	v_ashrrev_i32_e32 v1, 31, v0
	s_or_b32 s2, s2, s6
	v_add_co_u32 v6, s1, s4, v2
	v_add_co_ci_u32_e64 v7, null, s5, v3, s1
	v_cndmask_b32_e64 v8, 0, 1, s2
	s_and_b32 s6, vcc_lo, s0
	s_and_saveexec_b32 s1, s6
	s_cbranch_execz .LBB85_20
; %bb.17:
	v_lshlrev_b64 v[4:5], 3, v[0:1]
	v_mul_f32_e32 v2, s15, v21
	v_mul_f32_e32 v3, s14, v21
	v_fma_f32 v2, v20, s14, -v2
	v_add_co_u32 v4, vcc_lo, v6, v4
	v_fmac_f32_e32 v3, s15, v20
	v_add_co_ci_u32_e64 v5, null, v7, v5, vcc_lo
	s_andn2_b32 vcc_lo, exec_lo, s2
	s_cbranch_vccnz .LBB85_19
; %bb.18:
	global_load_dwordx2 v[10:11], v[4:5], off
	s_waitcnt vmcnt(0)
	v_mul_f32_e32 v12, s11, v11
	v_mul_f32_e32 v11, s10, v11
	v_fma_f32 v12, v10, s10, -v12
	v_fmac_f32_e32 v11, s11, v10
	v_add_f32_e32 v2, v2, v12
	v_add_f32_e32 v3, v3, v11
.LBB85_19:
	global_store_dwordx2 v[4:5], v[2:3], off
.LBB85_20:
	s_or_b32 exec_lo, exec_lo, s1
	v_add_nc_u32_e32 v2, 16, v0
	v_cmp_le_i32_e32 vcc_lo, v9, v2
	v_cmp_gt_i32_e64 s1, s20, v2
	v_ashrrev_i32_e32 v3, 31, v2
	s_and_b32 s2, vcc_lo, s1
	s_and_saveexec_b32 s6, s2
	s_cbranch_execz .LBB85_24
; %bb.21:
	v_lshlrev_b64 v[10:11], 3, v[2:3]
	v_mul_f32_e32 v4, s15, v19
	v_mul_f32_e32 v5, s14, v19
	v_cmp_ne_u32_e32 vcc_lo, 1, v8
	v_fma_f32 v4, v18, s14, -v4
	v_add_co_u32 v6, s2, v6, v10
	v_fmac_f32_e32 v5, s15, v18
	v_add_co_ci_u32_e64 v7, null, v7, v11, s2
	s_cbranch_vccnz .LBB85_23
; %bb.22:
	global_load_dwordx2 v[10:11], v[6:7], off
	s_waitcnt vmcnt(0)
	v_mul_f32_e32 v12, s11, v11
	v_mul_f32_e32 v11, s10, v11
	v_fma_f32 v12, v10, s10, -v12
	v_fmac_f32_e32 v11, s11, v10
	v_add_f32_e32 v4, v4, v12
	v_add_f32_e32 v5, v5, v11
.LBB85_23:
	global_store_dwordx2 v[6:7], v[4:5], off
.LBB85_24:
	s_or_b32 exec_lo, exec_lo, s6
	v_add_nc_u32_e32 v9, 16, v9
	v_mad_i64_i32 v[4:5], null, v9, s3, 0
	v_cmp_le_i32_e32 vcc_lo, v9, v0
	s_and_b32 s0, vcc_lo, s0
	v_lshlrev_b64 v[4:5], 3, v[4:5]
	v_add_co_u32 v6, s2, s4, v4
	v_add_co_ci_u32_e64 v7, null, s5, v5, s2
	s_and_saveexec_b32 s2, s0
	s_cbranch_execz .LBB85_28
; %bb.25:
	v_lshlrev_b64 v[0:1], 3, v[0:1]
	v_mul_f32_e32 v4, s15, v17
	v_mul_f32_e32 v5, s14, v17
	v_cmp_ne_u32_e32 vcc_lo, 1, v8
	v_fma_f32 v4, v16, s14, -v4
	v_add_co_u32 v0, s0, v6, v0
	v_fmac_f32_e32 v5, s15, v16
	v_add_co_ci_u32_e64 v1, null, v7, v1, s0
	s_cbranch_vccnz .LBB85_27
; %bb.26:
	global_load_dwordx2 v[10:11], v[0:1], off
	s_waitcnt vmcnt(0)
	v_mul_f32_e32 v12, s11, v11
	v_mul_f32_e32 v11, s10, v11
	v_fma_f32 v12, v10, s10, -v12
	v_fmac_f32_e32 v11, s11, v10
	v_add_f32_e32 v4, v4, v12
	v_add_f32_e32 v5, v5, v11
.LBB85_27:
	global_store_dwordx2 v[0:1], v[4:5], off
.LBB85_28:
	s_or_b32 exec_lo, exec_lo, s2
	v_cmp_le_i32_e32 vcc_lo, v9, v2
	s_and_b32 s0, vcc_lo, s1
	s_and_saveexec_b32 s1, s0
	s_cbranch_execz .LBB85_32
; %bb.29:
	v_lshlrev_b64 v[2:3], 3, v[2:3]
	v_mul_f32_e32 v0, s15, v15
	v_mul_f32_e32 v1, s14, v15
	v_cmp_ne_u32_e32 vcc_lo, 1, v8
	v_fma_f32 v0, v14, s14, -v0
	v_add_co_u32 v2, s0, v6, v2
	v_fmac_f32_e32 v1, s15, v14
	v_add_co_ci_u32_e64 v3, null, v7, v3, s0
	s_cbranch_vccnz .LBB85_31
; %bb.30:
	global_load_dwordx2 v[4:5], v[2:3], off
	s_waitcnt vmcnt(0)
	v_mul_f32_e32 v6, s11, v5
	v_mul_f32_e32 v5, s10, v5
	v_fma_f32 v6, v4, s10, -v6
	v_fmac_f32_e32 v5, s11, v4
	v_add_f32_e32 v0, v0, v6
	v_add_f32_e32 v1, v1, v5
.LBB85_31:
	global_store_dwordx2 v[2:3], v[0:1], off
.LBB85_32:
	s_endpgm
	.section	.rodata,"a",@progbits
	.p2align	6, 0x0
	.amdhsa_kernel _ZL29rocblas_internal_gemmt_kernelIiLi16ELi32ELi8ELc84ELc84ELc76ELb0ELb0E19rocblas_complex_numIfEPKS1_S3_PS1_EviT_T9_T10_S5_lS7_S5_lS6_T11_S5_li
		.amdhsa_group_segment_fixed_size 4096
		.amdhsa_private_segment_fixed_size 0
		.amdhsa_kernarg_size 100
		.amdhsa_user_sgpr_count 6
		.amdhsa_user_sgpr_private_segment_buffer 1
		.amdhsa_user_sgpr_dispatch_ptr 0
		.amdhsa_user_sgpr_queue_ptr 0
		.amdhsa_user_sgpr_kernarg_segment_ptr 1
		.amdhsa_user_sgpr_dispatch_id 0
		.amdhsa_user_sgpr_flat_scratch_init 0
		.amdhsa_user_sgpr_private_segment_size 0
		.amdhsa_wavefront_size32 1
		.amdhsa_uses_dynamic_stack 0
		.amdhsa_system_sgpr_private_segment_wavefront_offset 0
		.amdhsa_system_sgpr_workgroup_id_x 1
		.amdhsa_system_sgpr_workgroup_id_y 1
		.amdhsa_system_sgpr_workgroup_id_z 1
		.amdhsa_system_sgpr_workgroup_info 0
		.amdhsa_system_vgpr_workitem_id 1
		.amdhsa_next_free_vgpr 59
		.amdhsa_next_free_sgpr 27
		.amdhsa_reserve_vcc 1
		.amdhsa_reserve_flat_scratch 0
		.amdhsa_float_round_mode_32 0
		.amdhsa_float_round_mode_16_64 0
		.amdhsa_float_denorm_mode_32 3
		.amdhsa_float_denorm_mode_16_64 3
		.amdhsa_dx10_clamp 1
		.amdhsa_ieee_mode 1
		.amdhsa_fp16_overflow 0
		.amdhsa_workgroup_processor_mode 1
		.amdhsa_memory_ordered 1
		.amdhsa_forward_progress 1
		.amdhsa_shared_vgpr_count 0
		.amdhsa_exception_fp_ieee_invalid_op 0
		.amdhsa_exception_fp_denorm_src 0
		.amdhsa_exception_fp_ieee_div_zero 0
		.amdhsa_exception_fp_ieee_overflow 0
		.amdhsa_exception_fp_ieee_underflow 0
		.amdhsa_exception_fp_ieee_inexact 0
		.amdhsa_exception_int_div_zero 0
	.end_amdhsa_kernel
	.section	.text._ZL29rocblas_internal_gemmt_kernelIiLi16ELi32ELi8ELc84ELc84ELc76ELb0ELb0E19rocblas_complex_numIfEPKS1_S3_PS1_EviT_T9_T10_S5_lS7_S5_lS6_T11_S5_li,"axG",@progbits,_ZL29rocblas_internal_gemmt_kernelIiLi16ELi32ELi8ELc84ELc84ELc76ELb0ELb0E19rocblas_complex_numIfEPKS1_S3_PS1_EviT_T9_T10_S5_lS7_S5_lS6_T11_S5_li,comdat
.Lfunc_end85:
	.size	_ZL29rocblas_internal_gemmt_kernelIiLi16ELi32ELi8ELc84ELc84ELc76ELb0ELb0E19rocblas_complex_numIfEPKS1_S3_PS1_EviT_T9_T10_S5_lS7_S5_lS6_T11_S5_li, .Lfunc_end85-_ZL29rocblas_internal_gemmt_kernelIiLi16ELi32ELi8ELc84ELc84ELc76ELb0ELb0E19rocblas_complex_numIfEPKS1_S3_PS1_EviT_T9_T10_S5_lS7_S5_lS6_T11_S5_li
                                        ; -- End function
	.set _ZL29rocblas_internal_gemmt_kernelIiLi16ELi32ELi8ELc84ELc84ELc76ELb0ELb0E19rocblas_complex_numIfEPKS1_S3_PS1_EviT_T9_T10_S5_lS7_S5_lS6_T11_S5_li.num_vgpr, 59
	.set _ZL29rocblas_internal_gemmt_kernelIiLi16ELi32ELi8ELc84ELc84ELc76ELb0ELb0E19rocblas_complex_numIfEPKS1_S3_PS1_EviT_T9_T10_S5_lS7_S5_lS6_T11_S5_li.num_agpr, 0
	.set _ZL29rocblas_internal_gemmt_kernelIiLi16ELi32ELi8ELc84ELc84ELc76ELb0ELb0E19rocblas_complex_numIfEPKS1_S3_PS1_EviT_T9_T10_S5_lS7_S5_lS6_T11_S5_li.numbered_sgpr, 27
	.set _ZL29rocblas_internal_gemmt_kernelIiLi16ELi32ELi8ELc84ELc84ELc76ELb0ELb0E19rocblas_complex_numIfEPKS1_S3_PS1_EviT_T9_T10_S5_lS7_S5_lS6_T11_S5_li.num_named_barrier, 0
	.set _ZL29rocblas_internal_gemmt_kernelIiLi16ELi32ELi8ELc84ELc84ELc76ELb0ELb0E19rocblas_complex_numIfEPKS1_S3_PS1_EviT_T9_T10_S5_lS7_S5_lS6_T11_S5_li.private_seg_size, 0
	.set _ZL29rocblas_internal_gemmt_kernelIiLi16ELi32ELi8ELc84ELc84ELc76ELb0ELb0E19rocblas_complex_numIfEPKS1_S3_PS1_EviT_T9_T10_S5_lS7_S5_lS6_T11_S5_li.uses_vcc, 1
	.set _ZL29rocblas_internal_gemmt_kernelIiLi16ELi32ELi8ELc84ELc84ELc76ELb0ELb0E19rocblas_complex_numIfEPKS1_S3_PS1_EviT_T9_T10_S5_lS7_S5_lS6_T11_S5_li.uses_flat_scratch, 0
	.set _ZL29rocblas_internal_gemmt_kernelIiLi16ELi32ELi8ELc84ELc84ELc76ELb0ELb0E19rocblas_complex_numIfEPKS1_S3_PS1_EviT_T9_T10_S5_lS7_S5_lS6_T11_S5_li.has_dyn_sized_stack, 0
	.set _ZL29rocblas_internal_gemmt_kernelIiLi16ELi32ELi8ELc84ELc84ELc76ELb0ELb0E19rocblas_complex_numIfEPKS1_S3_PS1_EviT_T9_T10_S5_lS7_S5_lS6_T11_S5_li.has_recursion, 0
	.set _ZL29rocblas_internal_gemmt_kernelIiLi16ELi32ELi8ELc84ELc84ELc76ELb0ELb0E19rocblas_complex_numIfEPKS1_S3_PS1_EviT_T9_T10_S5_lS7_S5_lS6_T11_S5_li.has_indirect_call, 0
	.section	.AMDGPU.csdata,"",@progbits
; Kernel info:
; codeLenInByte = 2524
; TotalNumSgprs: 29
; NumVgprs: 59
; ScratchSize: 0
; MemoryBound: 1
; FloatMode: 240
; IeeeMode: 1
; LDSByteSize: 4096 bytes/workgroup (compile time only)
; SGPRBlocks: 0
; VGPRBlocks: 7
; NumSGPRsForWavesPerEU: 29
; NumVGPRsForWavesPerEU: 59
; Occupancy: 16
; WaveLimiterHint : 0
; COMPUTE_PGM_RSRC2:SCRATCH_EN: 0
; COMPUTE_PGM_RSRC2:USER_SGPR: 6
; COMPUTE_PGM_RSRC2:TRAP_HANDLER: 0
; COMPUTE_PGM_RSRC2:TGID_X_EN: 1
; COMPUTE_PGM_RSRC2:TGID_Y_EN: 1
; COMPUTE_PGM_RSRC2:TGID_Z_EN: 1
; COMPUTE_PGM_RSRC2:TIDIG_COMP_CNT: 1
	.section	.text._ZL29rocblas_internal_gemmt_kernelIiLi16ELi32ELi8ELc84ELc67ELc76ELb0ELb1E19rocblas_complex_numIfEPKS1_S3_PS1_EviT_T9_T10_S5_lS7_S5_lS6_T11_S5_li,"axG",@progbits,_ZL29rocblas_internal_gemmt_kernelIiLi16ELi32ELi8ELc84ELc67ELc76ELb0ELb1E19rocblas_complex_numIfEPKS1_S3_PS1_EviT_T9_T10_S5_lS7_S5_lS6_T11_S5_li,comdat
	.globl	_ZL29rocblas_internal_gemmt_kernelIiLi16ELi32ELi8ELc84ELc67ELc76ELb0ELb1E19rocblas_complex_numIfEPKS1_S3_PS1_EviT_T9_T10_S5_lS7_S5_lS6_T11_S5_li ; -- Begin function _ZL29rocblas_internal_gemmt_kernelIiLi16ELi32ELi8ELc84ELc67ELc76ELb0ELb1E19rocblas_complex_numIfEPKS1_S3_PS1_EviT_T9_T10_S5_lS7_S5_lS6_T11_S5_li
	.p2align	8
	.type	_ZL29rocblas_internal_gemmt_kernelIiLi16ELi32ELi8ELc84ELc67ELc76ELb0ELb1E19rocblas_complex_numIfEPKS1_S3_PS1_EviT_T9_T10_S5_lS7_S5_lS6_T11_S5_li,@function
_ZL29rocblas_internal_gemmt_kernelIiLi16ELi32ELi8ELc84ELc67ELc76ELb0ELb1E19rocblas_complex_numIfEPKS1_S3_PS1_EviT_T9_T10_S5_lS7_S5_lS6_T11_S5_li: ; @_ZL29rocblas_internal_gemmt_kernelIiLi16ELi32ELi8ELc84ELc67ELc76ELb0ELb1E19rocblas_complex_numIfEPKS1_S3_PS1_EviT_T9_T10_S5_lS7_S5_lS6_T11_S5_li
; %bb.0:
	s_clause 0x1
	s_load_dwordx4 s[12:15], s[4:5], 0x38
	s_load_dwordx4 s[0:3], s[4:5], 0x8
	s_waitcnt lgkmcnt(0)
	s_load_dwordx2 s[10:11], s[14:15], 0x0
	s_load_dwordx2 s[20:21], s[4:5], 0x0
	;; [unrolled: 1-line block ×3, first 2 shown]
	s_waitcnt lgkmcnt(0)
	s_and_b32 s0, s11, 0x7fffffff
	v_cmp_eq_f32_e64 s1, s10, 1.0
	s_cmp_eq_u32 s0, 0
	s_mov_b32 s0, 0
	s_cselect_b32 s9, -1, 0
	s_and_b32 s1, s1, s9
	s_andn2_b32 vcc_lo, exec_lo, s1
	s_mov_b32 s1, -1
	s_cbranch_vccnz .LBB86_4
; %bb.1:
	s_cmp_lg_u32 s21, 0
	s_cbranch_scc0 .LBB86_3
; %bb.2:
	v_cmp_neq_f32_e64 s0, s14, 0
	v_cmp_neq_f32_e64 s1, s15, 0
	s_or_b32 s0, s0, s1
.LBB86_3:
	s_mov_b32 s1, s0
.LBB86_4:
	s_and_b32 vcc_lo, exec_lo, s1
	s_cbranch_vccz .LBB86_32
; %bb.5:
	s_load_dwordx2 s[22:23], s[4:5], 0x48
	v_cmp_eq_f32_e64 s0, s14, 0
	v_cmp_eq_f32_e64 s1, s15, 0
	s_lshl_b32 s24, s6, 5
	s_lshl_b32 s25, s7, 5
	v_mov_b32_e32 v20, 0
	v_mov_b32_e32 v21, 0
	s_and_b32 s0, s0, s1
	s_cmp_lt_i32 s21, 1
	v_mov_b32_e32 v18, 0
	s_cselect_b32 s1, -1, 0
	v_mov_b32_e32 v19, 0
	v_mov_b32_e32 v16, 0
	;; [unrolled: 1-line block ×5, first 2 shown]
	s_or_b32 s0, s0, s1
	s_mov_b32 s26, 0
	s_and_b32 vcc_lo, exec_lo, s0
	s_cbranch_vccnz .LBB86_16
; %bb.6:
	s_load_dword s1, s[4:5], 0x18
	v_lshl_add_u32 v2, v1, 4, v0
	s_clause 0x1
	s_load_dwordx4 s[16:19], s[4:5], 0x20
	s_load_dword s6, s[4:5], 0x30
	v_and_b32_e32 v8, 7, v0
	s_mul_i32 s13, s13, s8
	s_mul_hi_u32 s27, s12, s8
	v_and_b32_e32 v3, 31, v2
	v_lshrrev_b32_e32 v4, 3, v2
	v_lshlrev_b32_e32 v5, 3, v8
	v_lshrrev_b32_e32 v11, 5, v2
	s_add_i32 s13, s27, s13
	v_or_b32_e32 v6, s24, v3
	v_lshlrev_b32_e32 v7, 3, v3
	v_add_nc_u32_e32 v3, s24, v3
	v_add_nc_u32_e32 v2, s25, v4
	v_lshl_or_b32 v13, v4, 6, v5
	v_cmp_gt_i32_e32 vcc_lo, s20, v6
	v_lshl_or_b32 v12, v11, 8, v7
	s_mul_i32 s12, s12, s8
	v_lshlrev_b32_e32 v16, 3, v11
	s_waitcnt lgkmcnt(0)
	v_mad_i64_i32 v[4:5], null, s1, v3, 0
	s_mul_i32 s1, s17, s8
	s_mul_hi_u32 s17, s16, s8
	v_mad_i64_i32 v[6:7], null, s6, v8, 0
	s_mul_i32 s16, s16, s8
	s_add_i32 s17, s17, s1
	v_lshlrev_b64 v[4:5], 3, v[4:5]
	s_lshl_b64 s[16:17], s[16:17], 3
	v_ashrrev_i32_e32 v3, 31, v2
	s_lshl_b64 s[12:13], s[12:13], 3
	v_cmp_gt_i32_e64 s0, s20, v2
	v_lshlrev_b32_e32 v9, 3, v0
	v_add_co_u32 v14, s1, v4, s16
	v_add_co_ci_u32_e64 v15, null, s17, v5, s1
	v_lshlrev_b64 v[4:5], 3, v[6:7]
	v_lshlrev_b64 v[6:7], 3, v[2:3]
	v_lshl_add_u32 v10, v1, 6, 0x800
	v_add_nc_u32_e32 v13, 0x800, v13
	v_mov_b32_e32 v2, 0
	v_mov_b32_e32 v17, 0
	v_add_co_u32 v3, s1, s12, v4
	v_add_co_ci_u32_e64 v4, null, s13, v5, s1
	v_mov_b32_e32 v19, 0
	v_add_co_u32 v3, s1, v3, v6
	v_add_co_ci_u32_e64 v4, null, v4, v7, s1
	v_add_co_u32 v5, s1, v14, v16
	v_add_co_ci_u32_e64 v6, null, 0, v15, s1
	;; [unrolled: 2-line block ×5, first 2 shown]
	v_mov_b32_e32 v15, 0
	v_mov_b32_e32 v14, 0
	;; [unrolled: 1-line block ×6, first 2 shown]
	s_ashr_i32 s7, s6, 31
	s_xor_b32 s1, vcc_lo, -1
	s_lshl_b64 s[2:3], s[6:7], 6
	s_xor_b32 s0, s0, -1
	s_branch .LBB86_8
.LBB86_7:                               ;   in Loop: Header=BB86_8 Depth=1
	s_or_b32 exec_lo, exec_lo, s6
	ds_write_b32 v13, v3 offset:4
	s_waitcnt lgkmcnt(0)
	s_barrier
	buffer_gl0_inv
	ds_read_b128 v[22:25], v10
	ds_read2_b64 v[26:29], v9 offset1:16
	ds_read_b128 v[30:33], v10 offset:1024
	ds_read_b128 v[34:37], v10 offset:16
	;; [unrolled: 1-line block ×4, first 2 shown]
	ds_read2_b64 v[46:49], v9 offset0:32 offset1:48
	ds_read_b128 v[50:53], v10 offset:1040
	v_add_co_u32 v4, vcc_lo, v4, 64
	v_add_co_ci_u32_e64 v5, null, 0, v5, vcc_lo
	v_add_co_u32 v6, vcc_lo, v6, s2
	v_add_co_ci_u32_e64 v7, null, s3, v7, vcc_lo
	s_add_i32 s26, s26, 8
	s_cmp_lt_i32 s26, s21
	s_waitcnt lgkmcnt(6)
	v_mul_f32_e32 v3, v23, v27
	v_mul_f32_e32 v54, v22, v27
	;; [unrolled: 1-line block ×4, first 2 shown]
	s_waitcnt lgkmcnt(5)
	v_mul_f32_e32 v57, v31, v27
	v_mul_f32_e32 v27, v30, v27
	;; [unrolled: 1-line block ×3, first 2 shown]
	v_fma_f32 v3, v22, v26, -v3
	v_fmac_f32_e32 v54, v23, v26
	v_fma_f32 v22, v22, v28, -v55
	v_fmac_f32_e32 v56, v23, v28
	;; [unrolled: 2-line block ×3, first 2 shown]
	v_mul_f32_e32 v29, v30, v29
	v_fma_f32 v26, v30, v28, -v58
	v_add_f32_e32 v3, v20, v3
	v_add_f32_e32 v20, v21, v54
	;; [unrolled: 1-line block ×6, first 2 shown]
	s_waitcnt lgkmcnt(1)
	v_mul_f32_e32 v30, v25, v47
	ds_read2_b64 v[16:19], v9 offset0:64 offset1:80
	v_fmac_f32_e32 v29, v31, v28
	v_add_f32_e32 v14, v14, v26
	v_mul_f32_e32 v26, v24, v47
	v_fma_f32 v28, v24, v46, -v30
	v_mul_f32_e32 v30, v25, v49
	v_add_f32_e32 v15, v15, v29
	v_mul_f32_e32 v29, v24, v49
	v_fmac_f32_e32 v26, v25, v46
	v_add_f32_e32 v3, v3, v28
	v_fma_f32 v24, v24, v48, -v30
	v_mul_f32_e32 v28, v33, v47
	v_fmac_f32_e32 v29, v25, v48
	v_add_f32_e32 v26, v20, v26
	v_mul_f32_e32 v20, v32, v47
	v_add_f32_e32 v24, v21, v24
	v_fma_f32 v21, v32, v46, -v28
	v_mul_f32_e32 v25, v33, v49
	v_add_f32_e32 v28, v22, v29
	v_fmac_f32_e32 v20, v33, v46
	v_mul_f32_e32 v29, v32, v49
	v_add_f32_e32 v30, v23, v21
	v_fma_f32 v21, v32, v48, -v25
	s_waitcnt lgkmcnt(0)
	v_mul_f32_e32 v22, v35, v17
	v_add_f32_e32 v25, v27, v20
	v_fmac_f32_e32 v29, v33, v48
	v_mul_f32_e32 v27, v34, v17
	v_add_f32_e32 v14, v14, v21
	v_fma_f32 v31, v34, v16, -v22
	v_mul_f32_e32 v32, v35, v19
	ds_read2_b64 v[20:23], v9 offset0:96 offset1:112
	v_fmac_f32_e32 v27, v35, v16
	v_add_f32_e32 v29, v15, v29
	v_add_f32_e32 v3, v3, v31
	v_mul_f32_e32 v15, v34, v19
	v_fma_f32 v31, v34, v18, -v32
	v_add_f32_e32 v26, v26, v27
	v_mul_f32_e32 v27, v51, v17
	v_mul_f32_e32 v17, v50, v17
	v_fmac_f32_e32 v15, v35, v18
	v_add_f32_e32 v24, v24, v31
	v_mul_f32_e32 v31, v51, v19
	v_mul_f32_e32 v19, v50, v19
	v_fmac_f32_e32 v17, v51, v16
	v_add_f32_e32 v28, v28, v15
	v_fma_f32 v27, v50, v16, -v27
	v_fma_f32 v15, v50, v18, -v31
	v_fmac_f32_e32 v19, v51, v18
	v_add_f32_e32 v31, v25, v17
	s_waitcnt lgkmcnt(0)
	v_mul_f32_e32 v18, v37, v21
	v_add_f32_e32 v32, v14, v15
	ds_read2_b64 v[14:17], v9 offset0:128 offset1:144
	v_add_f32_e32 v30, v30, v27
	v_mul_f32_e32 v25, v36, v21
	v_fma_f32 v18, v36, v20, -v18
	v_mul_f32_e32 v27, v37, v23
	v_add_f32_e32 v29, v29, v19
	v_mul_f32_e32 v19, v36, v23
	v_fmac_f32_e32 v25, v37, v20
	v_add_f32_e32 v3, v3, v18
	v_mul_f32_e32 v18, v53, v21
	v_fma_f32 v27, v36, v22, -v27
	v_fmac_f32_e32 v19, v37, v22
	v_mul_f32_e32 v21, v52, v21
	v_mul_f32_e32 v35, v53, v23
	v_fma_f32 v18, v52, v20, -v18
	v_add_f32_e32 v33, v26, v25
	v_add_f32_e32 v34, v24, v27
	ds_read_b128 v[24:27], v10 offset:1056
	v_add_f32_e32 v36, v28, v19
	v_fmac_f32_e32 v21, v53, v20
	v_mul_f32_e32 v23, v52, v23
	v_fma_f32 v19, v52, v22, -v35
	v_add_f32_e32 v35, v30, v18
	s_waitcnt lgkmcnt(1)
	v_mul_f32_e32 v18, v39, v15
	v_add_f32_e32 v37, v31, v21
	v_fmac_f32_e32 v23, v53, v22
	v_add_f32_e32 v22, v32, v19
	v_mul_f32_e32 v32, v38, v15
	v_fma_f32 v28, v38, v14, -v18
	ds_read2_b64 v[18:21], v9 offset0:160 offset1:176
	v_mul_f32_e32 v30, v39, v17
	v_mul_f32_e32 v46, v38, v17
	v_fmac_f32_e32 v32, v39, v14
	v_add_f32_e32 v23, v29, v23
	v_add_f32_e32 v3, v3, v28
	v_fma_f32 v38, v38, v16, -v30
	ds_read_b128 v[28:31], v10 offset:1072
	s_waitcnt lgkmcnt(2)
	v_mul_f32_e32 v47, v25, v15
	v_add_f32_e32 v32, v33, v32
	v_mul_f32_e32 v15, v24, v15
	v_add_f32_e32 v33, v34, v38
	v_mul_f32_e32 v38, v25, v17
	v_fmac_f32_e32 v46, v39, v16
	v_fma_f32 v34, v24, v14, -v47
	v_fmac_f32_e32 v15, v25, v14
	v_mul_f32_e32 v39, v24, v17
	v_fma_f32 v14, v24, v16, -v38
	v_add_f32_e32 v36, v36, v46
	v_add_f32_e32 v34, v35, v34
	s_waitcnt lgkmcnt(1)
	v_mul_f32_e32 v17, v41, v19
	v_add_f32_e32 v24, v37, v15
	v_fmac_f32_e32 v39, v25, v16
	v_mul_f32_e32 v25, v40, v19
	v_add_f32_e32 v22, v22, v14
	v_fma_f32 v35, v40, v18, -v17
	ds_read2_b64 v[14:17], v9 offset0:192 offset1:208
	v_mul_f32_e32 v37, v41, v21
	v_fmac_f32_e32 v25, v41, v18
	v_add_f32_e32 v38, v23, v39
	v_add_f32_e32 v3, v3, v35
	v_mul_f32_e32 v23, v40, v21
	v_fma_f32 v35, v40, v20, -v37
	v_add_f32_e32 v32, v32, v25
	v_mul_f32_e32 v25, v27, v19
	v_mul_f32_e32 v19, v26, v19
	v_fmac_f32_e32 v23, v41, v20
	v_add_f32_e32 v33, v33, v35
	v_mul_f32_e32 v35, v27, v21
	v_fma_f32 v25, v26, v18, -v25
	v_fmac_f32_e32 v19, v27, v18
	v_add_f32_e32 v18, v36, v23
	v_mul_f32_e32 v21, v26, v21
	v_fma_f32 v23, v26, v20, -v35
	v_add_f32_e32 v26, v34, v25
	v_add_f32_e32 v19, v24, v19
	s_waitcnt lgkmcnt(0)
	v_mul_f32_e32 v34, v43, v15
	v_fmac_f32_e32 v21, v27, v20
	v_add_f32_e32 v20, v22, v23
	ds_read2_b64 v[22:25], v9 offset0:224 offset1:240
	v_mul_f32_e32 v27, v42, v15
	v_fma_f32 v34, v42, v14, -v34
	v_mul_f32_e32 v35, v43, v17
	v_mul_f32_e32 v36, v42, v17
	v_add_f32_e32 v21, v38, v21
	v_fmac_f32_e32 v27, v43, v14
	v_add_f32_e32 v3, v3, v34
	v_mul_f32_e32 v34, v29, v15
	v_fma_f32 v35, v42, v16, -v35
	v_fmac_f32_e32 v36, v43, v16
	v_add_f32_e32 v27, v32, v27
	v_mul_f32_e32 v15, v28, v15
	v_fma_f32 v32, v28, v14, -v34
	v_mul_f32_e32 v34, v29, v17
	v_add_f32_e32 v33, v33, v35
	v_add_f32_e32 v35, v18, v36
	v_fmac_f32_e32 v15, v29, v14
	v_add_f32_e32 v14, v26, v32
	v_mul_f32_e32 v17, v28, v17
	v_fma_f32 v18, v28, v16, -v34
	s_waitcnt lgkmcnt(0)
	v_mul_f32_e32 v26, v45, v23
	v_mul_f32_e32 v28, v44, v23
	v_add_f32_e32 v15, v19, v15
	v_fmac_f32_e32 v17, v29, v16
	v_add_f32_e32 v29, v20, v18
	v_fma_f32 v16, v44, v22, -v26
	v_mul_f32_e32 v18, v45, v25
	v_mul_f32_e32 v19, v44, v25
	v_add_f32_e32 v26, v21, v17
	v_mul_f32_e32 v17, v30, v23
	v_add_f32_e32 v20, v3, v16
	v_fma_f32 v3, v44, v24, -v18
	v_mul_f32_e32 v16, v31, v23
	v_mul_f32_e32 v23, v31, v25
	;; [unrolled: 1-line block ×3, first 2 shown]
	v_fmac_f32_e32 v28, v45, v22
	v_fmac_f32_e32 v19, v45, v24
	v_add_f32_e32 v18, v33, v3
	v_fma_f32 v3, v30, v22, -v16
	v_fmac_f32_e32 v17, v31, v22
	v_fma_f32 v22, v30, v24, -v23
	v_fmac_f32_e32 v25, v31, v24
	v_add_f32_e32 v21, v27, v28
	v_add_f32_e32 v19, v35, v19
	;; [unrolled: 1-line block ×6, first 2 shown]
	s_barrier
	buffer_gl0_inv
	s_cbranch_scc0 .LBB86_16
.LBB86_8:                               ; =>This Inner Loop Header: Depth=1
	v_add_nc_u32_e32 v3, s26, v11
	v_cmp_le_i32_e32 vcc_lo, s21, v3
	s_or_b32 s6, s1, vcc_lo
	s_and_saveexec_b32 s7, s6
	s_xor_b32 s6, exec_lo, s7
; %bb.9:                                ;   in Loop: Header=BB86_8 Depth=1
	v_mov_b32_e32 v3, v2
	ds_write_b64 v12, v[2:3]
; %bb.10:                               ;   in Loop: Header=BB86_8 Depth=1
	s_andn2_saveexec_b32 s6, s6
	s_cbranch_execz .LBB86_12
; %bb.11:                               ;   in Loop: Header=BB86_8 Depth=1
	global_load_dwordx2 v[22:23], v[4:5], off
	s_waitcnt vmcnt(0)
	ds_write_b64 v12, v[22:23]
.LBB86_12:                              ;   in Loop: Header=BB86_8 Depth=1
	s_or_b32 exec_lo, exec_lo, s6
	v_add_nc_u32_e32 v3, s26, v8
	v_cmp_le_i32_e32 vcc_lo, s21, v3
	s_or_b32 s6, vcc_lo, s0
	s_and_saveexec_b32 s7, s6
	s_xor_b32 s6, exec_lo, s7
; %bb.13:                               ;   in Loop: Header=BB86_8 Depth=1
	ds_write_b32 v13, v2
; %bb.14:                               ;   in Loop: Header=BB86_8 Depth=1
	s_or_saveexec_b32 s6, s6
	v_mov_b32_e32 v3, 0
	s_xor_b32 exec_lo, exec_lo, s6
	s_cbranch_execz .LBB86_7
; %bb.15:                               ;   in Loop: Header=BB86_8 Depth=1
	global_load_dwordx2 v[22:23], v[6:7], off offset:-4
	s_waitcnt vmcnt(0)
	v_xor_b32_e32 v3, 0x80000000, v23
	ds_write_b32 v13, v22
	s_branch .LBB86_7
.LBB86_16:
	s_clause 0x1
	s_load_dword s3, s[4:5], 0x50
	s_load_dwordx2 s[0:1], s[4:5], 0x58
	v_add_nc_u32_e32 v9, s25, v1
	v_add_nc_u32_e32 v0, s24, v0
	v_cmp_neq_f32_e64 s2, s10, 0
	v_cmp_le_i32_e32 vcc_lo, v9, v0
	s_waitcnt lgkmcnt(0)
	v_mad_i64_i32 v[1:2], null, v9, s3, 0
	s_mul_i32 s1, s1, s8
	s_mul_hi_u32 s5, s0, s8
	s_mul_i32 s4, s0, s8
	s_add_i32 s5, s5, s1
	v_cmp_gt_i32_e64 s0, s20, v0
	s_lshl_b64 s[4:5], s[4:5], 3
	v_lshlrev_b64 v[2:3], 3, v[1:2]
	s_add_u32 s4, s22, s4
	s_addc_u32 s5, s23, s5
	s_xor_b32 s6, s9, -1
	v_ashrrev_i32_e32 v1, 31, v0
	s_or_b32 s2, s2, s6
	v_add_co_u32 v6, s1, s4, v2
	v_add_co_ci_u32_e64 v7, null, s5, v3, s1
	v_cndmask_b32_e64 v8, 0, 1, s2
	s_and_b32 s6, vcc_lo, s0
	s_and_saveexec_b32 s1, s6
	s_cbranch_execz .LBB86_20
; %bb.17:
	v_lshlrev_b64 v[4:5], 3, v[0:1]
	v_mul_f32_e32 v2, s15, v21
	v_mul_f32_e32 v3, s14, v21
	v_fma_f32 v2, v20, s14, -v2
	v_add_co_u32 v4, vcc_lo, v6, v4
	v_fmac_f32_e32 v3, s15, v20
	v_add_co_ci_u32_e64 v5, null, v7, v5, vcc_lo
	s_andn2_b32 vcc_lo, exec_lo, s2
	s_cbranch_vccnz .LBB86_19
; %bb.18:
	global_load_dwordx2 v[10:11], v[4:5], off
	s_waitcnt vmcnt(0)
	v_mul_f32_e32 v12, s11, v11
	v_mul_f32_e32 v11, s10, v11
	v_fma_f32 v12, v10, s10, -v12
	v_fmac_f32_e32 v11, s11, v10
	v_add_f32_e32 v2, v2, v12
	v_add_f32_e32 v3, v3, v11
.LBB86_19:
	global_store_dwordx2 v[4:5], v[2:3], off
.LBB86_20:
	s_or_b32 exec_lo, exec_lo, s1
	v_add_nc_u32_e32 v2, 16, v0
	v_cmp_le_i32_e32 vcc_lo, v9, v2
	v_cmp_gt_i32_e64 s1, s20, v2
	v_ashrrev_i32_e32 v3, 31, v2
	s_and_b32 s2, vcc_lo, s1
	s_and_saveexec_b32 s6, s2
	s_cbranch_execz .LBB86_24
; %bb.21:
	v_lshlrev_b64 v[10:11], 3, v[2:3]
	v_mul_f32_e32 v4, s15, v19
	v_mul_f32_e32 v5, s14, v19
	v_cmp_ne_u32_e32 vcc_lo, 1, v8
	v_fma_f32 v4, v18, s14, -v4
	v_add_co_u32 v6, s2, v6, v10
	v_fmac_f32_e32 v5, s15, v18
	v_add_co_ci_u32_e64 v7, null, v7, v11, s2
	s_cbranch_vccnz .LBB86_23
; %bb.22:
	global_load_dwordx2 v[10:11], v[6:7], off
	s_waitcnt vmcnt(0)
	v_mul_f32_e32 v12, s11, v11
	v_mul_f32_e32 v11, s10, v11
	v_fma_f32 v12, v10, s10, -v12
	v_fmac_f32_e32 v11, s11, v10
	v_add_f32_e32 v4, v4, v12
	v_add_f32_e32 v5, v5, v11
.LBB86_23:
	global_store_dwordx2 v[6:7], v[4:5], off
.LBB86_24:
	s_or_b32 exec_lo, exec_lo, s6
	v_add_nc_u32_e32 v9, 16, v9
	v_mad_i64_i32 v[4:5], null, v9, s3, 0
	v_cmp_le_i32_e32 vcc_lo, v9, v0
	s_and_b32 s0, vcc_lo, s0
	v_lshlrev_b64 v[4:5], 3, v[4:5]
	v_add_co_u32 v6, s2, s4, v4
	v_add_co_ci_u32_e64 v7, null, s5, v5, s2
	s_and_saveexec_b32 s2, s0
	s_cbranch_execz .LBB86_28
; %bb.25:
	v_lshlrev_b64 v[0:1], 3, v[0:1]
	v_mul_f32_e32 v4, s15, v17
	v_mul_f32_e32 v5, s14, v17
	v_cmp_ne_u32_e32 vcc_lo, 1, v8
	v_fma_f32 v4, v16, s14, -v4
	v_add_co_u32 v0, s0, v6, v0
	v_fmac_f32_e32 v5, s15, v16
	v_add_co_ci_u32_e64 v1, null, v7, v1, s0
	s_cbranch_vccnz .LBB86_27
; %bb.26:
	global_load_dwordx2 v[10:11], v[0:1], off
	s_waitcnt vmcnt(0)
	v_mul_f32_e32 v12, s11, v11
	v_mul_f32_e32 v11, s10, v11
	v_fma_f32 v12, v10, s10, -v12
	v_fmac_f32_e32 v11, s11, v10
	v_add_f32_e32 v4, v4, v12
	v_add_f32_e32 v5, v5, v11
.LBB86_27:
	global_store_dwordx2 v[0:1], v[4:5], off
.LBB86_28:
	s_or_b32 exec_lo, exec_lo, s2
	v_cmp_le_i32_e32 vcc_lo, v9, v2
	s_and_b32 s0, vcc_lo, s1
	s_and_saveexec_b32 s1, s0
	s_cbranch_execz .LBB86_32
; %bb.29:
	v_lshlrev_b64 v[2:3], 3, v[2:3]
	v_mul_f32_e32 v0, s15, v15
	v_mul_f32_e32 v1, s14, v15
	v_cmp_ne_u32_e32 vcc_lo, 1, v8
	v_fma_f32 v0, v14, s14, -v0
	v_add_co_u32 v2, s0, v6, v2
	v_fmac_f32_e32 v1, s15, v14
	v_add_co_ci_u32_e64 v3, null, v7, v3, s0
	s_cbranch_vccnz .LBB86_31
; %bb.30:
	global_load_dwordx2 v[4:5], v[2:3], off
	s_waitcnt vmcnt(0)
	v_mul_f32_e32 v6, s11, v5
	v_mul_f32_e32 v5, s10, v5
	v_fma_f32 v6, v4, s10, -v6
	v_fmac_f32_e32 v5, s11, v4
	v_add_f32_e32 v0, v0, v6
	v_add_f32_e32 v1, v1, v5
.LBB86_31:
	global_store_dwordx2 v[2:3], v[0:1], off
.LBB86_32:
	s_endpgm
	.section	.rodata,"a",@progbits
	.p2align	6, 0x0
	.amdhsa_kernel _ZL29rocblas_internal_gemmt_kernelIiLi16ELi32ELi8ELc84ELc67ELc76ELb0ELb1E19rocblas_complex_numIfEPKS1_S3_PS1_EviT_T9_T10_S5_lS7_S5_lS6_T11_S5_li
		.amdhsa_group_segment_fixed_size 4096
		.amdhsa_private_segment_fixed_size 0
		.amdhsa_kernarg_size 100
		.amdhsa_user_sgpr_count 6
		.amdhsa_user_sgpr_private_segment_buffer 1
		.amdhsa_user_sgpr_dispatch_ptr 0
		.amdhsa_user_sgpr_queue_ptr 0
		.amdhsa_user_sgpr_kernarg_segment_ptr 1
		.amdhsa_user_sgpr_dispatch_id 0
		.amdhsa_user_sgpr_flat_scratch_init 0
		.amdhsa_user_sgpr_private_segment_size 0
		.amdhsa_wavefront_size32 1
		.amdhsa_uses_dynamic_stack 0
		.amdhsa_system_sgpr_private_segment_wavefront_offset 0
		.amdhsa_system_sgpr_workgroup_id_x 1
		.amdhsa_system_sgpr_workgroup_id_y 1
		.amdhsa_system_sgpr_workgroup_id_z 1
		.amdhsa_system_sgpr_workgroup_info 0
		.amdhsa_system_vgpr_workitem_id 1
		.amdhsa_next_free_vgpr 59
		.amdhsa_next_free_sgpr 28
		.amdhsa_reserve_vcc 1
		.amdhsa_reserve_flat_scratch 0
		.amdhsa_float_round_mode_32 0
		.amdhsa_float_round_mode_16_64 0
		.amdhsa_float_denorm_mode_32 3
		.amdhsa_float_denorm_mode_16_64 3
		.amdhsa_dx10_clamp 1
		.amdhsa_ieee_mode 1
		.amdhsa_fp16_overflow 0
		.amdhsa_workgroup_processor_mode 1
		.amdhsa_memory_ordered 1
		.amdhsa_forward_progress 1
		.amdhsa_shared_vgpr_count 0
		.amdhsa_exception_fp_ieee_invalid_op 0
		.amdhsa_exception_fp_denorm_src 0
		.amdhsa_exception_fp_ieee_div_zero 0
		.amdhsa_exception_fp_ieee_overflow 0
		.amdhsa_exception_fp_ieee_underflow 0
		.amdhsa_exception_fp_ieee_inexact 0
		.amdhsa_exception_int_div_zero 0
	.end_amdhsa_kernel
	.section	.text._ZL29rocblas_internal_gemmt_kernelIiLi16ELi32ELi8ELc84ELc67ELc76ELb0ELb1E19rocblas_complex_numIfEPKS1_S3_PS1_EviT_T9_T10_S5_lS7_S5_lS6_T11_S5_li,"axG",@progbits,_ZL29rocblas_internal_gemmt_kernelIiLi16ELi32ELi8ELc84ELc67ELc76ELb0ELb1E19rocblas_complex_numIfEPKS1_S3_PS1_EviT_T9_T10_S5_lS7_S5_lS6_T11_S5_li,comdat
.Lfunc_end86:
	.size	_ZL29rocblas_internal_gemmt_kernelIiLi16ELi32ELi8ELc84ELc67ELc76ELb0ELb1E19rocblas_complex_numIfEPKS1_S3_PS1_EviT_T9_T10_S5_lS7_S5_lS6_T11_S5_li, .Lfunc_end86-_ZL29rocblas_internal_gemmt_kernelIiLi16ELi32ELi8ELc84ELc67ELc76ELb0ELb1E19rocblas_complex_numIfEPKS1_S3_PS1_EviT_T9_T10_S5_lS7_S5_lS6_T11_S5_li
                                        ; -- End function
	.set _ZL29rocblas_internal_gemmt_kernelIiLi16ELi32ELi8ELc84ELc67ELc76ELb0ELb1E19rocblas_complex_numIfEPKS1_S3_PS1_EviT_T9_T10_S5_lS7_S5_lS6_T11_S5_li.num_vgpr, 59
	.set _ZL29rocblas_internal_gemmt_kernelIiLi16ELi32ELi8ELc84ELc67ELc76ELb0ELb1E19rocblas_complex_numIfEPKS1_S3_PS1_EviT_T9_T10_S5_lS7_S5_lS6_T11_S5_li.num_agpr, 0
	.set _ZL29rocblas_internal_gemmt_kernelIiLi16ELi32ELi8ELc84ELc67ELc76ELb0ELb1E19rocblas_complex_numIfEPKS1_S3_PS1_EviT_T9_T10_S5_lS7_S5_lS6_T11_S5_li.numbered_sgpr, 28
	.set _ZL29rocblas_internal_gemmt_kernelIiLi16ELi32ELi8ELc84ELc67ELc76ELb0ELb1E19rocblas_complex_numIfEPKS1_S3_PS1_EviT_T9_T10_S5_lS7_S5_lS6_T11_S5_li.num_named_barrier, 0
	.set _ZL29rocblas_internal_gemmt_kernelIiLi16ELi32ELi8ELc84ELc67ELc76ELb0ELb1E19rocblas_complex_numIfEPKS1_S3_PS1_EviT_T9_T10_S5_lS7_S5_lS6_T11_S5_li.private_seg_size, 0
	.set _ZL29rocblas_internal_gemmt_kernelIiLi16ELi32ELi8ELc84ELc67ELc76ELb0ELb1E19rocblas_complex_numIfEPKS1_S3_PS1_EviT_T9_T10_S5_lS7_S5_lS6_T11_S5_li.uses_vcc, 1
	.set _ZL29rocblas_internal_gemmt_kernelIiLi16ELi32ELi8ELc84ELc67ELc76ELb0ELb1E19rocblas_complex_numIfEPKS1_S3_PS1_EviT_T9_T10_S5_lS7_S5_lS6_T11_S5_li.uses_flat_scratch, 0
	.set _ZL29rocblas_internal_gemmt_kernelIiLi16ELi32ELi8ELc84ELc67ELc76ELb0ELb1E19rocblas_complex_numIfEPKS1_S3_PS1_EviT_T9_T10_S5_lS7_S5_lS6_T11_S5_li.has_dyn_sized_stack, 0
	.set _ZL29rocblas_internal_gemmt_kernelIiLi16ELi32ELi8ELc84ELc67ELc76ELb0ELb1E19rocblas_complex_numIfEPKS1_S3_PS1_EviT_T9_T10_S5_lS7_S5_lS6_T11_S5_li.has_recursion, 0
	.set _ZL29rocblas_internal_gemmt_kernelIiLi16ELi32ELi8ELc84ELc67ELc76ELb0ELb1E19rocblas_complex_numIfEPKS1_S3_PS1_EviT_T9_T10_S5_lS7_S5_lS6_T11_S5_li.has_indirect_call, 0
	.section	.AMDGPU.csdata,"",@progbits
; Kernel info:
; codeLenInByte = 2560
; TotalNumSgprs: 30
; NumVgprs: 59
; ScratchSize: 0
; MemoryBound: 1
; FloatMode: 240
; IeeeMode: 1
; LDSByteSize: 4096 bytes/workgroup (compile time only)
; SGPRBlocks: 0
; VGPRBlocks: 7
; NumSGPRsForWavesPerEU: 30
; NumVGPRsForWavesPerEU: 59
; Occupancy: 16
; WaveLimiterHint : 0
; COMPUTE_PGM_RSRC2:SCRATCH_EN: 0
; COMPUTE_PGM_RSRC2:USER_SGPR: 6
; COMPUTE_PGM_RSRC2:TRAP_HANDLER: 0
; COMPUTE_PGM_RSRC2:TGID_X_EN: 1
; COMPUTE_PGM_RSRC2:TGID_Y_EN: 1
; COMPUTE_PGM_RSRC2:TGID_Z_EN: 1
; COMPUTE_PGM_RSRC2:TIDIG_COMP_CNT: 1
	.section	.text._ZL29rocblas_internal_gemmt_kernelIiLi16ELi32ELi8ELc67ELc78ELc76ELb1ELb0E19rocblas_complex_numIfEPKS1_S3_PS1_EviT_T9_T10_S5_lS7_S5_lS6_T11_S5_li,"axG",@progbits,_ZL29rocblas_internal_gemmt_kernelIiLi16ELi32ELi8ELc67ELc78ELc76ELb1ELb0E19rocblas_complex_numIfEPKS1_S3_PS1_EviT_T9_T10_S5_lS7_S5_lS6_T11_S5_li,comdat
	.globl	_ZL29rocblas_internal_gemmt_kernelIiLi16ELi32ELi8ELc67ELc78ELc76ELb1ELb0E19rocblas_complex_numIfEPKS1_S3_PS1_EviT_T9_T10_S5_lS7_S5_lS6_T11_S5_li ; -- Begin function _ZL29rocblas_internal_gemmt_kernelIiLi16ELi32ELi8ELc67ELc78ELc76ELb1ELb0E19rocblas_complex_numIfEPKS1_S3_PS1_EviT_T9_T10_S5_lS7_S5_lS6_T11_S5_li
	.p2align	8
	.type	_ZL29rocblas_internal_gemmt_kernelIiLi16ELi32ELi8ELc67ELc78ELc76ELb1ELb0E19rocblas_complex_numIfEPKS1_S3_PS1_EviT_T9_T10_S5_lS7_S5_lS6_T11_S5_li,@function
_ZL29rocblas_internal_gemmt_kernelIiLi16ELi32ELi8ELc67ELc78ELc76ELb1ELb0E19rocblas_complex_numIfEPKS1_S3_PS1_EviT_T9_T10_S5_lS7_S5_lS6_T11_S5_li: ; @_ZL29rocblas_internal_gemmt_kernelIiLi16ELi32ELi8ELc67ELc78ELc76ELb1ELb0E19rocblas_complex_numIfEPKS1_S3_PS1_EviT_T9_T10_S5_lS7_S5_lS6_T11_S5_li
; %bb.0:
	s_clause 0x1
	s_load_dwordx4 s[12:15], s[4:5], 0x38
	s_load_dwordx4 s[0:3], s[4:5], 0x8
	s_waitcnt lgkmcnt(0)
	s_load_dwordx2 s[10:11], s[14:15], 0x0
	s_load_dwordx2 s[20:21], s[4:5], 0x0
	;; [unrolled: 1-line block ×3, first 2 shown]
	s_waitcnt lgkmcnt(0)
	s_and_b32 s0, s11, 0x7fffffff
	v_cmp_eq_f32_e64 s1, s10, 1.0
	s_cmp_eq_u32 s0, 0
	s_mov_b32 s0, 0
	s_cselect_b32 s9, -1, 0
	s_and_b32 s1, s1, s9
	s_andn2_b32 vcc_lo, exec_lo, s1
	s_mov_b32 s1, -1
	s_cbranch_vccnz .LBB87_4
; %bb.1:
	s_cmp_lg_u32 s21, 0
	s_cbranch_scc0 .LBB87_3
; %bb.2:
	v_cmp_neq_f32_e64 s0, s14, 0
	v_cmp_neq_f32_e64 s1, s15, 0
	s_or_b32 s0, s0, s1
.LBB87_3:
	s_mov_b32 s1, s0
.LBB87_4:
	s_and_b32 vcc_lo, exec_lo, s1
	s_cbranch_vccz .LBB87_32
; %bb.5:
	s_load_dwordx2 s[22:23], s[4:5], 0x48
	v_cmp_eq_f32_e64 s0, s14, 0
	v_cmp_eq_f32_e64 s1, s15, 0
	s_lshl_b32 s6, s6, 5
	s_lshl_b32 s7, s7, 5
	v_mov_b32_e32 v20, 0
	v_mov_b32_e32 v21, 0
	s_and_b32 s0, s0, s1
	s_cmp_lt_i32 s21, 1
	v_mov_b32_e32 v18, 0
	s_cselect_b32 s1, -1, 0
	v_mov_b32_e32 v19, 0
	v_mov_b32_e32 v16, 0
	;; [unrolled: 1-line block ×5, first 2 shown]
	s_or_b32 s0, s0, s1
	s_mov_b32 s24, 0
	s_and_b32 vcc_lo, exec_lo, s0
	s_cbranch_vccnz .LBB87_16
; %bb.6:
	s_load_dword s0, s[4:5], 0x18
	v_lshl_add_u32 v2, v1, 4, v0
	s_clause 0x1
	s_load_dwordx4 s[16:19], s[4:5], 0x20
	s_load_dword s1, s[4:5], 0x30
	v_and_b32_e32 v8, 7, v0
	v_lshlrev_b32_e32 v9, 3, v0
	v_lshl_add_u32 v10, v1, 6, 0x800
	v_and_b32_e32 v4, 31, v2
	v_lshrrev_b32_e32 v3, 3, v2
	v_lshrrev_b32_e32 v11, 5, v2
	v_lshlrev_b32_e32 v6, 3, v8
	v_mov_b32_e32 v17, 0
	v_add_nc_u32_e32 v2, s6, v4
	v_add_nc_u32_e32 v5, s7, v3
	v_or_b32_e32 v7, s6, v4
	v_lshl_or_b32 v13, v3, 6, v6
	v_lshlrev_b32_e32 v4, 3, v4
	v_lshlrev_b32_e32 v14, 3, v11
	v_mov_b32_e32 v16, 0
	v_cmp_gt_i32_e32 vcc_lo, s20, v7
	v_add_nc_u32_e32 v13, 0x800, v13
	s_waitcnt lgkmcnt(0)
	v_mad_i64_i32 v[2:3], null, s0, v2, 0
	v_lshl_or_b32 v12, v11, 8, v4
	v_cmp_gt_i32_e64 s0, s20, v5
	s_mul_i32 s17, s17, s8
	s_mul_hi_u32 s25, s16, s8
	v_mad_i64_i32 v[4:5], null, s1, v5, 0
	v_lshlrev_b64 v[2:3], 3, v[2:3]
	s_mul_i32 s16, s16, s8
	s_add_i32 s17, s25, s17
	v_mov_b32_e32 v19, 0
	s_lshl_b64 s[16:17], s[16:17], 3
	v_mov_b32_e32 v18, 0
	v_add_co_u32 v7, s1, v2, s16
	v_add_co_ci_u32_e64 v15, null, s17, v3, s1
	s_mul_i32 s1, s13, s8
	s_mul_hi_u32 s13, s12, s8
	v_lshlrev_b64 v[3:4], 3, v[4:5]
	s_add_i32 s13, s13, s1
	s_mul_i32 s12, s12, s8
	v_add_co_u32 v5, s1, v7, v14
	s_lshl_b64 s[12:13], s[12:13], 3
	v_add_co_ci_u32_e64 v7, null, 0, v15, s1
	v_add_co_u32 v3, s1, v3, s12
	v_add_co_ci_u32_e64 v4, null, s13, v4, s1
	v_add_co_u32 v5, s1, s2, v5
	;; [unrolled: 2-line block ×5, first 2 shown]
	v_mov_b32_e32 v2, 0
	v_add_co_ci_u32_e64 v7, null, s19, v14, s1
	v_mov_b32_e32 v15, 0
	v_mov_b32_e32 v14, 0
	;; [unrolled: 1-line block ×4, first 2 shown]
	s_xor_b32 s1, vcc_lo, -1
	s_xor_b32 s0, s0, -1
	s_branch .LBB87_8
.LBB87_7:                               ;   in Loop: Header=BB87_8 Depth=1
	s_or_b32 exec_lo, exec_lo, s2
	s_waitcnt lgkmcnt(0)
	s_barrier
	buffer_gl0_inv
	ds_read_b128 v[22:25], v10
	ds_read2_b64 v[26:29], v9 offset1:16
	ds_read_b128 v[30:33], v10 offset:1024
	ds_read_b128 v[34:37], v10 offset:16
	ds_read_b128 v[38:41], v10 offset:32
	ds_read_b128 v[42:45], v10 offset:48
	ds_read2_b64 v[46:49], v9 offset0:32 offset1:48
	ds_read_b128 v[50:53], v10 offset:1040
	v_add_co_u32 v4, vcc_lo, v4, 64
	v_add_co_ci_u32_e64 v5, null, 0, v5, vcc_lo
	v_add_co_u32 v6, vcc_lo, v6, 64
	v_add_co_ci_u32_e64 v7, null, 0, v7, vcc_lo
	s_add_i32 s24, s24, 8
	s_cmp_lt_i32 s24, s21
	s_waitcnt lgkmcnt(6)
	v_mul_f32_e32 v3, v23, v27
	v_mul_f32_e32 v54, v22, v27
	;; [unrolled: 1-line block ×4, first 2 shown]
	s_waitcnt lgkmcnt(5)
	v_mul_f32_e32 v57, v31, v27
	v_mul_f32_e32 v27, v30, v27
	;; [unrolled: 1-line block ×3, first 2 shown]
	v_fma_f32 v3, v22, v26, -v3
	v_fmac_f32_e32 v54, v23, v26
	v_fma_f32 v22, v22, v28, -v55
	v_fmac_f32_e32 v56, v23, v28
	v_fma_f32 v23, v30, v26, -v57
	v_fmac_f32_e32 v27, v31, v26
	v_mul_f32_e32 v29, v30, v29
	v_fma_f32 v26, v30, v28, -v58
	v_add_f32_e32 v3, v20, v3
	v_add_f32_e32 v20, v21, v54
	;; [unrolled: 1-line block ×6, first 2 shown]
	s_waitcnt lgkmcnt(1)
	v_mul_f32_e32 v30, v25, v47
	ds_read2_b64 v[16:19], v9 offset0:64 offset1:80
	v_fmac_f32_e32 v29, v31, v28
	v_add_f32_e32 v14, v14, v26
	v_mul_f32_e32 v26, v24, v47
	v_fma_f32 v28, v24, v46, -v30
	v_mul_f32_e32 v30, v25, v49
	v_add_f32_e32 v15, v15, v29
	v_mul_f32_e32 v29, v24, v49
	v_fmac_f32_e32 v26, v25, v46
	v_add_f32_e32 v3, v3, v28
	v_fma_f32 v24, v24, v48, -v30
	v_mul_f32_e32 v28, v33, v47
	v_fmac_f32_e32 v29, v25, v48
	v_add_f32_e32 v26, v20, v26
	v_mul_f32_e32 v20, v32, v47
	v_add_f32_e32 v24, v21, v24
	v_fma_f32 v21, v32, v46, -v28
	v_mul_f32_e32 v25, v33, v49
	v_add_f32_e32 v28, v22, v29
	v_fmac_f32_e32 v20, v33, v46
	v_mul_f32_e32 v29, v32, v49
	v_add_f32_e32 v30, v23, v21
	v_fma_f32 v21, v32, v48, -v25
	s_waitcnt lgkmcnt(0)
	v_mul_f32_e32 v22, v35, v17
	v_add_f32_e32 v25, v27, v20
	v_fmac_f32_e32 v29, v33, v48
	v_mul_f32_e32 v27, v34, v17
	v_add_f32_e32 v14, v14, v21
	v_fma_f32 v31, v34, v16, -v22
	v_mul_f32_e32 v32, v35, v19
	ds_read2_b64 v[20:23], v9 offset0:96 offset1:112
	v_fmac_f32_e32 v27, v35, v16
	v_add_f32_e32 v29, v15, v29
	v_add_f32_e32 v3, v3, v31
	v_mul_f32_e32 v15, v34, v19
	v_fma_f32 v31, v34, v18, -v32
	v_add_f32_e32 v26, v26, v27
	v_mul_f32_e32 v27, v51, v17
	v_mul_f32_e32 v17, v50, v17
	v_fmac_f32_e32 v15, v35, v18
	v_add_f32_e32 v24, v24, v31
	v_mul_f32_e32 v31, v51, v19
	v_mul_f32_e32 v19, v50, v19
	v_fmac_f32_e32 v17, v51, v16
	v_add_f32_e32 v28, v28, v15
	v_fma_f32 v27, v50, v16, -v27
	v_fma_f32 v15, v50, v18, -v31
	v_fmac_f32_e32 v19, v51, v18
	v_add_f32_e32 v31, v25, v17
	s_waitcnt lgkmcnt(0)
	v_mul_f32_e32 v18, v37, v21
	v_add_f32_e32 v32, v14, v15
	ds_read2_b64 v[14:17], v9 offset0:128 offset1:144
	v_add_f32_e32 v30, v30, v27
	v_mul_f32_e32 v25, v36, v21
	v_fma_f32 v18, v36, v20, -v18
	v_mul_f32_e32 v27, v37, v23
	v_add_f32_e32 v29, v29, v19
	v_mul_f32_e32 v19, v36, v23
	v_fmac_f32_e32 v25, v37, v20
	v_add_f32_e32 v3, v3, v18
	v_mul_f32_e32 v18, v53, v21
	v_fma_f32 v27, v36, v22, -v27
	v_fmac_f32_e32 v19, v37, v22
	v_mul_f32_e32 v21, v52, v21
	v_mul_f32_e32 v35, v53, v23
	v_fma_f32 v18, v52, v20, -v18
	v_add_f32_e32 v33, v26, v25
	v_add_f32_e32 v34, v24, v27
	ds_read_b128 v[24:27], v10 offset:1056
	v_add_f32_e32 v36, v28, v19
	v_fmac_f32_e32 v21, v53, v20
	v_mul_f32_e32 v23, v52, v23
	v_fma_f32 v19, v52, v22, -v35
	v_add_f32_e32 v35, v30, v18
	s_waitcnt lgkmcnt(1)
	v_mul_f32_e32 v18, v39, v15
	v_add_f32_e32 v37, v31, v21
	v_fmac_f32_e32 v23, v53, v22
	v_add_f32_e32 v22, v32, v19
	v_mul_f32_e32 v32, v38, v15
	v_fma_f32 v28, v38, v14, -v18
	ds_read2_b64 v[18:21], v9 offset0:160 offset1:176
	v_mul_f32_e32 v30, v39, v17
	v_mul_f32_e32 v46, v38, v17
	v_fmac_f32_e32 v32, v39, v14
	v_add_f32_e32 v23, v29, v23
	v_add_f32_e32 v3, v3, v28
	v_fma_f32 v38, v38, v16, -v30
	ds_read_b128 v[28:31], v10 offset:1072
	s_waitcnt lgkmcnt(2)
	v_mul_f32_e32 v47, v25, v15
	v_add_f32_e32 v32, v33, v32
	v_mul_f32_e32 v15, v24, v15
	v_add_f32_e32 v33, v34, v38
	v_mul_f32_e32 v38, v25, v17
	v_fmac_f32_e32 v46, v39, v16
	v_fma_f32 v34, v24, v14, -v47
	v_fmac_f32_e32 v15, v25, v14
	v_mul_f32_e32 v39, v24, v17
	v_fma_f32 v14, v24, v16, -v38
	v_add_f32_e32 v36, v36, v46
	v_add_f32_e32 v34, v35, v34
	s_waitcnt lgkmcnt(1)
	v_mul_f32_e32 v17, v41, v19
	v_add_f32_e32 v24, v37, v15
	v_fmac_f32_e32 v39, v25, v16
	v_mul_f32_e32 v25, v40, v19
	v_add_f32_e32 v22, v22, v14
	v_fma_f32 v35, v40, v18, -v17
	ds_read2_b64 v[14:17], v9 offset0:192 offset1:208
	v_mul_f32_e32 v37, v41, v21
	v_fmac_f32_e32 v25, v41, v18
	v_add_f32_e32 v38, v23, v39
	v_add_f32_e32 v3, v3, v35
	v_mul_f32_e32 v23, v40, v21
	v_fma_f32 v35, v40, v20, -v37
	v_add_f32_e32 v32, v32, v25
	v_mul_f32_e32 v25, v27, v19
	v_mul_f32_e32 v19, v26, v19
	v_fmac_f32_e32 v23, v41, v20
	v_add_f32_e32 v33, v33, v35
	v_mul_f32_e32 v35, v27, v21
	v_fma_f32 v25, v26, v18, -v25
	v_fmac_f32_e32 v19, v27, v18
	v_add_f32_e32 v18, v36, v23
	v_mul_f32_e32 v21, v26, v21
	v_fma_f32 v23, v26, v20, -v35
	v_add_f32_e32 v26, v34, v25
	v_add_f32_e32 v19, v24, v19
	s_waitcnt lgkmcnt(0)
	v_mul_f32_e32 v34, v43, v15
	v_fmac_f32_e32 v21, v27, v20
	v_add_f32_e32 v20, v22, v23
	ds_read2_b64 v[22:25], v9 offset0:224 offset1:240
	v_mul_f32_e32 v27, v42, v15
	v_fma_f32 v34, v42, v14, -v34
	v_mul_f32_e32 v35, v43, v17
	v_mul_f32_e32 v36, v42, v17
	v_add_f32_e32 v21, v38, v21
	v_fmac_f32_e32 v27, v43, v14
	v_add_f32_e32 v3, v3, v34
	v_mul_f32_e32 v34, v29, v15
	v_fma_f32 v35, v42, v16, -v35
	v_fmac_f32_e32 v36, v43, v16
	v_add_f32_e32 v27, v32, v27
	v_mul_f32_e32 v15, v28, v15
	v_fma_f32 v32, v28, v14, -v34
	v_mul_f32_e32 v34, v29, v17
	v_add_f32_e32 v33, v33, v35
	v_add_f32_e32 v35, v18, v36
	v_fmac_f32_e32 v15, v29, v14
	v_add_f32_e32 v14, v26, v32
	v_mul_f32_e32 v17, v28, v17
	v_fma_f32 v18, v28, v16, -v34
	s_waitcnt lgkmcnt(0)
	v_mul_f32_e32 v26, v45, v23
	v_mul_f32_e32 v28, v44, v23
	v_add_f32_e32 v15, v19, v15
	v_fmac_f32_e32 v17, v29, v16
	v_add_f32_e32 v29, v20, v18
	v_fma_f32 v16, v44, v22, -v26
	v_mul_f32_e32 v18, v45, v25
	v_mul_f32_e32 v19, v44, v25
	v_add_f32_e32 v26, v21, v17
	v_mul_f32_e32 v17, v30, v23
	v_add_f32_e32 v20, v3, v16
	v_fma_f32 v3, v44, v24, -v18
	v_mul_f32_e32 v16, v31, v23
	v_mul_f32_e32 v23, v31, v25
	;; [unrolled: 1-line block ×3, first 2 shown]
	v_fmac_f32_e32 v28, v45, v22
	v_fmac_f32_e32 v19, v45, v24
	v_add_f32_e32 v18, v33, v3
	v_fma_f32 v3, v30, v22, -v16
	v_fmac_f32_e32 v17, v31, v22
	v_fma_f32 v22, v30, v24, -v23
	v_fmac_f32_e32 v25, v31, v24
	v_add_f32_e32 v21, v27, v28
	v_add_f32_e32 v19, v35, v19
	;; [unrolled: 1-line block ×6, first 2 shown]
	s_barrier
	buffer_gl0_inv
	s_cbranch_scc0 .LBB87_16
.LBB87_8:                               ; =>This Inner Loop Header: Depth=1
	v_add_nc_u32_e32 v3, s24, v11
	v_cmp_le_i32_e32 vcc_lo, s21, v3
	s_or_b32 s2, s1, vcc_lo
	s_and_saveexec_b32 s3, s2
	s_xor_b32 s2, exec_lo, s3
; %bb.9:                                ;   in Loop: Header=BB87_8 Depth=1
	ds_write_b32 v12, v2
; %bb.10:                               ;   in Loop: Header=BB87_8 Depth=1
	s_or_saveexec_b32 s2, s2
	v_mov_b32_e32 v3, 0
	s_xor_b32 exec_lo, exec_lo, s2
	s_cbranch_execz .LBB87_12
; %bb.11:                               ;   in Loop: Header=BB87_8 Depth=1
	global_load_dwordx2 v[22:23], v[4:5], off offset:-4
	s_waitcnt vmcnt(0)
	v_xor_b32_e32 v3, 0x80000000, v23
	ds_write_b32 v12, v22
.LBB87_12:                              ;   in Loop: Header=BB87_8 Depth=1
	s_or_b32 exec_lo, exec_lo, s2
	v_add_nc_u32_e32 v22, s24, v8
	ds_write_b32 v12, v3 offset:4
	v_cmp_le_i32_e32 vcc_lo, s21, v22
	s_or_b32 s2, vcc_lo, s0
	s_and_saveexec_b32 s3, s2
	s_xor_b32 s2, exec_lo, s3
; %bb.13:                               ;   in Loop: Header=BB87_8 Depth=1
	v_mov_b32_e32 v3, v2
	ds_write_b64 v13, v[2:3]
; %bb.14:                               ;   in Loop: Header=BB87_8 Depth=1
	s_andn2_saveexec_b32 s2, s2
	s_cbranch_execz .LBB87_7
; %bb.15:                               ;   in Loop: Header=BB87_8 Depth=1
	global_load_dwordx2 v[22:23], v[6:7], off
	s_waitcnt vmcnt(0)
	ds_write_b64 v13, v[22:23]
	s_branch .LBB87_7
.LBB87_16:
	s_clause 0x1
	s_load_dword s3, s[4:5], 0x50
	s_load_dwordx2 s[0:1], s[4:5], 0x58
	v_add_nc_u32_e32 v9, s7, v1
	v_add_nc_u32_e32 v0, s6, v0
	v_cmp_neq_f32_e64 s2, s10, 0
	v_cmp_le_i32_e32 vcc_lo, v9, v0
	s_waitcnt lgkmcnt(0)
	v_mad_i64_i32 v[1:2], null, v9, s3, 0
	s_mul_i32 s1, s1, s8
	s_mul_hi_u32 s5, s0, s8
	s_mul_i32 s4, s0, s8
	s_add_i32 s5, s5, s1
	v_cmp_gt_i32_e64 s0, s20, v0
	s_lshl_b64 s[4:5], s[4:5], 3
	v_lshlrev_b64 v[2:3], 3, v[1:2]
	s_add_u32 s4, s22, s4
	s_addc_u32 s5, s23, s5
	s_xor_b32 s6, s9, -1
	v_ashrrev_i32_e32 v1, 31, v0
	s_or_b32 s2, s2, s6
	v_add_co_u32 v6, s1, s4, v2
	v_add_co_ci_u32_e64 v7, null, s5, v3, s1
	v_cndmask_b32_e64 v8, 0, 1, s2
	s_and_b32 s6, vcc_lo, s0
	s_and_saveexec_b32 s1, s6
	s_cbranch_execz .LBB87_20
; %bb.17:
	v_lshlrev_b64 v[4:5], 3, v[0:1]
	v_mul_f32_e32 v2, s15, v21
	v_mul_f32_e32 v3, s14, v21
	v_fma_f32 v2, v20, s14, -v2
	v_add_co_u32 v4, vcc_lo, v6, v4
	v_fmac_f32_e32 v3, s15, v20
	v_add_co_ci_u32_e64 v5, null, v7, v5, vcc_lo
	s_andn2_b32 vcc_lo, exec_lo, s2
	s_cbranch_vccnz .LBB87_19
; %bb.18:
	global_load_dwordx2 v[10:11], v[4:5], off
	s_waitcnt vmcnt(0)
	v_mul_f32_e32 v12, s11, v11
	v_mul_f32_e32 v11, s10, v11
	v_fma_f32 v12, v10, s10, -v12
	v_fmac_f32_e32 v11, s11, v10
	v_add_f32_e32 v2, v2, v12
	v_add_f32_e32 v3, v3, v11
.LBB87_19:
	global_store_dwordx2 v[4:5], v[2:3], off
.LBB87_20:
	s_or_b32 exec_lo, exec_lo, s1
	v_add_nc_u32_e32 v2, 16, v0
	v_cmp_le_i32_e32 vcc_lo, v9, v2
	v_cmp_gt_i32_e64 s1, s20, v2
	v_ashrrev_i32_e32 v3, 31, v2
	s_and_b32 s2, vcc_lo, s1
	s_and_saveexec_b32 s6, s2
	s_cbranch_execz .LBB87_24
; %bb.21:
	v_lshlrev_b64 v[10:11], 3, v[2:3]
	v_mul_f32_e32 v4, s15, v19
	v_mul_f32_e32 v5, s14, v19
	v_cmp_ne_u32_e32 vcc_lo, 1, v8
	v_fma_f32 v4, v18, s14, -v4
	v_add_co_u32 v6, s2, v6, v10
	v_fmac_f32_e32 v5, s15, v18
	v_add_co_ci_u32_e64 v7, null, v7, v11, s2
	s_cbranch_vccnz .LBB87_23
; %bb.22:
	global_load_dwordx2 v[10:11], v[6:7], off
	s_waitcnt vmcnt(0)
	v_mul_f32_e32 v12, s11, v11
	v_mul_f32_e32 v11, s10, v11
	v_fma_f32 v12, v10, s10, -v12
	v_fmac_f32_e32 v11, s11, v10
	v_add_f32_e32 v4, v4, v12
	v_add_f32_e32 v5, v5, v11
.LBB87_23:
	global_store_dwordx2 v[6:7], v[4:5], off
.LBB87_24:
	s_or_b32 exec_lo, exec_lo, s6
	v_add_nc_u32_e32 v9, 16, v9
	v_mad_i64_i32 v[4:5], null, v9, s3, 0
	v_cmp_le_i32_e32 vcc_lo, v9, v0
	s_and_b32 s0, vcc_lo, s0
	v_lshlrev_b64 v[4:5], 3, v[4:5]
	v_add_co_u32 v6, s2, s4, v4
	v_add_co_ci_u32_e64 v7, null, s5, v5, s2
	s_and_saveexec_b32 s2, s0
	s_cbranch_execz .LBB87_28
; %bb.25:
	v_lshlrev_b64 v[0:1], 3, v[0:1]
	v_mul_f32_e32 v4, s15, v17
	v_mul_f32_e32 v5, s14, v17
	v_cmp_ne_u32_e32 vcc_lo, 1, v8
	v_fma_f32 v4, v16, s14, -v4
	v_add_co_u32 v0, s0, v6, v0
	v_fmac_f32_e32 v5, s15, v16
	v_add_co_ci_u32_e64 v1, null, v7, v1, s0
	s_cbranch_vccnz .LBB87_27
; %bb.26:
	global_load_dwordx2 v[10:11], v[0:1], off
	s_waitcnt vmcnt(0)
	v_mul_f32_e32 v12, s11, v11
	v_mul_f32_e32 v11, s10, v11
	v_fma_f32 v12, v10, s10, -v12
	v_fmac_f32_e32 v11, s11, v10
	v_add_f32_e32 v4, v4, v12
	v_add_f32_e32 v5, v5, v11
.LBB87_27:
	global_store_dwordx2 v[0:1], v[4:5], off
.LBB87_28:
	s_or_b32 exec_lo, exec_lo, s2
	v_cmp_le_i32_e32 vcc_lo, v9, v2
	s_and_b32 s0, vcc_lo, s1
	s_and_saveexec_b32 s1, s0
	s_cbranch_execz .LBB87_32
; %bb.29:
	v_lshlrev_b64 v[2:3], 3, v[2:3]
	v_mul_f32_e32 v0, s15, v15
	v_mul_f32_e32 v1, s14, v15
	v_cmp_ne_u32_e32 vcc_lo, 1, v8
	v_fma_f32 v0, v14, s14, -v0
	v_add_co_u32 v2, s0, v6, v2
	v_fmac_f32_e32 v1, s15, v14
	v_add_co_ci_u32_e64 v3, null, v7, v3, s0
	s_cbranch_vccnz .LBB87_31
; %bb.30:
	global_load_dwordx2 v[4:5], v[2:3], off
	s_waitcnt vmcnt(0)
	v_mul_f32_e32 v6, s11, v5
	v_mul_f32_e32 v5, s10, v5
	v_fma_f32 v6, v4, s10, -v6
	v_fmac_f32_e32 v5, s11, v4
	v_add_f32_e32 v0, v0, v6
	v_add_f32_e32 v1, v1, v5
.LBB87_31:
	global_store_dwordx2 v[2:3], v[0:1], off
.LBB87_32:
	s_endpgm
	.section	.rodata,"a",@progbits
	.p2align	6, 0x0
	.amdhsa_kernel _ZL29rocblas_internal_gemmt_kernelIiLi16ELi32ELi8ELc67ELc78ELc76ELb1ELb0E19rocblas_complex_numIfEPKS1_S3_PS1_EviT_T9_T10_S5_lS7_S5_lS6_T11_S5_li
		.amdhsa_group_segment_fixed_size 4096
		.amdhsa_private_segment_fixed_size 0
		.amdhsa_kernarg_size 100
		.amdhsa_user_sgpr_count 6
		.amdhsa_user_sgpr_private_segment_buffer 1
		.amdhsa_user_sgpr_dispatch_ptr 0
		.amdhsa_user_sgpr_queue_ptr 0
		.amdhsa_user_sgpr_kernarg_segment_ptr 1
		.amdhsa_user_sgpr_dispatch_id 0
		.amdhsa_user_sgpr_flat_scratch_init 0
		.amdhsa_user_sgpr_private_segment_size 0
		.amdhsa_wavefront_size32 1
		.amdhsa_uses_dynamic_stack 0
		.amdhsa_system_sgpr_private_segment_wavefront_offset 0
		.amdhsa_system_sgpr_workgroup_id_x 1
		.amdhsa_system_sgpr_workgroup_id_y 1
		.amdhsa_system_sgpr_workgroup_id_z 1
		.amdhsa_system_sgpr_workgroup_info 0
		.amdhsa_system_vgpr_workitem_id 1
		.amdhsa_next_free_vgpr 59
		.amdhsa_next_free_sgpr 26
		.amdhsa_reserve_vcc 1
		.amdhsa_reserve_flat_scratch 0
		.amdhsa_float_round_mode_32 0
		.amdhsa_float_round_mode_16_64 0
		.amdhsa_float_denorm_mode_32 3
		.amdhsa_float_denorm_mode_16_64 3
		.amdhsa_dx10_clamp 1
		.amdhsa_ieee_mode 1
		.amdhsa_fp16_overflow 0
		.amdhsa_workgroup_processor_mode 1
		.amdhsa_memory_ordered 1
		.amdhsa_forward_progress 1
		.amdhsa_shared_vgpr_count 0
		.amdhsa_exception_fp_ieee_invalid_op 0
		.amdhsa_exception_fp_denorm_src 0
		.amdhsa_exception_fp_ieee_div_zero 0
		.amdhsa_exception_fp_ieee_overflow 0
		.amdhsa_exception_fp_ieee_underflow 0
		.amdhsa_exception_fp_ieee_inexact 0
		.amdhsa_exception_int_div_zero 0
	.end_amdhsa_kernel
	.section	.text._ZL29rocblas_internal_gemmt_kernelIiLi16ELi32ELi8ELc67ELc78ELc76ELb1ELb0E19rocblas_complex_numIfEPKS1_S3_PS1_EviT_T9_T10_S5_lS7_S5_lS6_T11_S5_li,"axG",@progbits,_ZL29rocblas_internal_gemmt_kernelIiLi16ELi32ELi8ELc67ELc78ELc76ELb1ELb0E19rocblas_complex_numIfEPKS1_S3_PS1_EviT_T9_T10_S5_lS7_S5_lS6_T11_S5_li,comdat
.Lfunc_end87:
	.size	_ZL29rocblas_internal_gemmt_kernelIiLi16ELi32ELi8ELc67ELc78ELc76ELb1ELb0E19rocblas_complex_numIfEPKS1_S3_PS1_EviT_T9_T10_S5_lS7_S5_lS6_T11_S5_li, .Lfunc_end87-_ZL29rocblas_internal_gemmt_kernelIiLi16ELi32ELi8ELc67ELc78ELc76ELb1ELb0E19rocblas_complex_numIfEPKS1_S3_PS1_EviT_T9_T10_S5_lS7_S5_lS6_T11_S5_li
                                        ; -- End function
	.set _ZL29rocblas_internal_gemmt_kernelIiLi16ELi32ELi8ELc67ELc78ELc76ELb1ELb0E19rocblas_complex_numIfEPKS1_S3_PS1_EviT_T9_T10_S5_lS7_S5_lS6_T11_S5_li.num_vgpr, 59
	.set _ZL29rocblas_internal_gemmt_kernelIiLi16ELi32ELi8ELc67ELc78ELc76ELb1ELb0E19rocblas_complex_numIfEPKS1_S3_PS1_EviT_T9_T10_S5_lS7_S5_lS6_T11_S5_li.num_agpr, 0
	.set _ZL29rocblas_internal_gemmt_kernelIiLi16ELi32ELi8ELc67ELc78ELc76ELb1ELb0E19rocblas_complex_numIfEPKS1_S3_PS1_EviT_T9_T10_S5_lS7_S5_lS6_T11_S5_li.numbered_sgpr, 26
	.set _ZL29rocblas_internal_gemmt_kernelIiLi16ELi32ELi8ELc67ELc78ELc76ELb1ELb0E19rocblas_complex_numIfEPKS1_S3_PS1_EviT_T9_T10_S5_lS7_S5_lS6_T11_S5_li.num_named_barrier, 0
	.set _ZL29rocblas_internal_gemmt_kernelIiLi16ELi32ELi8ELc67ELc78ELc76ELb1ELb0E19rocblas_complex_numIfEPKS1_S3_PS1_EviT_T9_T10_S5_lS7_S5_lS6_T11_S5_li.private_seg_size, 0
	.set _ZL29rocblas_internal_gemmt_kernelIiLi16ELi32ELi8ELc67ELc78ELc76ELb1ELb0E19rocblas_complex_numIfEPKS1_S3_PS1_EviT_T9_T10_S5_lS7_S5_lS6_T11_S5_li.uses_vcc, 1
	.set _ZL29rocblas_internal_gemmt_kernelIiLi16ELi32ELi8ELc67ELc78ELc76ELb1ELb0E19rocblas_complex_numIfEPKS1_S3_PS1_EviT_T9_T10_S5_lS7_S5_lS6_T11_S5_li.uses_flat_scratch, 0
	.set _ZL29rocblas_internal_gemmt_kernelIiLi16ELi32ELi8ELc67ELc78ELc76ELb1ELb0E19rocblas_complex_numIfEPKS1_S3_PS1_EviT_T9_T10_S5_lS7_S5_lS6_T11_S5_li.has_dyn_sized_stack, 0
	.set _ZL29rocblas_internal_gemmt_kernelIiLi16ELi32ELi8ELc67ELc78ELc76ELb1ELb0E19rocblas_complex_numIfEPKS1_S3_PS1_EviT_T9_T10_S5_lS7_S5_lS6_T11_S5_li.has_recursion, 0
	.set _ZL29rocblas_internal_gemmt_kernelIiLi16ELi32ELi8ELc67ELc78ELc76ELb1ELb0E19rocblas_complex_numIfEPKS1_S3_PS1_EviT_T9_T10_S5_lS7_S5_lS6_T11_S5_li.has_indirect_call, 0
	.section	.AMDGPU.csdata,"",@progbits
; Kernel info:
; codeLenInByte = 2540
; TotalNumSgprs: 28
; NumVgprs: 59
; ScratchSize: 0
; MemoryBound: 1
; FloatMode: 240
; IeeeMode: 1
; LDSByteSize: 4096 bytes/workgroup (compile time only)
; SGPRBlocks: 0
; VGPRBlocks: 7
; NumSGPRsForWavesPerEU: 28
; NumVGPRsForWavesPerEU: 59
; Occupancy: 16
; WaveLimiterHint : 0
; COMPUTE_PGM_RSRC2:SCRATCH_EN: 0
; COMPUTE_PGM_RSRC2:USER_SGPR: 6
; COMPUTE_PGM_RSRC2:TRAP_HANDLER: 0
; COMPUTE_PGM_RSRC2:TGID_X_EN: 1
; COMPUTE_PGM_RSRC2:TGID_Y_EN: 1
; COMPUTE_PGM_RSRC2:TGID_Z_EN: 1
; COMPUTE_PGM_RSRC2:TIDIG_COMP_CNT: 1
	.section	.text._ZL29rocblas_internal_gemmt_kernelIiLi16ELi32ELi8ELc67ELc84ELc76ELb1ELb0E19rocblas_complex_numIfEPKS1_S3_PS1_EviT_T9_T10_S5_lS7_S5_lS6_T11_S5_li,"axG",@progbits,_ZL29rocblas_internal_gemmt_kernelIiLi16ELi32ELi8ELc67ELc84ELc76ELb1ELb0E19rocblas_complex_numIfEPKS1_S3_PS1_EviT_T9_T10_S5_lS7_S5_lS6_T11_S5_li,comdat
	.globl	_ZL29rocblas_internal_gemmt_kernelIiLi16ELi32ELi8ELc67ELc84ELc76ELb1ELb0E19rocblas_complex_numIfEPKS1_S3_PS1_EviT_T9_T10_S5_lS7_S5_lS6_T11_S5_li ; -- Begin function _ZL29rocblas_internal_gemmt_kernelIiLi16ELi32ELi8ELc67ELc84ELc76ELb1ELb0E19rocblas_complex_numIfEPKS1_S3_PS1_EviT_T9_T10_S5_lS7_S5_lS6_T11_S5_li
	.p2align	8
	.type	_ZL29rocblas_internal_gemmt_kernelIiLi16ELi32ELi8ELc67ELc84ELc76ELb1ELb0E19rocblas_complex_numIfEPKS1_S3_PS1_EviT_T9_T10_S5_lS7_S5_lS6_T11_S5_li,@function
_ZL29rocblas_internal_gemmt_kernelIiLi16ELi32ELi8ELc67ELc84ELc76ELb1ELb0E19rocblas_complex_numIfEPKS1_S3_PS1_EviT_T9_T10_S5_lS7_S5_lS6_T11_S5_li: ; @_ZL29rocblas_internal_gemmt_kernelIiLi16ELi32ELi8ELc67ELc84ELc76ELb1ELb0E19rocblas_complex_numIfEPKS1_S3_PS1_EviT_T9_T10_S5_lS7_S5_lS6_T11_S5_li
; %bb.0:
	s_clause 0x1
	s_load_dwordx4 s[12:15], s[4:5], 0x38
	s_load_dwordx4 s[0:3], s[4:5], 0x8
	s_waitcnt lgkmcnt(0)
	s_load_dwordx2 s[10:11], s[14:15], 0x0
	s_load_dwordx2 s[20:21], s[4:5], 0x0
	s_load_dwordx2 s[14:15], s[0:1], 0x0
	s_waitcnt lgkmcnt(0)
	s_and_b32 s0, s11, 0x7fffffff
	v_cmp_eq_f32_e64 s1, s10, 1.0
	s_cmp_eq_u32 s0, 0
	s_mov_b32 s0, 0
	s_cselect_b32 s9, -1, 0
	s_and_b32 s1, s1, s9
	s_andn2_b32 vcc_lo, exec_lo, s1
	s_mov_b32 s1, -1
	s_cbranch_vccnz .LBB88_4
; %bb.1:
	s_cmp_lg_u32 s21, 0
	s_cbranch_scc0 .LBB88_3
; %bb.2:
	v_cmp_neq_f32_e64 s0, s14, 0
	v_cmp_neq_f32_e64 s1, s15, 0
	s_or_b32 s0, s0, s1
.LBB88_3:
	s_mov_b32 s1, s0
.LBB88_4:
	s_and_b32 vcc_lo, exec_lo, s1
	s_cbranch_vccz .LBB88_32
; %bb.5:
	s_load_dwordx2 s[22:23], s[4:5], 0x48
	v_cmp_eq_f32_e64 s0, s14, 0
	v_cmp_eq_f32_e64 s1, s15, 0
	s_lshl_b32 s24, s6, 5
	s_lshl_b32 s25, s7, 5
	v_mov_b32_e32 v20, 0
	v_mov_b32_e32 v21, 0
	s_and_b32 s0, s0, s1
	s_cmp_lt_i32 s21, 1
	v_mov_b32_e32 v18, 0
	s_cselect_b32 s1, -1, 0
	v_mov_b32_e32 v19, 0
	v_mov_b32_e32 v16, 0
	v_mov_b32_e32 v17, 0
	v_mov_b32_e32 v14, 0
	v_mov_b32_e32 v15, 0
	s_or_b32 s0, s0, s1
	s_mov_b32 s26, 0
	s_and_b32 vcc_lo, exec_lo, s0
	s_cbranch_vccnz .LBB88_16
; %bb.6:
	s_load_dword s0, s[4:5], 0x18
	v_lshl_add_u32 v2, v1, 4, v0
	s_clause 0x1
	s_load_dwordx4 s[16:19], s[4:5], 0x20
	s_load_dword s6, s[4:5], 0x30
	v_and_b32_e32 v8, 7, v0
	v_lshlrev_b32_e32 v9, 3, v0
	v_lshl_add_u32 v10, v1, 6, 0x800
	v_and_b32_e32 v4, 31, v2
	v_lshrrev_b32_e32 v5, 3, v2
	v_lshrrev_b32_e32 v11, 5, v2
	v_lshlrev_b32_e32 v2, 3, v8
	v_mov_b32_e32 v19, 0
	v_or_b32_e32 v6, s24, v4
	v_lshlrev_b32_e32 v7, 3, v4
	v_add_nc_u32_e32 v4, s24, v4
	v_add_nc_u32_e32 v3, s25, v5
	v_lshl_or_b32 v2, v5, 6, v2
	v_cmp_gt_i32_e32 vcc_lo, s20, v6
	v_lshl_or_b32 v12, v11, 8, v7
	v_lshlrev_b32_e32 v17, 3, v11
	v_mov_b32_e32 v18, 0
	s_waitcnt lgkmcnt(0)
	v_mad_i64_i32 v[5:6], null, s0, v4, 0
	s_mul_i32 s1, s17, s8
	s_mul_hi_u32 s17, s16, s8
	v_mad_i64_i32 v[14:15], null, s6, v8, 0
	s_mul_i32 s16, s16, s8
	s_add_i32 s17, s17, s1
	v_lshlrev_b64 v[5:6], 3, v[5:6]
	s_lshl_b64 s[16:17], s[16:17], 3
	v_ashrrev_i32_e32 v4, 31, v3
	v_cmp_gt_i32_e64 s0, s20, v3
	v_add_nc_u32_e32 v13, 0x800, v2
	v_mov_b32_e32 v2, 0
	v_add_co_u32 v7, s1, v5, s16
	v_add_co_ci_u32_e64 v16, null, s17, v6, s1
	s_mul_i32 s1, s13, s8
	s_mul_hi_u32 s13, s12, s8
	v_lshlrev_b64 v[5:6], 3, v[14:15]
	s_add_i32 s13, s13, s1
	s_mul_i32 s12, s12, s8
	v_add_co_u32 v7, s1, v7, v17
	s_lshl_b64 s[12:13], s[12:13], 3
	v_lshlrev_b64 v[3:4], 3, v[3:4]
	v_add_co_ci_u32_e64 v14, null, 0, v16, s1
	v_add_co_u32 v5, s1, s12, v5
	v_add_co_ci_u32_e64 v6, null, s13, v6, s1
	v_add_co_u32 v7, s1, s2, v7
	;; [unrolled: 2-line block ×5, first 2 shown]
	v_add_co_ci_u32_e64 v7, null, s19, v15, s1
	v_mov_b32_e32 v15, 0
	v_mov_b32_e32 v14, 0
	;; [unrolled: 1-line block ×6, first 2 shown]
	s_ashr_i32 s7, s6, 31
	s_xor_b32 s1, vcc_lo, -1
	s_lshl_b64 s[2:3], s[6:7], 6
	s_xor_b32 s0, s0, -1
	s_branch .LBB88_8
.LBB88_7:                               ;   in Loop: Header=BB88_8 Depth=1
	s_or_b32 exec_lo, exec_lo, s6
	s_waitcnt lgkmcnt(0)
	s_barrier
	buffer_gl0_inv
	ds_read_b128 v[22:25], v10
	ds_read2_b64 v[26:29], v9 offset1:16
	ds_read_b128 v[30:33], v10 offset:1024
	ds_read_b128 v[34:37], v10 offset:16
	;; [unrolled: 1-line block ×4, first 2 shown]
	ds_read2_b64 v[46:49], v9 offset0:32 offset1:48
	ds_read_b128 v[50:53], v10 offset:1040
	v_add_co_u32 v4, vcc_lo, v4, 64
	v_add_co_ci_u32_e64 v5, null, 0, v5, vcc_lo
	v_add_co_u32 v6, vcc_lo, v6, s2
	v_add_co_ci_u32_e64 v7, null, s3, v7, vcc_lo
	s_add_i32 s26, s26, 8
	s_cmp_lt_i32 s26, s21
	s_waitcnt lgkmcnt(6)
	v_mul_f32_e32 v3, v23, v27
	v_mul_f32_e32 v54, v22, v27
	;; [unrolled: 1-line block ×4, first 2 shown]
	s_waitcnt lgkmcnt(5)
	v_mul_f32_e32 v57, v31, v27
	v_mul_f32_e32 v27, v30, v27
	;; [unrolled: 1-line block ×3, first 2 shown]
	v_fma_f32 v3, v22, v26, -v3
	v_fmac_f32_e32 v54, v23, v26
	v_fma_f32 v22, v22, v28, -v55
	v_fmac_f32_e32 v56, v23, v28
	;; [unrolled: 2-line block ×3, first 2 shown]
	v_mul_f32_e32 v29, v30, v29
	v_fma_f32 v26, v30, v28, -v58
	v_add_f32_e32 v3, v20, v3
	v_add_f32_e32 v20, v21, v54
	;; [unrolled: 1-line block ×6, first 2 shown]
	s_waitcnt lgkmcnt(1)
	v_mul_f32_e32 v30, v25, v47
	ds_read2_b64 v[16:19], v9 offset0:64 offset1:80
	v_fmac_f32_e32 v29, v31, v28
	v_add_f32_e32 v14, v14, v26
	v_mul_f32_e32 v26, v24, v47
	v_fma_f32 v28, v24, v46, -v30
	v_mul_f32_e32 v30, v25, v49
	v_add_f32_e32 v15, v15, v29
	v_mul_f32_e32 v29, v24, v49
	v_fmac_f32_e32 v26, v25, v46
	v_add_f32_e32 v3, v3, v28
	v_fma_f32 v24, v24, v48, -v30
	v_mul_f32_e32 v28, v33, v47
	v_fmac_f32_e32 v29, v25, v48
	v_add_f32_e32 v26, v20, v26
	v_mul_f32_e32 v20, v32, v47
	v_add_f32_e32 v24, v21, v24
	v_fma_f32 v21, v32, v46, -v28
	v_mul_f32_e32 v25, v33, v49
	v_add_f32_e32 v28, v22, v29
	v_fmac_f32_e32 v20, v33, v46
	v_mul_f32_e32 v29, v32, v49
	v_add_f32_e32 v30, v23, v21
	v_fma_f32 v21, v32, v48, -v25
	s_waitcnt lgkmcnt(0)
	v_mul_f32_e32 v22, v35, v17
	v_add_f32_e32 v25, v27, v20
	v_fmac_f32_e32 v29, v33, v48
	v_mul_f32_e32 v27, v34, v17
	v_add_f32_e32 v14, v14, v21
	v_fma_f32 v31, v34, v16, -v22
	v_mul_f32_e32 v32, v35, v19
	ds_read2_b64 v[20:23], v9 offset0:96 offset1:112
	v_fmac_f32_e32 v27, v35, v16
	v_add_f32_e32 v29, v15, v29
	v_add_f32_e32 v3, v3, v31
	v_mul_f32_e32 v15, v34, v19
	v_fma_f32 v31, v34, v18, -v32
	v_add_f32_e32 v26, v26, v27
	v_mul_f32_e32 v27, v51, v17
	v_mul_f32_e32 v17, v50, v17
	v_fmac_f32_e32 v15, v35, v18
	v_add_f32_e32 v24, v24, v31
	v_mul_f32_e32 v31, v51, v19
	v_mul_f32_e32 v19, v50, v19
	v_fmac_f32_e32 v17, v51, v16
	v_add_f32_e32 v28, v28, v15
	v_fma_f32 v27, v50, v16, -v27
	v_fma_f32 v15, v50, v18, -v31
	v_fmac_f32_e32 v19, v51, v18
	v_add_f32_e32 v31, v25, v17
	s_waitcnt lgkmcnt(0)
	v_mul_f32_e32 v18, v37, v21
	v_add_f32_e32 v32, v14, v15
	ds_read2_b64 v[14:17], v9 offset0:128 offset1:144
	v_add_f32_e32 v30, v30, v27
	v_mul_f32_e32 v25, v36, v21
	v_fma_f32 v18, v36, v20, -v18
	v_mul_f32_e32 v27, v37, v23
	v_add_f32_e32 v29, v29, v19
	v_mul_f32_e32 v19, v36, v23
	v_fmac_f32_e32 v25, v37, v20
	v_add_f32_e32 v3, v3, v18
	v_mul_f32_e32 v18, v53, v21
	v_fma_f32 v27, v36, v22, -v27
	v_fmac_f32_e32 v19, v37, v22
	v_mul_f32_e32 v21, v52, v21
	v_mul_f32_e32 v35, v53, v23
	v_fma_f32 v18, v52, v20, -v18
	v_add_f32_e32 v33, v26, v25
	v_add_f32_e32 v34, v24, v27
	ds_read_b128 v[24:27], v10 offset:1056
	v_add_f32_e32 v36, v28, v19
	v_fmac_f32_e32 v21, v53, v20
	v_mul_f32_e32 v23, v52, v23
	v_fma_f32 v19, v52, v22, -v35
	v_add_f32_e32 v35, v30, v18
	s_waitcnt lgkmcnt(1)
	v_mul_f32_e32 v18, v39, v15
	v_add_f32_e32 v37, v31, v21
	v_fmac_f32_e32 v23, v53, v22
	v_add_f32_e32 v22, v32, v19
	v_mul_f32_e32 v32, v38, v15
	v_fma_f32 v28, v38, v14, -v18
	ds_read2_b64 v[18:21], v9 offset0:160 offset1:176
	v_mul_f32_e32 v30, v39, v17
	v_mul_f32_e32 v46, v38, v17
	v_fmac_f32_e32 v32, v39, v14
	v_add_f32_e32 v23, v29, v23
	v_add_f32_e32 v3, v3, v28
	v_fma_f32 v38, v38, v16, -v30
	ds_read_b128 v[28:31], v10 offset:1072
	s_waitcnt lgkmcnt(2)
	v_mul_f32_e32 v47, v25, v15
	v_add_f32_e32 v32, v33, v32
	v_mul_f32_e32 v15, v24, v15
	v_add_f32_e32 v33, v34, v38
	v_mul_f32_e32 v38, v25, v17
	v_fmac_f32_e32 v46, v39, v16
	v_fma_f32 v34, v24, v14, -v47
	v_fmac_f32_e32 v15, v25, v14
	v_mul_f32_e32 v39, v24, v17
	v_fma_f32 v14, v24, v16, -v38
	v_add_f32_e32 v36, v36, v46
	v_add_f32_e32 v34, v35, v34
	s_waitcnt lgkmcnt(1)
	v_mul_f32_e32 v17, v41, v19
	v_add_f32_e32 v24, v37, v15
	v_fmac_f32_e32 v39, v25, v16
	v_mul_f32_e32 v25, v40, v19
	v_add_f32_e32 v22, v22, v14
	v_fma_f32 v35, v40, v18, -v17
	ds_read2_b64 v[14:17], v9 offset0:192 offset1:208
	v_mul_f32_e32 v37, v41, v21
	v_fmac_f32_e32 v25, v41, v18
	v_add_f32_e32 v38, v23, v39
	v_add_f32_e32 v3, v3, v35
	v_mul_f32_e32 v23, v40, v21
	v_fma_f32 v35, v40, v20, -v37
	v_add_f32_e32 v32, v32, v25
	v_mul_f32_e32 v25, v27, v19
	v_mul_f32_e32 v19, v26, v19
	v_fmac_f32_e32 v23, v41, v20
	v_add_f32_e32 v33, v33, v35
	v_mul_f32_e32 v35, v27, v21
	v_fma_f32 v25, v26, v18, -v25
	v_fmac_f32_e32 v19, v27, v18
	v_add_f32_e32 v18, v36, v23
	v_mul_f32_e32 v21, v26, v21
	v_fma_f32 v23, v26, v20, -v35
	v_add_f32_e32 v26, v34, v25
	v_add_f32_e32 v19, v24, v19
	s_waitcnt lgkmcnt(0)
	v_mul_f32_e32 v34, v43, v15
	v_fmac_f32_e32 v21, v27, v20
	v_add_f32_e32 v20, v22, v23
	ds_read2_b64 v[22:25], v9 offset0:224 offset1:240
	v_mul_f32_e32 v27, v42, v15
	v_fma_f32 v34, v42, v14, -v34
	v_mul_f32_e32 v35, v43, v17
	v_mul_f32_e32 v36, v42, v17
	v_add_f32_e32 v21, v38, v21
	v_fmac_f32_e32 v27, v43, v14
	v_add_f32_e32 v3, v3, v34
	v_mul_f32_e32 v34, v29, v15
	v_fma_f32 v35, v42, v16, -v35
	v_fmac_f32_e32 v36, v43, v16
	v_add_f32_e32 v27, v32, v27
	v_mul_f32_e32 v15, v28, v15
	v_fma_f32 v32, v28, v14, -v34
	v_mul_f32_e32 v34, v29, v17
	v_add_f32_e32 v33, v33, v35
	v_add_f32_e32 v35, v18, v36
	v_fmac_f32_e32 v15, v29, v14
	v_add_f32_e32 v14, v26, v32
	v_mul_f32_e32 v17, v28, v17
	v_fma_f32 v18, v28, v16, -v34
	s_waitcnt lgkmcnt(0)
	v_mul_f32_e32 v26, v45, v23
	v_mul_f32_e32 v28, v44, v23
	v_add_f32_e32 v15, v19, v15
	v_fmac_f32_e32 v17, v29, v16
	v_add_f32_e32 v29, v20, v18
	v_fma_f32 v16, v44, v22, -v26
	v_mul_f32_e32 v18, v45, v25
	v_mul_f32_e32 v19, v44, v25
	v_add_f32_e32 v26, v21, v17
	v_mul_f32_e32 v17, v30, v23
	v_add_f32_e32 v20, v3, v16
	v_fma_f32 v3, v44, v24, -v18
	v_mul_f32_e32 v16, v31, v23
	v_mul_f32_e32 v23, v31, v25
	;; [unrolled: 1-line block ×3, first 2 shown]
	v_fmac_f32_e32 v28, v45, v22
	v_fmac_f32_e32 v19, v45, v24
	v_add_f32_e32 v18, v33, v3
	v_fma_f32 v3, v30, v22, -v16
	v_fmac_f32_e32 v17, v31, v22
	v_fma_f32 v22, v30, v24, -v23
	v_fmac_f32_e32 v25, v31, v24
	v_add_f32_e32 v21, v27, v28
	v_add_f32_e32 v19, v35, v19
	;; [unrolled: 1-line block ×6, first 2 shown]
	s_barrier
	buffer_gl0_inv
	s_cbranch_scc0 .LBB88_16
.LBB88_8:                               ; =>This Inner Loop Header: Depth=1
	v_add_nc_u32_e32 v3, s26, v11
	v_cmp_le_i32_e32 vcc_lo, s21, v3
	s_or_b32 s6, s1, vcc_lo
	s_and_saveexec_b32 s7, s6
	s_xor_b32 s6, exec_lo, s7
; %bb.9:                                ;   in Loop: Header=BB88_8 Depth=1
	ds_write_b32 v12, v2
; %bb.10:                               ;   in Loop: Header=BB88_8 Depth=1
	s_or_saveexec_b32 s6, s6
	v_mov_b32_e32 v3, 0
	s_xor_b32 exec_lo, exec_lo, s6
	s_cbranch_execz .LBB88_12
; %bb.11:                               ;   in Loop: Header=BB88_8 Depth=1
	global_load_dwordx2 v[22:23], v[4:5], off offset:-4
	s_waitcnt vmcnt(0)
	v_xor_b32_e32 v3, 0x80000000, v23
	ds_write_b32 v12, v22
.LBB88_12:                              ;   in Loop: Header=BB88_8 Depth=1
	s_or_b32 exec_lo, exec_lo, s6
	v_add_nc_u32_e32 v22, s26, v8
	ds_write_b32 v12, v3 offset:4
	v_cmp_le_i32_e32 vcc_lo, s21, v22
	s_or_b32 s6, vcc_lo, s0
	s_and_saveexec_b32 s7, s6
	s_xor_b32 s6, exec_lo, s7
; %bb.13:                               ;   in Loop: Header=BB88_8 Depth=1
	v_mov_b32_e32 v3, v2
	ds_write_b64 v13, v[2:3]
; %bb.14:                               ;   in Loop: Header=BB88_8 Depth=1
	s_andn2_saveexec_b32 s6, s6
	s_cbranch_execz .LBB88_7
; %bb.15:                               ;   in Loop: Header=BB88_8 Depth=1
	global_load_dwordx2 v[22:23], v[6:7], off
	s_waitcnt vmcnt(0)
	ds_write_b64 v13, v[22:23]
	s_branch .LBB88_7
.LBB88_16:
	s_clause 0x1
	s_load_dword s3, s[4:5], 0x50
	s_load_dwordx2 s[0:1], s[4:5], 0x58
	v_add_nc_u32_e32 v9, s25, v1
	v_add_nc_u32_e32 v0, s24, v0
	v_cmp_neq_f32_e64 s2, s10, 0
	v_cmp_le_i32_e32 vcc_lo, v9, v0
	s_waitcnt lgkmcnt(0)
	v_mad_i64_i32 v[1:2], null, v9, s3, 0
	s_mul_i32 s1, s1, s8
	s_mul_hi_u32 s5, s0, s8
	s_mul_i32 s4, s0, s8
	s_add_i32 s5, s5, s1
	v_cmp_gt_i32_e64 s0, s20, v0
	s_lshl_b64 s[4:5], s[4:5], 3
	v_lshlrev_b64 v[2:3], 3, v[1:2]
	s_add_u32 s4, s22, s4
	s_addc_u32 s5, s23, s5
	s_xor_b32 s6, s9, -1
	v_ashrrev_i32_e32 v1, 31, v0
	s_or_b32 s2, s2, s6
	v_add_co_u32 v6, s1, s4, v2
	v_add_co_ci_u32_e64 v7, null, s5, v3, s1
	v_cndmask_b32_e64 v8, 0, 1, s2
	s_and_b32 s6, vcc_lo, s0
	s_and_saveexec_b32 s1, s6
	s_cbranch_execz .LBB88_20
; %bb.17:
	v_lshlrev_b64 v[4:5], 3, v[0:1]
	v_mul_f32_e32 v2, s15, v21
	v_mul_f32_e32 v3, s14, v21
	v_fma_f32 v2, v20, s14, -v2
	v_add_co_u32 v4, vcc_lo, v6, v4
	v_fmac_f32_e32 v3, s15, v20
	v_add_co_ci_u32_e64 v5, null, v7, v5, vcc_lo
	s_andn2_b32 vcc_lo, exec_lo, s2
	s_cbranch_vccnz .LBB88_19
; %bb.18:
	global_load_dwordx2 v[10:11], v[4:5], off
	s_waitcnt vmcnt(0)
	v_mul_f32_e32 v12, s11, v11
	v_mul_f32_e32 v11, s10, v11
	v_fma_f32 v12, v10, s10, -v12
	v_fmac_f32_e32 v11, s11, v10
	v_add_f32_e32 v2, v2, v12
	v_add_f32_e32 v3, v3, v11
.LBB88_19:
	global_store_dwordx2 v[4:5], v[2:3], off
.LBB88_20:
	s_or_b32 exec_lo, exec_lo, s1
	v_add_nc_u32_e32 v2, 16, v0
	v_cmp_le_i32_e32 vcc_lo, v9, v2
	v_cmp_gt_i32_e64 s1, s20, v2
	v_ashrrev_i32_e32 v3, 31, v2
	s_and_b32 s2, vcc_lo, s1
	s_and_saveexec_b32 s6, s2
	s_cbranch_execz .LBB88_24
; %bb.21:
	v_lshlrev_b64 v[10:11], 3, v[2:3]
	v_mul_f32_e32 v4, s15, v19
	v_mul_f32_e32 v5, s14, v19
	v_cmp_ne_u32_e32 vcc_lo, 1, v8
	v_fma_f32 v4, v18, s14, -v4
	v_add_co_u32 v6, s2, v6, v10
	v_fmac_f32_e32 v5, s15, v18
	v_add_co_ci_u32_e64 v7, null, v7, v11, s2
	s_cbranch_vccnz .LBB88_23
; %bb.22:
	global_load_dwordx2 v[10:11], v[6:7], off
	s_waitcnt vmcnt(0)
	v_mul_f32_e32 v12, s11, v11
	v_mul_f32_e32 v11, s10, v11
	v_fma_f32 v12, v10, s10, -v12
	v_fmac_f32_e32 v11, s11, v10
	v_add_f32_e32 v4, v4, v12
	v_add_f32_e32 v5, v5, v11
.LBB88_23:
	global_store_dwordx2 v[6:7], v[4:5], off
.LBB88_24:
	s_or_b32 exec_lo, exec_lo, s6
	v_add_nc_u32_e32 v9, 16, v9
	v_mad_i64_i32 v[4:5], null, v9, s3, 0
	v_cmp_le_i32_e32 vcc_lo, v9, v0
	s_and_b32 s0, vcc_lo, s0
	v_lshlrev_b64 v[4:5], 3, v[4:5]
	v_add_co_u32 v6, s2, s4, v4
	v_add_co_ci_u32_e64 v7, null, s5, v5, s2
	s_and_saveexec_b32 s2, s0
	s_cbranch_execz .LBB88_28
; %bb.25:
	v_lshlrev_b64 v[0:1], 3, v[0:1]
	v_mul_f32_e32 v4, s15, v17
	v_mul_f32_e32 v5, s14, v17
	v_cmp_ne_u32_e32 vcc_lo, 1, v8
	v_fma_f32 v4, v16, s14, -v4
	v_add_co_u32 v0, s0, v6, v0
	v_fmac_f32_e32 v5, s15, v16
	v_add_co_ci_u32_e64 v1, null, v7, v1, s0
	s_cbranch_vccnz .LBB88_27
; %bb.26:
	global_load_dwordx2 v[10:11], v[0:1], off
	s_waitcnt vmcnt(0)
	v_mul_f32_e32 v12, s11, v11
	v_mul_f32_e32 v11, s10, v11
	v_fma_f32 v12, v10, s10, -v12
	v_fmac_f32_e32 v11, s11, v10
	v_add_f32_e32 v4, v4, v12
	v_add_f32_e32 v5, v5, v11
.LBB88_27:
	global_store_dwordx2 v[0:1], v[4:5], off
.LBB88_28:
	s_or_b32 exec_lo, exec_lo, s2
	v_cmp_le_i32_e32 vcc_lo, v9, v2
	s_and_b32 s0, vcc_lo, s1
	s_and_saveexec_b32 s1, s0
	s_cbranch_execz .LBB88_32
; %bb.29:
	v_lshlrev_b64 v[2:3], 3, v[2:3]
	v_mul_f32_e32 v0, s15, v15
	v_mul_f32_e32 v1, s14, v15
	v_cmp_ne_u32_e32 vcc_lo, 1, v8
	v_fma_f32 v0, v14, s14, -v0
	v_add_co_u32 v2, s0, v6, v2
	v_fmac_f32_e32 v1, s15, v14
	v_add_co_ci_u32_e64 v3, null, v7, v3, s0
	s_cbranch_vccnz .LBB88_31
; %bb.30:
	global_load_dwordx2 v[4:5], v[2:3], off
	s_waitcnt vmcnt(0)
	v_mul_f32_e32 v6, s11, v5
	v_mul_f32_e32 v5, s10, v5
	v_fma_f32 v6, v4, s10, -v6
	v_fmac_f32_e32 v5, s11, v4
	v_add_f32_e32 v0, v0, v6
	v_add_f32_e32 v1, v1, v5
.LBB88_31:
	global_store_dwordx2 v[2:3], v[0:1], off
.LBB88_32:
	s_endpgm
	.section	.rodata,"a",@progbits
	.p2align	6, 0x0
	.amdhsa_kernel _ZL29rocblas_internal_gemmt_kernelIiLi16ELi32ELi8ELc67ELc84ELc76ELb1ELb0E19rocblas_complex_numIfEPKS1_S3_PS1_EviT_T9_T10_S5_lS7_S5_lS6_T11_S5_li
		.amdhsa_group_segment_fixed_size 4096
		.amdhsa_private_segment_fixed_size 0
		.amdhsa_kernarg_size 100
		.amdhsa_user_sgpr_count 6
		.amdhsa_user_sgpr_private_segment_buffer 1
		.amdhsa_user_sgpr_dispatch_ptr 0
		.amdhsa_user_sgpr_queue_ptr 0
		.amdhsa_user_sgpr_kernarg_segment_ptr 1
		.amdhsa_user_sgpr_dispatch_id 0
		.amdhsa_user_sgpr_flat_scratch_init 0
		.amdhsa_user_sgpr_private_segment_size 0
		.amdhsa_wavefront_size32 1
		.amdhsa_uses_dynamic_stack 0
		.amdhsa_system_sgpr_private_segment_wavefront_offset 0
		.amdhsa_system_sgpr_workgroup_id_x 1
		.amdhsa_system_sgpr_workgroup_id_y 1
		.amdhsa_system_sgpr_workgroup_id_z 1
		.amdhsa_system_sgpr_workgroup_info 0
		.amdhsa_system_vgpr_workitem_id 1
		.amdhsa_next_free_vgpr 59
		.amdhsa_next_free_sgpr 27
		.amdhsa_reserve_vcc 1
		.amdhsa_reserve_flat_scratch 0
		.amdhsa_float_round_mode_32 0
		.amdhsa_float_round_mode_16_64 0
		.amdhsa_float_denorm_mode_32 3
		.amdhsa_float_denorm_mode_16_64 3
		.amdhsa_dx10_clamp 1
		.amdhsa_ieee_mode 1
		.amdhsa_fp16_overflow 0
		.amdhsa_workgroup_processor_mode 1
		.amdhsa_memory_ordered 1
		.amdhsa_forward_progress 1
		.amdhsa_shared_vgpr_count 0
		.amdhsa_exception_fp_ieee_invalid_op 0
		.amdhsa_exception_fp_denorm_src 0
		.amdhsa_exception_fp_ieee_div_zero 0
		.amdhsa_exception_fp_ieee_overflow 0
		.amdhsa_exception_fp_ieee_underflow 0
		.amdhsa_exception_fp_ieee_inexact 0
		.amdhsa_exception_int_div_zero 0
	.end_amdhsa_kernel
	.section	.text._ZL29rocblas_internal_gemmt_kernelIiLi16ELi32ELi8ELc67ELc84ELc76ELb1ELb0E19rocblas_complex_numIfEPKS1_S3_PS1_EviT_T9_T10_S5_lS7_S5_lS6_T11_S5_li,"axG",@progbits,_ZL29rocblas_internal_gemmt_kernelIiLi16ELi32ELi8ELc67ELc84ELc76ELb1ELb0E19rocblas_complex_numIfEPKS1_S3_PS1_EviT_T9_T10_S5_lS7_S5_lS6_T11_S5_li,comdat
.Lfunc_end88:
	.size	_ZL29rocblas_internal_gemmt_kernelIiLi16ELi32ELi8ELc67ELc84ELc76ELb1ELb0E19rocblas_complex_numIfEPKS1_S3_PS1_EviT_T9_T10_S5_lS7_S5_lS6_T11_S5_li, .Lfunc_end88-_ZL29rocblas_internal_gemmt_kernelIiLi16ELi32ELi8ELc67ELc84ELc76ELb1ELb0E19rocblas_complex_numIfEPKS1_S3_PS1_EviT_T9_T10_S5_lS7_S5_lS6_T11_S5_li
                                        ; -- End function
	.set _ZL29rocblas_internal_gemmt_kernelIiLi16ELi32ELi8ELc67ELc84ELc76ELb1ELb0E19rocblas_complex_numIfEPKS1_S3_PS1_EviT_T9_T10_S5_lS7_S5_lS6_T11_S5_li.num_vgpr, 59
	.set _ZL29rocblas_internal_gemmt_kernelIiLi16ELi32ELi8ELc67ELc84ELc76ELb1ELb0E19rocblas_complex_numIfEPKS1_S3_PS1_EviT_T9_T10_S5_lS7_S5_lS6_T11_S5_li.num_agpr, 0
	.set _ZL29rocblas_internal_gemmt_kernelIiLi16ELi32ELi8ELc67ELc84ELc76ELb1ELb0E19rocblas_complex_numIfEPKS1_S3_PS1_EviT_T9_T10_S5_lS7_S5_lS6_T11_S5_li.numbered_sgpr, 27
	.set _ZL29rocblas_internal_gemmt_kernelIiLi16ELi32ELi8ELc67ELc84ELc76ELb1ELb0E19rocblas_complex_numIfEPKS1_S3_PS1_EviT_T9_T10_S5_lS7_S5_lS6_T11_S5_li.num_named_barrier, 0
	.set _ZL29rocblas_internal_gemmt_kernelIiLi16ELi32ELi8ELc67ELc84ELc76ELb1ELb0E19rocblas_complex_numIfEPKS1_S3_PS1_EviT_T9_T10_S5_lS7_S5_lS6_T11_S5_li.private_seg_size, 0
	.set _ZL29rocblas_internal_gemmt_kernelIiLi16ELi32ELi8ELc67ELc84ELc76ELb1ELb0E19rocblas_complex_numIfEPKS1_S3_PS1_EviT_T9_T10_S5_lS7_S5_lS6_T11_S5_li.uses_vcc, 1
	.set _ZL29rocblas_internal_gemmt_kernelIiLi16ELi32ELi8ELc67ELc84ELc76ELb1ELb0E19rocblas_complex_numIfEPKS1_S3_PS1_EviT_T9_T10_S5_lS7_S5_lS6_T11_S5_li.uses_flat_scratch, 0
	.set _ZL29rocblas_internal_gemmt_kernelIiLi16ELi32ELi8ELc67ELc84ELc76ELb1ELb0E19rocblas_complex_numIfEPKS1_S3_PS1_EviT_T9_T10_S5_lS7_S5_lS6_T11_S5_li.has_dyn_sized_stack, 0
	.set _ZL29rocblas_internal_gemmt_kernelIiLi16ELi32ELi8ELc67ELc84ELc76ELb1ELb0E19rocblas_complex_numIfEPKS1_S3_PS1_EviT_T9_T10_S5_lS7_S5_lS6_T11_S5_li.has_recursion, 0
	.set _ZL29rocblas_internal_gemmt_kernelIiLi16ELi32ELi8ELc67ELc84ELc76ELb1ELb0E19rocblas_complex_numIfEPKS1_S3_PS1_EviT_T9_T10_S5_lS7_S5_lS6_T11_S5_li.has_indirect_call, 0
	.section	.AMDGPU.csdata,"",@progbits
; Kernel info:
; codeLenInByte = 2560
; TotalNumSgprs: 29
; NumVgprs: 59
; ScratchSize: 0
; MemoryBound: 1
; FloatMode: 240
; IeeeMode: 1
; LDSByteSize: 4096 bytes/workgroup (compile time only)
; SGPRBlocks: 0
; VGPRBlocks: 7
; NumSGPRsForWavesPerEU: 29
; NumVGPRsForWavesPerEU: 59
; Occupancy: 16
; WaveLimiterHint : 0
; COMPUTE_PGM_RSRC2:SCRATCH_EN: 0
; COMPUTE_PGM_RSRC2:USER_SGPR: 6
; COMPUTE_PGM_RSRC2:TRAP_HANDLER: 0
; COMPUTE_PGM_RSRC2:TGID_X_EN: 1
; COMPUTE_PGM_RSRC2:TGID_Y_EN: 1
; COMPUTE_PGM_RSRC2:TGID_Z_EN: 1
; COMPUTE_PGM_RSRC2:TIDIG_COMP_CNT: 1
	.section	.text._ZL29rocblas_internal_gemmt_kernelIiLi16ELi32ELi8ELc67ELc67ELc76ELb1ELb1E19rocblas_complex_numIfEPKS1_S3_PS1_EviT_T9_T10_S5_lS7_S5_lS6_T11_S5_li,"axG",@progbits,_ZL29rocblas_internal_gemmt_kernelIiLi16ELi32ELi8ELc67ELc67ELc76ELb1ELb1E19rocblas_complex_numIfEPKS1_S3_PS1_EviT_T9_T10_S5_lS7_S5_lS6_T11_S5_li,comdat
	.globl	_ZL29rocblas_internal_gemmt_kernelIiLi16ELi32ELi8ELc67ELc67ELc76ELb1ELb1E19rocblas_complex_numIfEPKS1_S3_PS1_EviT_T9_T10_S5_lS7_S5_lS6_T11_S5_li ; -- Begin function _ZL29rocblas_internal_gemmt_kernelIiLi16ELi32ELi8ELc67ELc67ELc76ELb1ELb1E19rocblas_complex_numIfEPKS1_S3_PS1_EviT_T9_T10_S5_lS7_S5_lS6_T11_S5_li
	.p2align	8
	.type	_ZL29rocblas_internal_gemmt_kernelIiLi16ELi32ELi8ELc67ELc67ELc76ELb1ELb1E19rocblas_complex_numIfEPKS1_S3_PS1_EviT_T9_T10_S5_lS7_S5_lS6_T11_S5_li,@function
_ZL29rocblas_internal_gemmt_kernelIiLi16ELi32ELi8ELc67ELc67ELc76ELb1ELb1E19rocblas_complex_numIfEPKS1_S3_PS1_EviT_T9_T10_S5_lS7_S5_lS6_T11_S5_li: ; @_ZL29rocblas_internal_gemmt_kernelIiLi16ELi32ELi8ELc67ELc67ELc76ELb1ELb1E19rocblas_complex_numIfEPKS1_S3_PS1_EviT_T9_T10_S5_lS7_S5_lS6_T11_S5_li
; %bb.0:
	s_clause 0x1
	s_load_dwordx4 s[12:15], s[4:5], 0x38
	s_load_dwordx4 s[0:3], s[4:5], 0x8
	s_waitcnt lgkmcnt(0)
	s_load_dwordx2 s[10:11], s[14:15], 0x0
	s_load_dwordx2 s[20:21], s[4:5], 0x0
	;; [unrolled: 1-line block ×3, first 2 shown]
	s_waitcnt lgkmcnt(0)
	s_and_b32 s0, s11, 0x7fffffff
	v_cmp_eq_f32_e64 s1, s10, 1.0
	s_cmp_eq_u32 s0, 0
	s_mov_b32 s0, 0
	s_cselect_b32 s9, -1, 0
	s_and_b32 s1, s1, s9
	s_andn2_b32 vcc_lo, exec_lo, s1
	s_mov_b32 s1, -1
	s_cbranch_vccnz .LBB89_4
; %bb.1:
	s_cmp_lg_u32 s21, 0
	s_cbranch_scc0 .LBB89_3
; %bb.2:
	v_cmp_neq_f32_e64 s0, s14, 0
	v_cmp_neq_f32_e64 s1, s15, 0
	s_or_b32 s0, s0, s1
.LBB89_3:
	s_mov_b32 s1, s0
.LBB89_4:
	s_and_b32 vcc_lo, exec_lo, s1
	s_cbranch_vccz .LBB89_32
; %bb.5:
	s_load_dwordx2 s[22:23], s[4:5], 0x48
	v_cmp_eq_f32_e64 s0, s14, 0
	v_cmp_eq_f32_e64 s1, s15, 0
	s_lshl_b32 s24, s6, 5
	s_lshl_b32 s25, s7, 5
	v_mov_b32_e32 v19, 0
	v_mov_b32_e32 v20, 0
	s_and_b32 s0, s0, s1
	s_cmp_lt_i32 s21, 1
	v_mov_b32_e32 v17, 0
	s_cselect_b32 s1, -1, 0
	v_mov_b32_e32 v18, 0
	v_mov_b32_e32 v15, 0
	;; [unrolled: 1-line block ×5, first 2 shown]
	s_or_b32 s0, s0, s1
	s_mov_b32 s26, 0
	s_and_b32 vcc_lo, exec_lo, s0
	s_cbranch_vccnz .LBB89_16
; %bb.6:
	s_load_dword s1, s[4:5], 0x18
	v_lshl_add_u32 v2, v1, 4, v0
	s_clause 0x1
	s_load_dwordx4 s[16:19], s[4:5], 0x20
	s_load_dword s6, s[4:5], 0x30
	v_and_b32_e32 v6, 7, v0
	s_mul_i32 s13, s13, s8
	s_mul_hi_u32 s27, s12, s8
	v_and_b32_e32 v3, 31, v2
	v_lshrrev_b32_e32 v4, 3, v2
	v_lshlrev_b32_e32 v5, 3, v6
	v_lshrrev_b32_e32 v9, 5, v2
	s_add_i32 s13, s27, s13
	v_or_b32_e32 v10, s24, v3
	v_lshlrev_b32_e32 v11, 3, v3
	v_add_nc_u32_e32 v3, s24, v3
	v_add_nc_u32_e32 v2, s25, v4
	v_lshl_or_b32 v12, v4, 6, v5
	v_cmp_gt_i32_e32 vcc_lo, s20, v10
	v_lshl_or_b32 v10, v9, 8, v11
	s_mul_i32 s12, s12, s8
	v_cmp_gt_i32_e64 s0, s20, v2
	s_waitcnt lgkmcnt(0)
	v_mad_i64_i32 v[4:5], null, s1, v3, 0
	v_add_nc_u32_e32 v11, 0x800, v12
	s_mul_i32 s1, s17, s8
	s_mul_hi_u32 s17, s16, s8
	v_mad_i64_i32 v[12:13], null, s6, v6, 0
	s_mul_i32 s16, s16, s8
	v_lshlrev_b64 v[4:5], 3, v[4:5]
	s_add_i32 s17, s17, s1
	v_ashrrev_i32_e32 v3, 31, v2
	s_lshl_b64 s[16:17], s[16:17], 3
	s_lshl_b64 s[12:13], s[12:13], 3
	v_lshlrev_b32_e32 v7, 3, v0
	v_add_co_u32 v14, s1, v4, s16
	v_add_co_ci_u32_e64 v15, null, s17, v5, s1
	v_lshlrev_b64 v[4:5], 3, v[12:13]
	v_lshlrev_b64 v[2:3], 3, v[2:3]
	v_lshlrev_b32_e32 v13, 3, v9
	v_lshl_add_u32 v8, v1, 6, 0x800
	v_mov_b32_e32 v12, 0
	v_mov_b32_e32 v16, 0
	v_add_co_u32 v4, s1, s12, v4
	v_add_co_ci_u32_e64 v5, null, s13, v5, s1
	v_mov_b32_e32 v18, 0
	v_add_co_u32 v2, s1, v4, v2
	v_add_co_ci_u32_e64 v3, null, v5, v3, s1
	v_add_co_u32 v4, s1, v14, v13
	v_add_co_ci_u32_e64 v5, null, 0, v15, s1
	;; [unrolled: 2-line block ×5, first 2 shown]
	v_mov_b32_e32 v14, 0
	v_mov_b32_e32 v13, 0
	;; [unrolled: 1-line block ×6, first 2 shown]
	s_ashr_i32 s7, s6, 31
	s_xor_b32 s1, vcc_lo, -1
	s_lshl_b64 s[2:3], s[6:7], 6
	s_xor_b32 s0, s0, -1
	s_branch .LBB89_8
.LBB89_7:                               ;   in Loop: Header=BB89_8 Depth=1
	s_or_b32 exec_lo, exec_lo, s6
	ds_write_b32 v11, v21 offset:4
	s_waitcnt lgkmcnt(0)
	s_barrier
	buffer_gl0_inv
	ds_read_b128 v[21:24], v8
	ds_read2_b64 v[25:28], v7 offset1:16
	ds_read_b128 v[29:32], v8 offset:1024
	ds_read_b128 v[33:36], v8 offset:16
	;; [unrolled: 1-line block ×4, first 2 shown]
	ds_read2_b64 v[45:48], v7 offset0:32 offset1:48
	ds_read_b128 v[49:52], v8 offset:1040
	v_add_co_u32 v2, vcc_lo, v2, 64
	v_add_co_ci_u32_e64 v3, null, 0, v3, vcc_lo
	v_add_co_u32 v4, vcc_lo, v4, s2
	v_add_co_ci_u32_e64 v5, null, s3, v5, vcc_lo
	s_add_i32 s26, s26, 8
	s_cmp_lt_i32 s26, s21
	s_waitcnt lgkmcnt(6)
	v_mul_f32_e32 v53, v22, v26
	v_mul_f32_e32 v54, v21, v26
	;; [unrolled: 1-line block ×4, first 2 shown]
	s_waitcnt lgkmcnt(5)
	v_mul_f32_e32 v57, v30, v26
	v_mul_f32_e32 v26, v29, v26
	v_mul_f32_e32 v58, v30, v28
	v_fma_f32 v53, v21, v25, -v53
	v_fmac_f32_e32 v54, v22, v25
	v_fma_f32 v21, v21, v27, -v55
	v_fmac_f32_e32 v56, v22, v27
	;; [unrolled: 2-line block ×3, first 2 shown]
	v_mul_f32_e32 v28, v29, v28
	v_fma_f32 v25, v29, v27, -v58
	v_add_f32_e32 v19, v19, v53
	v_add_f32_e32 v21, v17, v21
	;; [unrolled: 1-line block ×5, first 2 shown]
	s_waitcnt lgkmcnt(1)
	v_mul_f32_e32 v53, v24, v46
	ds_read2_b64 v[15:18], v7 offset0:64 offset1:80
	v_fmac_f32_e32 v28, v30, v27
	v_add_f32_e32 v13, v13, v25
	v_mul_f32_e32 v25, v23, v46
	v_fma_f32 v27, v23, v45, -v53
	v_mul_f32_e32 v30, v24, v48
	v_add_f32_e32 v20, v20, v54
	v_add_f32_e32 v14, v14, v28
	v_fmac_f32_e32 v25, v24, v45
	v_mul_f32_e32 v28, v23, v48
	v_add_f32_e32 v27, v19, v27
	v_fma_f32 v19, v23, v47, -v30
	v_mul_f32_e32 v23, v32, v46
	v_add_f32_e32 v25, v20, v25
	v_fmac_f32_e32 v28, v24, v47
	v_mul_f32_e32 v20, v31, v46
	v_add_f32_e32 v24, v21, v19
	v_fma_f32 v19, v31, v45, -v23
	v_mul_f32_e32 v21, v32, v48
	v_add_f32_e32 v23, v29, v28
	v_fmac_f32_e32 v20, v32, v45
	v_mul_f32_e32 v28, v31, v48
	v_add_f32_e32 v29, v22, v19
	v_fma_f32 v19, v31, v47, -v21
	s_waitcnt lgkmcnt(0)
	v_mul_f32_e32 v21, v34, v16
	v_add_f32_e32 v26, v26, v20
	v_fmac_f32_e32 v28, v32, v47
	v_mul_f32_e32 v30, v33, v16
	v_add_f32_e32 v13, v13, v19
	v_fma_f32 v31, v33, v15, -v21
	v_mul_f32_e32 v32, v34, v18
	ds_read2_b64 v[19:22], v7 offset0:96 offset1:112
	v_fmac_f32_e32 v30, v34, v15
	v_add_f32_e32 v28, v14, v28
	v_add_f32_e32 v27, v27, v31
	v_mul_f32_e32 v14, v33, v18
	v_fma_f32 v31, v33, v17, -v32
	v_add_f32_e32 v25, v25, v30
	v_mul_f32_e32 v30, v50, v16
	v_mul_f32_e32 v16, v49, v16
	v_fmac_f32_e32 v14, v34, v17
	v_add_f32_e32 v24, v24, v31
	v_mul_f32_e32 v31, v50, v18
	v_fma_f32 v30, v49, v15, -v30
	v_fmac_f32_e32 v16, v50, v15
	v_mul_f32_e32 v18, v49, v18
	v_add_f32_e32 v32, v23, v14
	v_fma_f32 v14, v49, v17, -v31
	v_add_f32_e32 v29, v29, v30
	v_add_f32_e32 v30, v26, v16
	v_fmac_f32_e32 v18, v50, v17
	s_waitcnt lgkmcnt(0)
	v_mul_f32_e32 v17, v36, v20
	v_add_f32_e32 v31, v13, v14
	ds_read2_b64 v[13:16], v7 offset0:128 offset1:144
	v_mul_f32_e32 v23, v35, v20
	v_mul_f32_e32 v26, v36, v22
	v_fma_f32 v17, v35, v19, -v17
	v_add_f32_e32 v28, v28, v18
	v_mul_f32_e32 v18, v35, v22
	v_fmac_f32_e32 v23, v36, v19
	v_fma_f32 v26, v35, v21, -v26
	v_add_f32_e32 v27, v27, v17
	v_mul_f32_e32 v17, v52, v20
	v_fmac_f32_e32 v18, v36, v21
	v_mul_f32_e32 v20, v51, v20
	v_mul_f32_e32 v35, v52, v22
	v_add_f32_e32 v33, v25, v23
	v_fma_f32 v17, v51, v19, -v17
	v_add_f32_e32 v34, v24, v26
	ds_read_b128 v[23:26], v8 offset:1056
	v_add_f32_e32 v32, v32, v18
	v_fmac_f32_e32 v20, v52, v19
	v_mul_f32_e32 v22, v51, v22
	v_fma_f32 v18, v51, v21, -v35
	v_add_f32_e32 v35, v29, v17
	s_waitcnt lgkmcnt(1)
	v_mul_f32_e32 v17, v38, v14
	v_add_f32_e32 v36, v30, v20
	v_fmac_f32_e32 v22, v52, v21
	v_add_f32_e32 v21, v31, v18
	v_mul_f32_e32 v31, v37, v14
	v_fma_f32 v29, v37, v13, -v17
	ds_read2_b64 v[17:20], v7 offset0:160 offset1:176
	v_mul_f32_e32 v30, v38, v16
	v_mul_f32_e32 v46, v37, v16
	v_fmac_f32_e32 v31, v38, v13
	v_add_f32_e32 v22, v28, v22
	v_add_f32_e32 v45, v27, v29
	v_fma_f32 v37, v37, v15, -v30
	ds_read_b128 v[27:30], v8 offset:1072
	s_waitcnt lgkmcnt(2)
	v_mul_f32_e32 v47, v24, v14
	v_add_f32_e32 v31, v33, v31
	v_mul_f32_e32 v14, v23, v14
	v_add_f32_e32 v33, v34, v37
	v_mul_f32_e32 v37, v24, v16
	v_fmac_f32_e32 v46, v38, v15
	v_fma_f32 v34, v23, v13, -v47
	v_fmac_f32_e32 v14, v24, v13
	v_mul_f32_e32 v38, v23, v16
	v_fma_f32 v13, v23, v15, -v37
	v_add_f32_e32 v32, v32, v46
	v_add_f32_e32 v34, v35, v34
	s_waitcnt lgkmcnt(1)
	v_mul_f32_e32 v16, v40, v18
	v_add_f32_e32 v23, v36, v14
	v_fmac_f32_e32 v38, v24, v15
	v_mul_f32_e32 v24, v39, v18
	v_add_f32_e32 v21, v21, v13
	v_fma_f32 v35, v39, v17, -v16
	ds_read2_b64 v[13:16], v7 offset0:192 offset1:208
	v_mul_f32_e32 v36, v40, v20
	v_fmac_f32_e32 v24, v40, v17
	v_add_f32_e32 v37, v22, v38
	v_mul_f32_e32 v22, v39, v20
	v_add_f32_e32 v35, v45, v35
	v_fma_f32 v36, v39, v19, -v36
	v_add_f32_e32 v31, v31, v24
	v_mul_f32_e32 v24, v26, v18
	v_mul_f32_e32 v18, v25, v18
	v_fmac_f32_e32 v22, v40, v19
	v_add_f32_e32 v33, v33, v36
	v_mul_f32_e32 v36, v26, v20
	v_fma_f32 v24, v25, v17, -v24
	v_fmac_f32_e32 v18, v26, v17
	v_add_f32_e32 v17, v32, v22
	v_mul_f32_e32 v20, v25, v20
	v_fma_f32 v22, v25, v19, -v36
	v_add_f32_e32 v25, v34, v24
	v_add_f32_e32 v18, v23, v18
	s_waitcnt lgkmcnt(0)
	v_mul_f32_e32 v32, v42, v14
	v_fmac_f32_e32 v20, v26, v19
	v_add_f32_e32 v19, v21, v22
	ds_read2_b64 v[21:24], v7 offset0:224 offset1:240
	v_mul_f32_e32 v26, v41, v14
	v_fma_f32 v32, v41, v13, -v32
	v_mul_f32_e32 v34, v42, v16
	v_mul_f32_e32 v36, v41, v16
	v_add_f32_e32 v20, v37, v20
	v_fmac_f32_e32 v26, v42, v13
	v_add_f32_e32 v32, v35, v32
	v_mul_f32_e32 v35, v28, v14
	v_fma_f32 v34, v41, v15, -v34
	v_fmac_f32_e32 v36, v42, v15
	v_add_f32_e32 v26, v31, v26
	v_mul_f32_e32 v14, v27, v14
	v_fma_f32 v31, v27, v13, -v35
	v_add_f32_e32 v33, v33, v34
	v_mul_f32_e32 v34, v28, v16
	v_add_f32_e32 v35, v17, v36
	v_fmac_f32_e32 v14, v28, v13
	v_add_f32_e32 v13, v25, v31
	v_mul_f32_e32 v16, v27, v16
	v_fma_f32 v17, v27, v15, -v34
	s_waitcnt lgkmcnt(0)
	v_mul_f32_e32 v25, v44, v22
	v_mul_f32_e32 v27, v43, v22
	v_add_f32_e32 v14, v18, v14
	v_fmac_f32_e32 v16, v28, v15
	v_add_f32_e32 v28, v19, v17
	v_fma_f32 v15, v43, v21, -v25
	v_fmac_f32_e32 v27, v44, v21
	v_mul_f32_e32 v17, v44, v24
	v_mul_f32_e32 v18, v43, v24
	v_add_f32_e32 v25, v20, v16
	v_add_f32_e32 v19, v32, v15
	;; [unrolled: 1-line block ×3, first 2 shown]
	v_fma_f32 v15, v43, v23, -v17
	v_mul_f32_e32 v16, v30, v22
	v_mul_f32_e32 v22, v29, v22
	;; [unrolled: 1-line block ×4, first 2 shown]
	v_fmac_f32_e32 v18, v44, v23
	v_add_f32_e32 v17, v33, v15
	v_fma_f32 v15, v29, v21, -v16
	v_fmac_f32_e32 v22, v30, v21
	v_fma_f32 v21, v29, v23, -v26
	v_fmac_f32_e32 v24, v30, v23
	v_add_f32_e32 v18, v35, v18
	v_add_f32_e32 v15, v13, v15
	;; [unrolled: 1-line block ×5, first 2 shown]
	s_barrier
	buffer_gl0_inv
	s_cbranch_scc0 .LBB89_16
.LBB89_8:                               ; =>This Inner Loop Header: Depth=1
	v_add_nc_u32_e32 v21, s26, v9
	v_cmp_le_i32_e32 vcc_lo, s21, v21
	s_or_b32 s6, s1, vcc_lo
	s_and_saveexec_b32 s7, s6
	s_xor_b32 s6, exec_lo, s7
; %bb.9:                                ;   in Loop: Header=BB89_8 Depth=1
	ds_write_b32 v10, v12
; %bb.10:                               ;   in Loop: Header=BB89_8 Depth=1
	s_or_saveexec_b32 s6, s6
	v_mov_b32_e32 v21, 0
	s_xor_b32 exec_lo, exec_lo, s6
	s_cbranch_execz .LBB89_12
; %bb.11:                               ;   in Loop: Header=BB89_8 Depth=1
	global_load_dwordx2 v[22:23], v[2:3], off
	s_waitcnt vmcnt(0)
	v_xor_b32_e32 v21, 0x80000000, v23
	ds_write_b32 v10, v22
.LBB89_12:                              ;   in Loop: Header=BB89_8 Depth=1
	s_or_b32 exec_lo, exec_lo, s6
	v_add_nc_u32_e32 v22, s26, v6
	ds_write_b32 v10, v21 offset:4
	v_cmp_le_i32_e32 vcc_lo, s21, v22
	s_or_b32 s6, vcc_lo, s0
	s_and_saveexec_b32 s7, s6
	s_xor_b32 s6, exec_lo, s7
; %bb.13:                               ;   in Loop: Header=BB89_8 Depth=1
	ds_write_b32 v11, v12
; %bb.14:                               ;   in Loop: Header=BB89_8 Depth=1
	s_or_saveexec_b32 s6, s6
	v_mov_b32_e32 v21, 0
	s_xor_b32 exec_lo, exec_lo, s6
	s_cbranch_execz .LBB89_7
; %bb.15:                               ;   in Loop: Header=BB89_8 Depth=1
	global_load_dwordx2 v[22:23], v[4:5], off offset:-4
	s_waitcnt vmcnt(0)
	v_xor_b32_e32 v21, 0x80000000, v23
	ds_write_b32 v11, v22
	s_branch .LBB89_7
.LBB89_16:
	s_clause 0x1
	s_load_dword s3, s[4:5], 0x50
	s_load_dwordx2 s[0:1], s[4:5], 0x58
	v_add_nc_u32_e32 v9, s25, v1
	v_add_nc_u32_e32 v0, s24, v0
	v_cmp_neq_f32_e64 s2, s10, 0
	v_cmp_le_i32_e32 vcc_lo, v9, v0
	s_waitcnt lgkmcnt(0)
	v_mad_i64_i32 v[1:2], null, v9, s3, 0
	s_mul_i32 s1, s1, s8
	s_mul_hi_u32 s5, s0, s8
	s_mul_i32 s4, s0, s8
	s_add_i32 s5, s5, s1
	v_cmp_gt_i32_e64 s0, s20, v0
	s_lshl_b64 s[4:5], s[4:5], 3
	v_lshlrev_b64 v[2:3], 3, v[1:2]
	s_add_u32 s4, s22, s4
	s_addc_u32 s5, s23, s5
	s_xor_b32 s6, s9, -1
	v_ashrrev_i32_e32 v1, 31, v0
	s_or_b32 s2, s2, s6
	v_add_co_u32 v6, s1, s4, v2
	v_add_co_ci_u32_e64 v7, null, s5, v3, s1
	v_cndmask_b32_e64 v8, 0, 1, s2
	s_and_b32 s6, vcc_lo, s0
	s_and_saveexec_b32 s1, s6
	s_cbranch_execz .LBB89_20
; %bb.17:
	v_lshlrev_b64 v[4:5], 3, v[0:1]
	v_mul_f32_e32 v2, s15, v20
	v_mul_f32_e32 v3, s14, v20
	v_fma_f32 v2, v19, s14, -v2
	v_add_co_u32 v4, vcc_lo, v6, v4
	v_fmac_f32_e32 v3, s15, v19
	v_add_co_ci_u32_e64 v5, null, v7, v5, vcc_lo
	s_andn2_b32 vcc_lo, exec_lo, s2
	s_cbranch_vccnz .LBB89_19
; %bb.18:
	global_load_dwordx2 v[10:11], v[4:5], off
	s_waitcnt vmcnt(0)
	v_mul_f32_e32 v12, s11, v11
	v_mul_f32_e32 v11, s10, v11
	v_fma_f32 v12, v10, s10, -v12
	v_fmac_f32_e32 v11, s11, v10
	v_add_f32_e32 v2, v2, v12
	v_add_f32_e32 v3, v3, v11
.LBB89_19:
	global_store_dwordx2 v[4:5], v[2:3], off
.LBB89_20:
	s_or_b32 exec_lo, exec_lo, s1
	v_add_nc_u32_e32 v2, 16, v0
	v_cmp_le_i32_e32 vcc_lo, v9, v2
	v_cmp_gt_i32_e64 s1, s20, v2
	v_ashrrev_i32_e32 v3, 31, v2
	s_and_b32 s2, vcc_lo, s1
	s_and_saveexec_b32 s6, s2
	s_cbranch_execz .LBB89_24
; %bb.21:
	v_lshlrev_b64 v[10:11], 3, v[2:3]
	v_mul_f32_e32 v4, s15, v18
	v_mul_f32_e32 v5, s14, v18
	v_cmp_ne_u32_e32 vcc_lo, 1, v8
	v_fma_f32 v4, v17, s14, -v4
	v_add_co_u32 v6, s2, v6, v10
	v_fmac_f32_e32 v5, s15, v17
	v_add_co_ci_u32_e64 v7, null, v7, v11, s2
	s_cbranch_vccnz .LBB89_23
; %bb.22:
	global_load_dwordx2 v[10:11], v[6:7], off
	s_waitcnt vmcnt(0)
	v_mul_f32_e32 v12, s11, v11
	v_mul_f32_e32 v11, s10, v11
	v_fma_f32 v12, v10, s10, -v12
	v_fmac_f32_e32 v11, s11, v10
	v_add_f32_e32 v4, v4, v12
	v_add_f32_e32 v5, v5, v11
.LBB89_23:
	global_store_dwordx2 v[6:7], v[4:5], off
.LBB89_24:
	s_or_b32 exec_lo, exec_lo, s6
	v_add_nc_u32_e32 v9, 16, v9
	v_mad_i64_i32 v[4:5], null, v9, s3, 0
	v_cmp_le_i32_e32 vcc_lo, v9, v0
	s_and_b32 s0, vcc_lo, s0
	v_lshlrev_b64 v[4:5], 3, v[4:5]
	v_add_co_u32 v6, s2, s4, v4
	v_add_co_ci_u32_e64 v7, null, s5, v5, s2
	s_and_saveexec_b32 s2, s0
	s_cbranch_execz .LBB89_28
; %bb.25:
	v_lshlrev_b64 v[0:1], 3, v[0:1]
	v_mul_f32_e32 v4, s15, v16
	v_mul_f32_e32 v5, s14, v16
	v_cmp_ne_u32_e32 vcc_lo, 1, v8
	v_fma_f32 v4, v15, s14, -v4
	v_add_co_u32 v0, s0, v6, v0
	v_fmac_f32_e32 v5, s15, v15
	v_add_co_ci_u32_e64 v1, null, v7, v1, s0
	s_cbranch_vccnz .LBB89_27
; %bb.26:
	global_load_dwordx2 v[10:11], v[0:1], off
	s_waitcnt vmcnt(0)
	v_mul_f32_e32 v12, s11, v11
	v_mul_f32_e32 v11, s10, v11
	v_fma_f32 v12, v10, s10, -v12
	v_fmac_f32_e32 v11, s11, v10
	v_add_f32_e32 v4, v4, v12
	v_add_f32_e32 v5, v5, v11
.LBB89_27:
	global_store_dwordx2 v[0:1], v[4:5], off
.LBB89_28:
	s_or_b32 exec_lo, exec_lo, s2
	v_cmp_le_i32_e32 vcc_lo, v9, v2
	s_and_b32 s0, vcc_lo, s1
	s_and_saveexec_b32 s1, s0
	s_cbranch_execz .LBB89_32
; %bb.29:
	v_lshlrev_b64 v[2:3], 3, v[2:3]
	v_mul_f32_e32 v0, s15, v14
	v_mul_f32_e32 v1, s14, v14
	v_cmp_ne_u32_e32 vcc_lo, 1, v8
	v_fma_f32 v0, v13, s14, -v0
	v_add_co_u32 v2, s0, v6, v2
	v_fmac_f32_e32 v1, s15, v13
	v_add_co_ci_u32_e64 v3, null, v7, v3, s0
	s_cbranch_vccnz .LBB89_31
; %bb.30:
	global_load_dwordx2 v[4:5], v[2:3], off
	s_waitcnt vmcnt(0)
	v_mul_f32_e32 v6, s11, v5
	v_mul_f32_e32 v5, s10, v5
	v_fma_f32 v6, v4, s10, -v6
	v_fmac_f32_e32 v5, s11, v4
	v_add_f32_e32 v0, v0, v6
	v_add_f32_e32 v1, v1, v5
.LBB89_31:
	global_store_dwordx2 v[2:3], v[0:1], off
.LBB89_32:
	s_endpgm
	.section	.rodata,"a",@progbits
	.p2align	6, 0x0
	.amdhsa_kernel _ZL29rocblas_internal_gemmt_kernelIiLi16ELi32ELi8ELc67ELc67ELc76ELb1ELb1E19rocblas_complex_numIfEPKS1_S3_PS1_EviT_T9_T10_S5_lS7_S5_lS6_T11_S5_li
		.amdhsa_group_segment_fixed_size 4096
		.amdhsa_private_segment_fixed_size 0
		.amdhsa_kernarg_size 100
		.amdhsa_user_sgpr_count 6
		.amdhsa_user_sgpr_private_segment_buffer 1
		.amdhsa_user_sgpr_dispatch_ptr 0
		.amdhsa_user_sgpr_queue_ptr 0
		.amdhsa_user_sgpr_kernarg_segment_ptr 1
		.amdhsa_user_sgpr_dispatch_id 0
		.amdhsa_user_sgpr_flat_scratch_init 0
		.amdhsa_user_sgpr_private_segment_size 0
		.amdhsa_wavefront_size32 1
		.amdhsa_uses_dynamic_stack 0
		.amdhsa_system_sgpr_private_segment_wavefront_offset 0
		.amdhsa_system_sgpr_workgroup_id_x 1
		.amdhsa_system_sgpr_workgroup_id_y 1
		.amdhsa_system_sgpr_workgroup_id_z 1
		.amdhsa_system_sgpr_workgroup_info 0
		.amdhsa_system_vgpr_workitem_id 1
		.amdhsa_next_free_vgpr 59
		.amdhsa_next_free_sgpr 28
		.amdhsa_reserve_vcc 1
		.amdhsa_reserve_flat_scratch 0
		.amdhsa_float_round_mode_32 0
		.amdhsa_float_round_mode_16_64 0
		.amdhsa_float_denorm_mode_32 3
		.amdhsa_float_denorm_mode_16_64 3
		.amdhsa_dx10_clamp 1
		.amdhsa_ieee_mode 1
		.amdhsa_fp16_overflow 0
		.amdhsa_workgroup_processor_mode 1
		.amdhsa_memory_ordered 1
		.amdhsa_forward_progress 1
		.amdhsa_shared_vgpr_count 0
		.amdhsa_exception_fp_ieee_invalid_op 0
		.amdhsa_exception_fp_denorm_src 0
		.amdhsa_exception_fp_ieee_div_zero 0
		.amdhsa_exception_fp_ieee_overflow 0
		.amdhsa_exception_fp_ieee_underflow 0
		.amdhsa_exception_fp_ieee_inexact 0
		.amdhsa_exception_int_div_zero 0
	.end_amdhsa_kernel
	.section	.text._ZL29rocblas_internal_gemmt_kernelIiLi16ELi32ELi8ELc67ELc67ELc76ELb1ELb1E19rocblas_complex_numIfEPKS1_S3_PS1_EviT_T9_T10_S5_lS7_S5_lS6_T11_S5_li,"axG",@progbits,_ZL29rocblas_internal_gemmt_kernelIiLi16ELi32ELi8ELc67ELc67ELc76ELb1ELb1E19rocblas_complex_numIfEPKS1_S3_PS1_EviT_T9_T10_S5_lS7_S5_lS6_T11_S5_li,comdat
.Lfunc_end89:
	.size	_ZL29rocblas_internal_gemmt_kernelIiLi16ELi32ELi8ELc67ELc67ELc76ELb1ELb1E19rocblas_complex_numIfEPKS1_S3_PS1_EviT_T9_T10_S5_lS7_S5_lS6_T11_S5_li, .Lfunc_end89-_ZL29rocblas_internal_gemmt_kernelIiLi16ELi32ELi8ELc67ELc67ELc76ELb1ELb1E19rocblas_complex_numIfEPKS1_S3_PS1_EviT_T9_T10_S5_lS7_S5_lS6_T11_S5_li
                                        ; -- End function
	.set _ZL29rocblas_internal_gemmt_kernelIiLi16ELi32ELi8ELc67ELc67ELc76ELb1ELb1E19rocblas_complex_numIfEPKS1_S3_PS1_EviT_T9_T10_S5_lS7_S5_lS6_T11_S5_li.num_vgpr, 59
	.set _ZL29rocblas_internal_gemmt_kernelIiLi16ELi32ELi8ELc67ELc67ELc76ELb1ELb1E19rocblas_complex_numIfEPKS1_S3_PS1_EviT_T9_T10_S5_lS7_S5_lS6_T11_S5_li.num_agpr, 0
	.set _ZL29rocblas_internal_gemmt_kernelIiLi16ELi32ELi8ELc67ELc67ELc76ELb1ELb1E19rocblas_complex_numIfEPKS1_S3_PS1_EviT_T9_T10_S5_lS7_S5_lS6_T11_S5_li.numbered_sgpr, 28
	.set _ZL29rocblas_internal_gemmt_kernelIiLi16ELi32ELi8ELc67ELc67ELc76ELb1ELb1E19rocblas_complex_numIfEPKS1_S3_PS1_EviT_T9_T10_S5_lS7_S5_lS6_T11_S5_li.num_named_barrier, 0
	.set _ZL29rocblas_internal_gemmt_kernelIiLi16ELi32ELi8ELc67ELc67ELc76ELb1ELb1E19rocblas_complex_numIfEPKS1_S3_PS1_EviT_T9_T10_S5_lS7_S5_lS6_T11_S5_li.private_seg_size, 0
	.set _ZL29rocblas_internal_gemmt_kernelIiLi16ELi32ELi8ELc67ELc67ELc76ELb1ELb1E19rocblas_complex_numIfEPKS1_S3_PS1_EviT_T9_T10_S5_lS7_S5_lS6_T11_S5_li.uses_vcc, 1
	.set _ZL29rocblas_internal_gemmt_kernelIiLi16ELi32ELi8ELc67ELc67ELc76ELb1ELb1E19rocblas_complex_numIfEPKS1_S3_PS1_EviT_T9_T10_S5_lS7_S5_lS6_T11_S5_li.uses_flat_scratch, 0
	.set _ZL29rocblas_internal_gemmt_kernelIiLi16ELi32ELi8ELc67ELc67ELc76ELb1ELb1E19rocblas_complex_numIfEPKS1_S3_PS1_EviT_T9_T10_S5_lS7_S5_lS6_T11_S5_li.has_dyn_sized_stack, 0
	.set _ZL29rocblas_internal_gemmt_kernelIiLi16ELi32ELi8ELc67ELc67ELc76ELb1ELb1E19rocblas_complex_numIfEPKS1_S3_PS1_EviT_T9_T10_S5_lS7_S5_lS6_T11_S5_li.has_recursion, 0
	.set _ZL29rocblas_internal_gemmt_kernelIiLi16ELi32ELi8ELc67ELc67ELc76ELb1ELb1E19rocblas_complex_numIfEPKS1_S3_PS1_EviT_T9_T10_S5_lS7_S5_lS6_T11_S5_li.has_indirect_call, 0
	.section	.AMDGPU.csdata,"",@progbits
; Kernel info:
; codeLenInByte = 2580
; TotalNumSgprs: 30
; NumVgprs: 59
; ScratchSize: 0
; MemoryBound: 0
; FloatMode: 240
; IeeeMode: 1
; LDSByteSize: 4096 bytes/workgroup (compile time only)
; SGPRBlocks: 0
; VGPRBlocks: 7
; NumSGPRsForWavesPerEU: 30
; NumVGPRsForWavesPerEU: 59
; Occupancy: 16
; WaveLimiterHint : 0
; COMPUTE_PGM_RSRC2:SCRATCH_EN: 0
; COMPUTE_PGM_RSRC2:USER_SGPR: 6
; COMPUTE_PGM_RSRC2:TRAP_HANDLER: 0
; COMPUTE_PGM_RSRC2:TGID_X_EN: 1
; COMPUTE_PGM_RSRC2:TGID_Y_EN: 1
; COMPUTE_PGM_RSRC2:TGID_Z_EN: 1
; COMPUTE_PGM_RSRC2:TIDIG_COMP_CNT: 1
	.section	.text._ZL29rocblas_internal_gemmt_kernelIiLi16ELi32ELi8ELc78ELc78ELc85ELb0ELb0E19rocblas_complex_numIfES1_PKS1_PS1_EviT_T9_T10_S5_lS7_S5_lS6_T11_S5_li,"axG",@progbits,_ZL29rocblas_internal_gemmt_kernelIiLi16ELi32ELi8ELc78ELc78ELc85ELb0ELb0E19rocblas_complex_numIfES1_PKS1_PS1_EviT_T9_T10_S5_lS7_S5_lS6_T11_S5_li,comdat
	.globl	_ZL29rocblas_internal_gemmt_kernelIiLi16ELi32ELi8ELc78ELc78ELc85ELb0ELb0E19rocblas_complex_numIfES1_PKS1_PS1_EviT_T9_T10_S5_lS7_S5_lS6_T11_S5_li ; -- Begin function _ZL29rocblas_internal_gemmt_kernelIiLi16ELi32ELi8ELc78ELc78ELc85ELb0ELb0E19rocblas_complex_numIfES1_PKS1_PS1_EviT_T9_T10_S5_lS7_S5_lS6_T11_S5_li
	.p2align	8
	.type	_ZL29rocblas_internal_gemmt_kernelIiLi16ELi32ELi8ELc78ELc78ELc85ELb0ELb0E19rocblas_complex_numIfES1_PKS1_PS1_EviT_T9_T10_S5_lS7_S5_lS6_T11_S5_li,@function
_ZL29rocblas_internal_gemmt_kernelIiLi16ELi32ELi8ELc78ELc78ELc85ELb0ELb0E19rocblas_complex_numIfES1_PKS1_PS1_EviT_T9_T10_S5_lS7_S5_lS6_T11_S5_li: ; @_ZL29rocblas_internal_gemmt_kernelIiLi16ELi32ELi8ELc78ELc78ELc85ELb0ELb0E19rocblas_complex_numIfES1_PKS1_PS1_EviT_T9_T10_S5_lS7_S5_lS6_T11_S5_li
; %bb.0:
	s_clause 0x1
	s_load_dwordx2 s[2:3], s[4:5], 0x40
	s_load_dwordx4 s[12:15], s[4:5], 0x0
	s_waitcnt lgkmcnt(0)
	s_and_b32 s0, s3, 0x7fffffff
	v_cmp_eq_f32_e64 s1, s2, 1.0
	s_cmp_eq_u32 s0, 0
	s_mov_b32 s0, 0
	s_cselect_b32 s9, -1, 0
	s_and_b32 s1, s1, s9
	s_andn2_b32 vcc_lo, exec_lo, s1
	s_mov_b32 s1, -1
	s_cbranch_vccnz .LBB90_4
; %bb.1:
	s_cmp_lg_u32 s13, 0
	s_cbranch_scc0 .LBB90_3
; %bb.2:
	v_cmp_neq_f32_e64 s0, s14, 0
	v_cmp_neq_f32_e64 s1, s15, 0
	s_or_b32 s0, s0, s1
.LBB90_3:
	s_mov_b32 s1, s0
.LBB90_4:
	s_and_b32 vcc_lo, exec_lo, s1
	s_cbranch_vccz .LBB90_32
; %bb.5:
	v_cmp_eq_f32_e64 s0, s14, 0
	v_cmp_eq_f32_e64 s1, s15, 0
	s_lshl_b32 s10, s6, 5
	s_lshl_b32 s11, s7, 5
	v_mov_b32_e32 v20, 0
	v_mov_b32_e32 v21, 0
	s_and_b32 s0, s0, s1
	s_cmp_lt_i32 s13, 1
	v_mov_b32_e32 v18, 0
	s_cselect_b32 s1, -1, 0
	v_mov_b32_e32 v19, 0
	v_mov_b32_e32 v16, 0
	;; [unrolled: 1-line block ×5, first 2 shown]
	s_or_b32 s0, s0, s1
	s_mov_b32 s20, 0
	s_and_b32 vcc_lo, exec_lo, s0
	s_cbranch_vccnz .LBB90_16
; %bb.6:
	s_clause 0x1
	s_load_dword s6, s[4:5], 0x18
	s_load_dwordx2 s[22:23], s[4:5], 0x10
	v_lshl_add_u32 v2, v1, 4, v0
	v_and_b32_e32 v8, 7, v0
	s_clause 0x2
	s_load_dwordx4 s[16:19], s[4:5], 0x20
	s_load_dword s1, s[4:5], 0x30
	s_load_dwordx2 s[24:25], s[4:5], 0x38
	v_and_b32_e32 v4, 31, v2
	v_lshrrev_b32_e32 v3, 3, v2
	v_lshlrev_b32_e32 v14, 3, v8
	v_lshrrev_b32_e32 v9, 5, v2
	v_lshlrev_b32_e32 v12, 3, v0
	v_or_b32_e32 v2, s10, v4
	v_add_nc_u32_e32 v6, s11, v3
	v_lshl_or_b32 v3, v3, 6, v14
	v_lshlrev_b32_e32 v5, 3, v4
	v_add_nc_u32_e32 v4, s10, v4
	v_cmp_gt_i32_e32 vcc_lo, s12, v2
	v_cmp_gt_i32_e64 s0, s12, v6
	v_add_nc_u32_e32 v11, 0x800, v3
	s_waitcnt lgkmcnt(0)
	v_mad_i64_i32 v[2:3], null, v9, s6, 0
	v_lshl_or_b32 v10, v9, 8, v5
	v_ashrrev_i32_e32 v5, 31, v4
	s_mul_i32 s17, s17, s8
	s_mul_hi_u32 s21, s16, s8
	s_mul_i32 s16, s16, s8
	s_add_i32 s17, s21, s17
	v_lshlrev_b64 v[2:3], 3, v[2:3]
	v_mad_i64_i32 v[6:7], null, s1, v6, 0
	s_lshl_b64 s[16:17], s[16:17], 3
	v_lshl_add_u32 v13, v1, 6, 0x800
	v_mov_b32_e32 v17, 0
	v_add_co_u32 v15, s1, v2, s16
	v_add_co_ci_u32_e64 v16, null, s17, v3, s1
	v_lshlrev_b64 v[2:3], 3, v[4:5]
	s_mul_i32 s1, s25, s8
	s_mul_hi_u32 s16, s24, s8
	v_lshlrev_b64 v[4:5], 3, v[6:7]
	s_add_i32 s17, s16, s1
	s_mul_i32 s16, s24, s8
	v_add_co_u32 v2, s1, v15, v2
	s_lshl_b64 s[16:17], s[16:17], 3
	v_add_co_ci_u32_e64 v3, null, v16, v3, s1
	v_add_co_u32 v4, s1, v4, s16
	v_add_co_ci_u32_e64 v5, null, s17, v5, s1
	v_add_co_u32 v2, s1, s22, v2
	;; [unrolled: 2-line block ×3, first 2 shown]
	v_add_co_ci_u32_e64 v5, null, 0, v5, s1
	v_mov_b32_e32 v4, 0
	v_add_co_u32 v6, s1, s18, v6
	v_add_co_ci_u32_e64 v7, null, s19, v5, s1
	v_mov_b32_e32 v15, 0
	v_mov_b32_e32 v14, 0
	;; [unrolled: 1-line block ×7, first 2 shown]
	s_ashr_i32 s7, s6, 31
	s_xor_b32 s1, vcc_lo, -1
	s_lshl_b64 s[6:7], s[6:7], 6
	s_xor_b32 s0, s0, -1
	s_branch .LBB90_8
.LBB90_7:                               ;   in Loop: Header=BB90_8 Depth=1
	s_or_b32 exec_lo, exec_lo, s16
	s_waitcnt lgkmcnt(0)
	s_barrier
	buffer_gl0_inv
	ds_read_b128 v[22:25], v13
	ds_read2_b64 v[26:29], v12 offset1:16
	ds_read_b128 v[30:33], v13 offset:1024
	ds_read_b128 v[34:37], v13 offset:16
	;; [unrolled: 1-line block ×4, first 2 shown]
	ds_read2_b64 v[46:49], v12 offset0:32 offset1:48
	ds_read_b128 v[50:53], v13 offset:1040
	v_add_co_u32 v2, vcc_lo, v2, s6
	v_add_co_ci_u32_e64 v3, null, s7, v3, vcc_lo
	v_add_co_u32 v6, vcc_lo, v6, 64
	v_add_co_ci_u32_e64 v7, null, 0, v7, vcc_lo
	s_add_i32 s20, s20, 8
	s_cmp_lt_i32 s20, s13
	s_waitcnt lgkmcnt(6)
	v_mul_f32_e32 v5, v23, v27
	v_mul_f32_e32 v54, v22, v27
	;; [unrolled: 1-line block ×4, first 2 shown]
	s_waitcnt lgkmcnt(5)
	v_mul_f32_e32 v57, v31, v27
	v_mul_f32_e32 v27, v30, v27
	;; [unrolled: 1-line block ×3, first 2 shown]
	v_fma_f32 v5, v22, v26, -v5
	v_fmac_f32_e32 v54, v23, v26
	v_fma_f32 v22, v22, v28, -v55
	v_fmac_f32_e32 v56, v23, v28
	;; [unrolled: 2-line block ×3, first 2 shown]
	v_mul_f32_e32 v29, v30, v29
	v_fma_f32 v26, v30, v28, -v58
	v_add_f32_e32 v5, v20, v5
	v_add_f32_e32 v20, v21, v54
	;; [unrolled: 1-line block ×6, first 2 shown]
	s_waitcnt lgkmcnt(1)
	v_mul_f32_e32 v30, v25, v47
	ds_read2_b64 v[16:19], v12 offset0:64 offset1:80
	v_fmac_f32_e32 v29, v31, v28
	v_add_f32_e32 v14, v14, v26
	v_mul_f32_e32 v26, v24, v47
	v_fma_f32 v28, v24, v46, -v30
	v_mul_f32_e32 v30, v25, v49
	v_add_f32_e32 v15, v15, v29
	v_mul_f32_e32 v29, v24, v49
	v_fmac_f32_e32 v26, v25, v46
	v_add_f32_e32 v5, v5, v28
	v_fma_f32 v24, v24, v48, -v30
	v_mul_f32_e32 v28, v33, v47
	v_fmac_f32_e32 v29, v25, v48
	v_add_f32_e32 v26, v20, v26
	v_mul_f32_e32 v20, v32, v47
	v_add_f32_e32 v24, v21, v24
	v_fma_f32 v21, v32, v46, -v28
	v_mul_f32_e32 v25, v33, v49
	v_add_f32_e32 v28, v22, v29
	v_fmac_f32_e32 v20, v33, v46
	v_mul_f32_e32 v29, v32, v49
	v_add_f32_e32 v30, v23, v21
	v_fma_f32 v21, v32, v48, -v25
	s_waitcnt lgkmcnt(0)
	v_mul_f32_e32 v22, v35, v17
	v_add_f32_e32 v25, v27, v20
	v_fmac_f32_e32 v29, v33, v48
	v_mul_f32_e32 v27, v34, v17
	v_add_f32_e32 v14, v14, v21
	v_fma_f32 v31, v34, v16, -v22
	v_mul_f32_e32 v32, v35, v19
	ds_read2_b64 v[20:23], v12 offset0:96 offset1:112
	v_fmac_f32_e32 v27, v35, v16
	v_add_f32_e32 v29, v15, v29
	v_add_f32_e32 v5, v5, v31
	v_mul_f32_e32 v15, v34, v19
	v_fma_f32 v31, v34, v18, -v32
	v_add_f32_e32 v26, v26, v27
	v_mul_f32_e32 v27, v51, v17
	v_mul_f32_e32 v17, v50, v17
	v_fmac_f32_e32 v15, v35, v18
	v_add_f32_e32 v24, v24, v31
	v_mul_f32_e32 v31, v51, v19
	v_mul_f32_e32 v19, v50, v19
	v_fmac_f32_e32 v17, v51, v16
	v_add_f32_e32 v28, v28, v15
	v_fma_f32 v27, v50, v16, -v27
	v_fma_f32 v15, v50, v18, -v31
	v_fmac_f32_e32 v19, v51, v18
	v_add_f32_e32 v31, v25, v17
	s_waitcnt lgkmcnt(0)
	v_mul_f32_e32 v18, v37, v21
	v_add_f32_e32 v32, v14, v15
	ds_read2_b64 v[14:17], v12 offset0:128 offset1:144
	v_add_f32_e32 v30, v30, v27
	v_mul_f32_e32 v25, v36, v21
	v_fma_f32 v18, v36, v20, -v18
	v_mul_f32_e32 v27, v37, v23
	v_add_f32_e32 v29, v29, v19
	v_mul_f32_e32 v19, v36, v23
	v_fmac_f32_e32 v25, v37, v20
	v_add_f32_e32 v5, v5, v18
	v_mul_f32_e32 v18, v53, v21
	v_fma_f32 v27, v36, v22, -v27
	v_fmac_f32_e32 v19, v37, v22
	v_mul_f32_e32 v21, v52, v21
	v_mul_f32_e32 v35, v53, v23
	v_fma_f32 v18, v52, v20, -v18
	v_add_f32_e32 v33, v26, v25
	v_add_f32_e32 v34, v24, v27
	ds_read_b128 v[24:27], v13 offset:1056
	v_add_f32_e32 v36, v28, v19
	v_fmac_f32_e32 v21, v53, v20
	v_mul_f32_e32 v23, v52, v23
	v_fma_f32 v19, v52, v22, -v35
	v_add_f32_e32 v35, v30, v18
	s_waitcnt lgkmcnt(1)
	v_mul_f32_e32 v18, v39, v15
	v_add_f32_e32 v37, v31, v21
	v_fmac_f32_e32 v23, v53, v22
	v_add_f32_e32 v22, v32, v19
	v_mul_f32_e32 v32, v38, v15
	v_fma_f32 v28, v38, v14, -v18
	ds_read2_b64 v[18:21], v12 offset0:160 offset1:176
	v_mul_f32_e32 v30, v39, v17
	v_mul_f32_e32 v46, v38, v17
	v_fmac_f32_e32 v32, v39, v14
	v_add_f32_e32 v23, v29, v23
	v_add_f32_e32 v5, v5, v28
	v_fma_f32 v38, v38, v16, -v30
	ds_read_b128 v[28:31], v13 offset:1072
	s_waitcnt lgkmcnt(2)
	v_mul_f32_e32 v47, v25, v15
	v_add_f32_e32 v32, v33, v32
	v_mul_f32_e32 v15, v24, v15
	v_add_f32_e32 v33, v34, v38
	v_mul_f32_e32 v38, v25, v17
	v_fmac_f32_e32 v46, v39, v16
	v_fma_f32 v34, v24, v14, -v47
	v_fmac_f32_e32 v15, v25, v14
	v_mul_f32_e32 v39, v24, v17
	v_fma_f32 v14, v24, v16, -v38
	v_add_f32_e32 v36, v36, v46
	v_add_f32_e32 v34, v35, v34
	s_waitcnt lgkmcnt(1)
	v_mul_f32_e32 v17, v41, v19
	v_add_f32_e32 v24, v37, v15
	v_fmac_f32_e32 v39, v25, v16
	v_mul_f32_e32 v25, v40, v19
	v_add_f32_e32 v22, v22, v14
	v_fma_f32 v35, v40, v18, -v17
	ds_read2_b64 v[14:17], v12 offset0:192 offset1:208
	v_mul_f32_e32 v37, v41, v21
	v_fmac_f32_e32 v25, v41, v18
	v_add_f32_e32 v38, v23, v39
	v_add_f32_e32 v5, v5, v35
	v_mul_f32_e32 v23, v40, v21
	v_fma_f32 v35, v40, v20, -v37
	v_add_f32_e32 v32, v32, v25
	v_mul_f32_e32 v25, v27, v19
	v_mul_f32_e32 v19, v26, v19
	v_fmac_f32_e32 v23, v41, v20
	v_add_f32_e32 v33, v33, v35
	v_mul_f32_e32 v35, v27, v21
	v_fma_f32 v25, v26, v18, -v25
	v_fmac_f32_e32 v19, v27, v18
	v_add_f32_e32 v18, v36, v23
	v_mul_f32_e32 v21, v26, v21
	v_fma_f32 v23, v26, v20, -v35
	v_add_f32_e32 v26, v34, v25
	v_add_f32_e32 v19, v24, v19
	s_waitcnt lgkmcnt(0)
	v_mul_f32_e32 v34, v43, v15
	v_fmac_f32_e32 v21, v27, v20
	v_add_f32_e32 v20, v22, v23
	ds_read2_b64 v[22:25], v12 offset0:224 offset1:240
	v_mul_f32_e32 v27, v42, v15
	v_fma_f32 v34, v42, v14, -v34
	v_mul_f32_e32 v35, v43, v17
	v_mul_f32_e32 v36, v42, v17
	v_add_f32_e32 v21, v38, v21
	v_fmac_f32_e32 v27, v43, v14
	v_add_f32_e32 v5, v5, v34
	v_mul_f32_e32 v34, v29, v15
	v_fma_f32 v35, v42, v16, -v35
	v_fmac_f32_e32 v36, v43, v16
	v_add_f32_e32 v27, v32, v27
	v_mul_f32_e32 v15, v28, v15
	v_fma_f32 v32, v28, v14, -v34
	v_mul_f32_e32 v34, v29, v17
	v_add_f32_e32 v33, v33, v35
	v_add_f32_e32 v35, v18, v36
	v_fmac_f32_e32 v15, v29, v14
	v_add_f32_e32 v14, v26, v32
	v_mul_f32_e32 v17, v28, v17
	v_fma_f32 v18, v28, v16, -v34
	s_waitcnt lgkmcnt(0)
	v_mul_f32_e32 v26, v45, v23
	v_mul_f32_e32 v28, v44, v23
	v_add_f32_e32 v15, v19, v15
	v_fmac_f32_e32 v17, v29, v16
	v_add_f32_e32 v29, v20, v18
	v_fma_f32 v16, v44, v22, -v26
	v_mul_f32_e32 v18, v45, v25
	v_mul_f32_e32 v19, v44, v25
	v_add_f32_e32 v26, v21, v17
	v_mul_f32_e32 v17, v30, v23
	v_add_f32_e32 v20, v5, v16
	v_fma_f32 v5, v44, v24, -v18
	v_mul_f32_e32 v16, v31, v23
	v_mul_f32_e32 v23, v31, v25
	;; [unrolled: 1-line block ×3, first 2 shown]
	v_fmac_f32_e32 v28, v45, v22
	v_fmac_f32_e32 v19, v45, v24
	v_add_f32_e32 v18, v33, v5
	v_fma_f32 v5, v30, v22, -v16
	v_fmac_f32_e32 v17, v31, v22
	v_fma_f32 v22, v30, v24, -v23
	v_fmac_f32_e32 v25, v31, v24
	v_add_f32_e32 v21, v27, v28
	v_add_f32_e32 v19, v35, v19
	;; [unrolled: 1-line block ×6, first 2 shown]
	s_barrier
	buffer_gl0_inv
	s_cbranch_scc0 .LBB90_16
.LBB90_8:                               ; =>This Inner Loop Header: Depth=1
	v_add_nc_u32_e32 v5, s20, v9
	v_cmp_le_i32_e32 vcc_lo, s13, v5
	s_or_b32 s16, s1, vcc_lo
	s_and_saveexec_b32 s17, s16
	s_xor_b32 s16, exec_lo, s17
; %bb.9:                                ;   in Loop: Header=BB90_8 Depth=1
	v_mov_b32_e32 v5, v4
	ds_write_b64 v10, v[4:5]
; %bb.10:                               ;   in Loop: Header=BB90_8 Depth=1
	s_andn2_saveexec_b32 s16, s16
	s_cbranch_execz .LBB90_12
; %bb.11:                               ;   in Loop: Header=BB90_8 Depth=1
	global_load_dwordx2 v[22:23], v[2:3], off
	s_waitcnt vmcnt(0)
	ds_write_b64 v10, v[22:23]
.LBB90_12:                              ;   in Loop: Header=BB90_8 Depth=1
	s_or_b32 exec_lo, exec_lo, s16
	v_add_nc_u32_e32 v5, s20, v8
	v_cmp_le_i32_e32 vcc_lo, s13, v5
	s_or_b32 s16, vcc_lo, s0
	s_and_saveexec_b32 s17, s16
	s_xor_b32 s16, exec_lo, s17
; %bb.13:                               ;   in Loop: Header=BB90_8 Depth=1
	v_mov_b32_e32 v5, v4
	ds_write_b64 v11, v[4:5]
; %bb.14:                               ;   in Loop: Header=BB90_8 Depth=1
	s_andn2_saveexec_b32 s16, s16
	s_cbranch_execz .LBB90_7
; %bb.15:                               ;   in Loop: Header=BB90_8 Depth=1
	global_load_dwordx2 v[22:23], v[6:7], off
	s_waitcnt vmcnt(0)
	ds_write_b64 v11, v[22:23]
	s_branch .LBB90_7
.LBB90_16:
	s_clause 0x2
	s_load_dword s6, s[4:5], 0x50
	s_load_dwordx2 s[16:17], s[4:5], 0x58
	s_load_dwordx2 s[4:5], s[4:5], 0x48
	v_add_nc_u32_e32 v9, s11, v1
	v_add_nc_u32_e32 v0, s10, v0
	v_cmp_neq_f32_e64 s7, s2, 0
	v_cmp_gt_i32_e64 s0, s12, v9
	v_cmp_le_i32_e32 vcc_lo, v0, v9
	s_waitcnt lgkmcnt(0)
	v_mad_i64_i32 v[1:2], null, v9, s6, 0
	s_mul_i32 s1, s17, s8
	s_mul_hi_u32 s11, s16, s8
	s_mul_i32 s10, s16, s8
	s_add_i32 s11, s11, s1
	s_lshl_b64 s[10:11], s[10:11], 3
	v_lshlrev_b64 v[2:3], 3, v[1:2]
	s_add_u32 s4, s4, s10
	s_addc_u32 s5, s5, s11
	s_xor_b32 s8, s9, -1
	v_ashrrev_i32_e32 v1, 31, v0
	s_or_b32 s7, s7, s8
	v_add_co_u32 v6, s1, s4, v2
	v_add_co_ci_u32_e64 v7, null, s5, v3, s1
	v_cndmask_b32_e64 v8, 0, 1, s7
	s_and_b32 s8, s0, vcc_lo
	s_and_saveexec_b32 s1, s8
	s_cbranch_execz .LBB90_20
; %bb.17:
	v_lshlrev_b64 v[4:5], 3, v[0:1]
	v_mul_f32_e32 v2, s15, v21
	v_mul_f32_e32 v3, s14, v21
	v_fma_f32 v2, v20, s14, -v2
	v_add_co_u32 v4, vcc_lo, v6, v4
	v_fmac_f32_e32 v3, s15, v20
	v_add_co_ci_u32_e64 v5, null, v7, v5, vcc_lo
	s_andn2_b32 vcc_lo, exec_lo, s7
	s_cbranch_vccnz .LBB90_19
; %bb.18:
	global_load_dwordx2 v[10:11], v[4:5], off
	s_waitcnt vmcnt(0)
	v_mul_f32_e32 v12, s3, v11
	v_mul_f32_e32 v11, s2, v11
	v_fma_f32 v12, v10, s2, -v12
	v_fmac_f32_e32 v11, s3, v10
	v_add_f32_e32 v2, v2, v12
	v_add_f32_e32 v3, v3, v11
.LBB90_19:
	global_store_dwordx2 v[4:5], v[2:3], off
.LBB90_20:
	s_or_b32 exec_lo, exec_lo, s1
	v_add_nc_u32_e32 v2, 16, v0
	v_cmp_le_i32_e32 vcc_lo, v2, v9
	v_ashrrev_i32_e32 v3, 31, v2
	s_and_b32 s0, s0, vcc_lo
	s_and_saveexec_b32 s1, s0
	s_cbranch_execz .LBB90_24
; %bb.21:
	v_lshlrev_b64 v[10:11], 3, v[2:3]
	v_mul_f32_e32 v4, s15, v19
	v_mul_f32_e32 v5, s14, v19
	v_cmp_ne_u32_e32 vcc_lo, 1, v8
	v_fma_f32 v4, v18, s14, -v4
	v_add_co_u32 v6, s0, v6, v10
	v_fmac_f32_e32 v5, s15, v18
	v_add_co_ci_u32_e64 v7, null, v7, v11, s0
	s_cbranch_vccnz .LBB90_23
; %bb.22:
	global_load_dwordx2 v[10:11], v[6:7], off
	s_waitcnt vmcnt(0)
	v_mul_f32_e32 v12, s3, v11
	v_mul_f32_e32 v11, s2, v11
	v_fma_f32 v12, v10, s2, -v12
	v_fmac_f32_e32 v11, s3, v10
	v_add_f32_e32 v4, v4, v12
	v_add_f32_e32 v5, v5, v11
.LBB90_23:
	global_store_dwordx2 v[6:7], v[4:5], off
.LBB90_24:
	s_or_b32 exec_lo, exec_lo, s1
	v_add_nc_u32_e32 v9, 16, v9
	v_mad_i64_i32 v[4:5], null, v9, s6, 0
	v_cmp_gt_i32_e64 s0, s12, v9
	v_cmp_le_i32_e32 vcc_lo, v0, v9
	v_lshlrev_b64 v[4:5], 3, v[4:5]
	v_add_co_u32 v6, s1, s4, v4
	v_add_co_ci_u32_e64 v7, null, s5, v5, s1
	s_and_b32 s1, s0, vcc_lo
	s_and_saveexec_b32 s4, s1
	s_cbranch_execz .LBB90_28
; %bb.25:
	v_lshlrev_b64 v[0:1], 3, v[0:1]
	v_mul_f32_e32 v4, s15, v17
	v_mul_f32_e32 v5, s14, v17
	v_cmp_ne_u32_e32 vcc_lo, 1, v8
	v_fma_f32 v4, v16, s14, -v4
	v_add_co_u32 v0, s1, v6, v0
	v_fmac_f32_e32 v5, s15, v16
	v_add_co_ci_u32_e64 v1, null, v7, v1, s1
	s_cbranch_vccnz .LBB90_27
; %bb.26:
	global_load_dwordx2 v[10:11], v[0:1], off
	s_waitcnt vmcnt(0)
	v_mul_f32_e32 v12, s3, v11
	v_mul_f32_e32 v11, s2, v11
	v_fma_f32 v12, v10, s2, -v12
	v_fmac_f32_e32 v11, s3, v10
	v_add_f32_e32 v4, v4, v12
	v_add_f32_e32 v5, v5, v11
.LBB90_27:
	global_store_dwordx2 v[0:1], v[4:5], off
.LBB90_28:
	s_or_b32 exec_lo, exec_lo, s4
	v_cmp_le_i32_e32 vcc_lo, v2, v9
	s_and_b32 s0, s0, vcc_lo
	s_and_saveexec_b32 s1, s0
	s_cbranch_execz .LBB90_32
; %bb.29:
	v_lshlrev_b64 v[2:3], 3, v[2:3]
	v_mul_f32_e32 v0, s15, v15
	v_mul_f32_e32 v1, s14, v15
	v_cmp_ne_u32_e32 vcc_lo, 1, v8
	v_fma_f32 v0, v14, s14, -v0
	v_add_co_u32 v2, s0, v6, v2
	v_fmac_f32_e32 v1, s15, v14
	v_add_co_ci_u32_e64 v3, null, v7, v3, s0
	s_cbranch_vccnz .LBB90_31
; %bb.30:
	global_load_dwordx2 v[4:5], v[2:3], off
	s_waitcnt vmcnt(0)
	v_mul_f32_e32 v6, s3, v5
	v_mul_f32_e32 v5, s2, v5
	v_fma_f32 v6, v4, s2, -v6
	v_fmac_f32_e32 v5, s3, v4
	v_add_f32_e32 v0, v0, v6
	v_add_f32_e32 v1, v1, v5
.LBB90_31:
	global_store_dwordx2 v[2:3], v[0:1], off
.LBB90_32:
	s_endpgm
	.section	.rodata,"a",@progbits
	.p2align	6, 0x0
	.amdhsa_kernel _ZL29rocblas_internal_gemmt_kernelIiLi16ELi32ELi8ELc78ELc78ELc85ELb0ELb0E19rocblas_complex_numIfES1_PKS1_PS1_EviT_T9_T10_S5_lS7_S5_lS6_T11_S5_li
		.amdhsa_group_segment_fixed_size 4096
		.amdhsa_private_segment_fixed_size 0
		.amdhsa_kernarg_size 100
		.amdhsa_user_sgpr_count 6
		.amdhsa_user_sgpr_private_segment_buffer 1
		.amdhsa_user_sgpr_dispatch_ptr 0
		.amdhsa_user_sgpr_queue_ptr 0
		.amdhsa_user_sgpr_kernarg_segment_ptr 1
		.amdhsa_user_sgpr_dispatch_id 0
		.amdhsa_user_sgpr_flat_scratch_init 0
		.amdhsa_user_sgpr_private_segment_size 0
		.amdhsa_wavefront_size32 1
		.amdhsa_uses_dynamic_stack 0
		.amdhsa_system_sgpr_private_segment_wavefront_offset 0
		.amdhsa_system_sgpr_workgroup_id_x 1
		.amdhsa_system_sgpr_workgroup_id_y 1
		.amdhsa_system_sgpr_workgroup_id_z 1
		.amdhsa_system_sgpr_workgroup_info 0
		.amdhsa_system_vgpr_workitem_id 1
		.amdhsa_next_free_vgpr 59
		.amdhsa_next_free_sgpr 26
		.amdhsa_reserve_vcc 1
		.amdhsa_reserve_flat_scratch 0
		.amdhsa_float_round_mode_32 0
		.amdhsa_float_round_mode_16_64 0
		.amdhsa_float_denorm_mode_32 3
		.amdhsa_float_denorm_mode_16_64 3
		.amdhsa_dx10_clamp 1
		.amdhsa_ieee_mode 1
		.amdhsa_fp16_overflow 0
		.amdhsa_workgroup_processor_mode 1
		.amdhsa_memory_ordered 1
		.amdhsa_forward_progress 1
		.amdhsa_shared_vgpr_count 0
		.amdhsa_exception_fp_ieee_invalid_op 0
		.amdhsa_exception_fp_denorm_src 0
		.amdhsa_exception_fp_ieee_div_zero 0
		.amdhsa_exception_fp_ieee_overflow 0
		.amdhsa_exception_fp_ieee_underflow 0
		.amdhsa_exception_fp_ieee_inexact 0
		.amdhsa_exception_int_div_zero 0
	.end_amdhsa_kernel
	.section	.text._ZL29rocblas_internal_gemmt_kernelIiLi16ELi32ELi8ELc78ELc78ELc85ELb0ELb0E19rocblas_complex_numIfES1_PKS1_PS1_EviT_T9_T10_S5_lS7_S5_lS6_T11_S5_li,"axG",@progbits,_ZL29rocblas_internal_gemmt_kernelIiLi16ELi32ELi8ELc78ELc78ELc85ELb0ELb0E19rocblas_complex_numIfES1_PKS1_PS1_EviT_T9_T10_S5_lS7_S5_lS6_T11_S5_li,comdat
.Lfunc_end90:
	.size	_ZL29rocblas_internal_gemmt_kernelIiLi16ELi32ELi8ELc78ELc78ELc85ELb0ELb0E19rocblas_complex_numIfES1_PKS1_PS1_EviT_T9_T10_S5_lS7_S5_lS6_T11_S5_li, .Lfunc_end90-_ZL29rocblas_internal_gemmt_kernelIiLi16ELi32ELi8ELc78ELc78ELc85ELb0ELb0E19rocblas_complex_numIfES1_PKS1_PS1_EviT_T9_T10_S5_lS7_S5_lS6_T11_S5_li
                                        ; -- End function
	.set _ZL29rocblas_internal_gemmt_kernelIiLi16ELi32ELi8ELc78ELc78ELc85ELb0ELb0E19rocblas_complex_numIfES1_PKS1_PS1_EviT_T9_T10_S5_lS7_S5_lS6_T11_S5_li.num_vgpr, 59
	.set _ZL29rocblas_internal_gemmt_kernelIiLi16ELi32ELi8ELc78ELc78ELc85ELb0ELb0E19rocblas_complex_numIfES1_PKS1_PS1_EviT_T9_T10_S5_lS7_S5_lS6_T11_S5_li.num_agpr, 0
	.set _ZL29rocblas_internal_gemmt_kernelIiLi16ELi32ELi8ELc78ELc78ELc85ELb0ELb0E19rocblas_complex_numIfES1_PKS1_PS1_EviT_T9_T10_S5_lS7_S5_lS6_T11_S5_li.numbered_sgpr, 26
	.set _ZL29rocblas_internal_gemmt_kernelIiLi16ELi32ELi8ELc78ELc78ELc85ELb0ELb0E19rocblas_complex_numIfES1_PKS1_PS1_EviT_T9_T10_S5_lS7_S5_lS6_T11_S5_li.num_named_barrier, 0
	.set _ZL29rocblas_internal_gemmt_kernelIiLi16ELi32ELi8ELc78ELc78ELc85ELb0ELb0E19rocblas_complex_numIfES1_PKS1_PS1_EviT_T9_T10_S5_lS7_S5_lS6_T11_S5_li.private_seg_size, 0
	.set _ZL29rocblas_internal_gemmt_kernelIiLi16ELi32ELi8ELc78ELc78ELc85ELb0ELb0E19rocblas_complex_numIfES1_PKS1_PS1_EviT_T9_T10_S5_lS7_S5_lS6_T11_S5_li.uses_vcc, 1
	.set _ZL29rocblas_internal_gemmt_kernelIiLi16ELi32ELi8ELc78ELc78ELc85ELb0ELb0E19rocblas_complex_numIfES1_PKS1_PS1_EviT_T9_T10_S5_lS7_S5_lS6_T11_S5_li.uses_flat_scratch, 0
	.set _ZL29rocblas_internal_gemmt_kernelIiLi16ELi32ELi8ELc78ELc78ELc85ELb0ELb0E19rocblas_complex_numIfES1_PKS1_PS1_EviT_T9_T10_S5_lS7_S5_lS6_T11_S5_li.has_dyn_sized_stack, 0
	.set _ZL29rocblas_internal_gemmt_kernelIiLi16ELi32ELi8ELc78ELc78ELc85ELb0ELb0E19rocblas_complex_numIfES1_PKS1_PS1_EviT_T9_T10_S5_lS7_S5_lS6_T11_S5_li.has_recursion, 0
	.set _ZL29rocblas_internal_gemmt_kernelIiLi16ELi32ELi8ELc78ELc78ELc85ELb0ELb0E19rocblas_complex_numIfES1_PKS1_PS1_EviT_T9_T10_S5_lS7_S5_lS6_T11_S5_li.has_indirect_call, 0
	.section	.AMDGPU.csdata,"",@progbits
; Kernel info:
; codeLenInByte = 2512
; TotalNumSgprs: 28
; NumVgprs: 59
; ScratchSize: 0
; MemoryBound: 1
; FloatMode: 240
; IeeeMode: 1
; LDSByteSize: 4096 bytes/workgroup (compile time only)
; SGPRBlocks: 0
; VGPRBlocks: 7
; NumSGPRsForWavesPerEU: 28
; NumVGPRsForWavesPerEU: 59
; Occupancy: 16
; WaveLimiterHint : 0
; COMPUTE_PGM_RSRC2:SCRATCH_EN: 0
; COMPUTE_PGM_RSRC2:USER_SGPR: 6
; COMPUTE_PGM_RSRC2:TRAP_HANDLER: 0
; COMPUTE_PGM_RSRC2:TGID_X_EN: 1
; COMPUTE_PGM_RSRC2:TGID_Y_EN: 1
; COMPUTE_PGM_RSRC2:TGID_Z_EN: 1
; COMPUTE_PGM_RSRC2:TIDIG_COMP_CNT: 1
	.section	.text._ZL29rocblas_internal_gemmt_kernelIiLi16ELi32ELi8ELc78ELc84ELc85ELb0ELb0E19rocblas_complex_numIfES1_PKS1_PS1_EviT_T9_T10_S5_lS7_S5_lS6_T11_S5_li,"axG",@progbits,_ZL29rocblas_internal_gemmt_kernelIiLi16ELi32ELi8ELc78ELc84ELc85ELb0ELb0E19rocblas_complex_numIfES1_PKS1_PS1_EviT_T9_T10_S5_lS7_S5_lS6_T11_S5_li,comdat
	.globl	_ZL29rocblas_internal_gemmt_kernelIiLi16ELi32ELi8ELc78ELc84ELc85ELb0ELb0E19rocblas_complex_numIfES1_PKS1_PS1_EviT_T9_T10_S5_lS7_S5_lS6_T11_S5_li ; -- Begin function _ZL29rocblas_internal_gemmt_kernelIiLi16ELi32ELi8ELc78ELc84ELc85ELb0ELb0E19rocblas_complex_numIfES1_PKS1_PS1_EviT_T9_T10_S5_lS7_S5_lS6_T11_S5_li
	.p2align	8
	.type	_ZL29rocblas_internal_gemmt_kernelIiLi16ELi32ELi8ELc78ELc84ELc85ELb0ELb0E19rocblas_complex_numIfES1_PKS1_PS1_EviT_T9_T10_S5_lS7_S5_lS6_T11_S5_li,@function
_ZL29rocblas_internal_gemmt_kernelIiLi16ELi32ELi8ELc78ELc84ELc85ELb0ELb0E19rocblas_complex_numIfES1_PKS1_PS1_EviT_T9_T10_S5_lS7_S5_lS6_T11_S5_li: ; @_ZL29rocblas_internal_gemmt_kernelIiLi16ELi32ELi8ELc78ELc84ELc85ELb0ELb0E19rocblas_complex_numIfES1_PKS1_PS1_EviT_T9_T10_S5_lS7_S5_lS6_T11_S5_li
; %bb.0:
	s_clause 0x1
	s_load_dwordx2 s[2:3], s[4:5], 0x40
	s_load_dwordx4 s[12:15], s[4:5], 0x0
	s_waitcnt lgkmcnt(0)
	s_and_b32 s0, s3, 0x7fffffff
	v_cmp_eq_f32_e64 s1, s2, 1.0
	s_cmp_eq_u32 s0, 0
	s_mov_b32 s0, 0
	s_cselect_b32 s9, -1, 0
	s_and_b32 s1, s1, s9
	s_andn2_b32 vcc_lo, exec_lo, s1
	s_mov_b32 s1, -1
	s_cbranch_vccnz .LBB91_4
; %bb.1:
	s_cmp_lg_u32 s13, 0
	s_cbranch_scc0 .LBB91_3
; %bb.2:
	v_cmp_neq_f32_e64 s0, s14, 0
	v_cmp_neq_f32_e64 s1, s15, 0
	s_or_b32 s0, s0, s1
.LBB91_3:
	s_mov_b32 s1, s0
.LBB91_4:
	s_and_b32 vcc_lo, exec_lo, s1
	s_cbranch_vccz .LBB91_32
; %bb.5:
	v_cmp_eq_f32_e64 s0, s14, 0
	v_cmp_eq_f32_e64 s1, s15, 0
	s_lshl_b32 s20, s6, 5
	s_lshl_b32 s21, s7, 5
	v_mov_b32_e32 v20, 0
	v_mov_b32_e32 v21, 0
	s_and_b32 s0, s0, s1
	s_cmp_lt_i32 s13, 1
	v_mov_b32_e32 v18, 0
	s_cselect_b32 s1, -1, 0
	v_mov_b32_e32 v19, 0
	v_mov_b32_e32 v16, 0
	;; [unrolled: 1-line block ×5, first 2 shown]
	s_or_b32 s0, s0, s1
	s_mov_b32 s22, 0
	s_and_b32 vcc_lo, exec_lo, s0
	s_cbranch_vccnz .LBB91_16
; %bb.6:
	s_clause 0x1
	s_load_dword s6, s[4:5], 0x18
	s_load_dword s10, s[4:5], 0x30
	v_lshl_add_u32 v2, v1, 4, v0
	s_clause 0x1
	s_load_dwordx2 s[24:25], s[4:5], 0x10
	s_load_dwordx4 s[16:19], s[4:5], 0x20
	v_and_b32_e32 v8, 7, v0
	s_load_dwordx2 s[26:27], s[4:5], 0x38
	v_and_b32_e32 v6, 31, v2
	v_lshrrev_b32_e32 v3, 3, v2
	v_lshrrev_b32_e32 v9, 5, v2
	v_lshlrev_b32_e32 v4, 3, v8
	v_lshlrev_b32_e32 v12, 3, v0
	v_or_b32_e32 v5, s20, v6
	v_add_nc_u32_e32 v2, s21, v3
	v_lshlrev_b32_e32 v7, 3, v6
	v_lshl_or_b32 v3, v3, 6, v4
	v_add_nc_u32_e32 v6, s20, v6
	v_cmp_gt_i32_e32 vcc_lo, s12, v5
	v_cmp_gt_i32_e64 s0, s12, v2
	v_lshl_or_b32 v10, v9, 8, v7
	s_waitcnt lgkmcnt(0)
	v_mad_i64_i32 v[4:5], null, v9, s6, 0
	v_mad_i64_i32 v[14:15], null, s10, v8, 0
	s_mul_i32 s1, s17, s8
	s_mul_hi_u32 s17, s16, s8
	v_ashrrev_i32_e32 v7, 31, v6
	s_add_i32 s17, s17, s1
	v_lshlrev_b64 v[4:5], 3, v[4:5]
	s_mul_i32 s16, s16, s8
	s_mul_i32 s23, s27, s8
	s_lshl_b64 s[16:17], s[16:17], 3
	v_lshlrev_b64 v[6:7], 3, v[6:7]
	s_mul_hi_u32 s27, s26, s8
	v_add_co_u32 v16, s1, v4, s16
	v_add_co_ci_u32_e64 v17, null, s17, v5, s1
	v_lshlrev_b64 v[4:5], 3, v[14:15]
	s_add_i32 s17, s27, s23
	s_mul_i32 s16, s26, s8
	v_add_nc_u32_e32 v11, 0x800, v3
	v_ashrrev_i32_e32 v3, 31, v2
	v_add_co_u32 v6, s1, v16, v6
	s_lshl_b64 s[16:17], s[16:17], 3
	v_add_co_ci_u32_e64 v7, null, v17, v7, s1
	v_add_co_u32 v14, s1, s16, v4
	v_add_co_ci_u32_e64 v15, null, s17, v5, s1
	v_lshlrev_b64 v[4:5], 3, v[2:3]
	v_add_co_u32 v2, s1, s24, v6
	v_add_co_ci_u32_e64 v3, null, s25, v7, s1
	v_lshl_add_u32 v13, v1, 6, 0x800
	v_add_co_u32 v4, s1, v14, v4
	v_add_co_ci_u32_e64 v5, null, v15, v5, s1
	v_mov_b32_e32 v6, 0
	v_add_co_u32 v4, s1, s18, v4
	v_add_co_ci_u32_e64 v5, null, s19, v5, s1
	v_mov_b32_e32 v15, 0
	v_mov_b32_e32 v14, 0
	;; [unrolled: 1-line block ×8, first 2 shown]
	s_ashr_i32 s7, s6, 31
	s_ashr_i32 s11, s10, 31
	s_lshl_b64 s[6:7], s[6:7], 6
	s_lshl_b64 s[10:11], s[10:11], 6
	s_xor_b32 s1, vcc_lo, -1
	s_xor_b32 s0, s0, -1
	s_branch .LBB91_8
.LBB91_7:                               ;   in Loop: Header=BB91_8 Depth=1
	s_or_b32 exec_lo, exec_lo, s16
	s_waitcnt lgkmcnt(0)
	s_barrier
	buffer_gl0_inv
	ds_read_b128 v[22:25], v13
	ds_read2_b64 v[26:29], v12 offset1:16
	ds_read_b128 v[30:33], v13 offset:1024
	ds_read_b128 v[34:37], v13 offset:16
	;; [unrolled: 1-line block ×4, first 2 shown]
	ds_read2_b64 v[46:49], v12 offset0:32 offset1:48
	ds_read_b128 v[50:53], v13 offset:1040
	v_add_co_u32 v2, vcc_lo, v2, s6
	v_add_co_ci_u32_e64 v3, null, s7, v3, vcc_lo
	v_add_co_u32 v4, vcc_lo, v4, s10
	v_add_co_ci_u32_e64 v5, null, s11, v5, vcc_lo
	s_add_i32 s22, s22, 8
	s_cmp_lt_i32 s22, s13
	s_waitcnt lgkmcnt(6)
	v_mul_f32_e32 v7, v23, v27
	v_mul_f32_e32 v54, v22, v27
	;; [unrolled: 1-line block ×4, first 2 shown]
	s_waitcnt lgkmcnt(5)
	v_mul_f32_e32 v57, v31, v27
	v_mul_f32_e32 v27, v30, v27
	;; [unrolled: 1-line block ×3, first 2 shown]
	v_fma_f32 v7, v22, v26, -v7
	v_fmac_f32_e32 v54, v23, v26
	v_fma_f32 v22, v22, v28, -v55
	v_fmac_f32_e32 v56, v23, v28
	;; [unrolled: 2-line block ×3, first 2 shown]
	v_mul_f32_e32 v29, v30, v29
	v_fma_f32 v26, v30, v28, -v58
	v_add_f32_e32 v7, v20, v7
	v_add_f32_e32 v20, v21, v54
	;; [unrolled: 1-line block ×6, first 2 shown]
	s_waitcnt lgkmcnt(1)
	v_mul_f32_e32 v30, v25, v47
	ds_read2_b64 v[16:19], v12 offset0:64 offset1:80
	v_fmac_f32_e32 v29, v31, v28
	v_add_f32_e32 v14, v14, v26
	v_mul_f32_e32 v26, v24, v47
	v_fma_f32 v28, v24, v46, -v30
	v_mul_f32_e32 v30, v25, v49
	v_add_f32_e32 v15, v15, v29
	v_mul_f32_e32 v29, v24, v49
	v_fmac_f32_e32 v26, v25, v46
	v_add_f32_e32 v7, v7, v28
	v_fma_f32 v24, v24, v48, -v30
	v_mul_f32_e32 v28, v33, v47
	v_fmac_f32_e32 v29, v25, v48
	v_add_f32_e32 v26, v20, v26
	v_mul_f32_e32 v20, v32, v47
	v_add_f32_e32 v24, v21, v24
	v_fma_f32 v21, v32, v46, -v28
	v_mul_f32_e32 v25, v33, v49
	v_add_f32_e32 v28, v22, v29
	v_fmac_f32_e32 v20, v33, v46
	v_mul_f32_e32 v29, v32, v49
	v_add_f32_e32 v30, v23, v21
	v_fma_f32 v21, v32, v48, -v25
	s_waitcnt lgkmcnt(0)
	v_mul_f32_e32 v22, v35, v17
	v_add_f32_e32 v25, v27, v20
	v_fmac_f32_e32 v29, v33, v48
	v_mul_f32_e32 v27, v34, v17
	v_add_f32_e32 v14, v14, v21
	v_fma_f32 v31, v34, v16, -v22
	v_mul_f32_e32 v32, v35, v19
	ds_read2_b64 v[20:23], v12 offset0:96 offset1:112
	v_fmac_f32_e32 v27, v35, v16
	v_add_f32_e32 v29, v15, v29
	v_add_f32_e32 v7, v7, v31
	v_mul_f32_e32 v15, v34, v19
	v_fma_f32 v31, v34, v18, -v32
	v_add_f32_e32 v26, v26, v27
	v_mul_f32_e32 v27, v51, v17
	v_mul_f32_e32 v17, v50, v17
	v_fmac_f32_e32 v15, v35, v18
	v_add_f32_e32 v24, v24, v31
	v_mul_f32_e32 v31, v51, v19
	v_mul_f32_e32 v19, v50, v19
	v_fmac_f32_e32 v17, v51, v16
	v_add_f32_e32 v28, v28, v15
	v_fma_f32 v27, v50, v16, -v27
	v_fma_f32 v15, v50, v18, -v31
	v_fmac_f32_e32 v19, v51, v18
	v_add_f32_e32 v31, v25, v17
	s_waitcnt lgkmcnt(0)
	v_mul_f32_e32 v18, v37, v21
	v_add_f32_e32 v32, v14, v15
	ds_read2_b64 v[14:17], v12 offset0:128 offset1:144
	v_add_f32_e32 v30, v30, v27
	v_mul_f32_e32 v25, v36, v21
	v_fma_f32 v18, v36, v20, -v18
	v_mul_f32_e32 v27, v37, v23
	v_add_f32_e32 v29, v29, v19
	v_mul_f32_e32 v19, v36, v23
	v_fmac_f32_e32 v25, v37, v20
	v_add_f32_e32 v7, v7, v18
	v_mul_f32_e32 v18, v53, v21
	v_fma_f32 v27, v36, v22, -v27
	v_fmac_f32_e32 v19, v37, v22
	v_mul_f32_e32 v21, v52, v21
	v_mul_f32_e32 v35, v53, v23
	v_fma_f32 v18, v52, v20, -v18
	v_add_f32_e32 v33, v26, v25
	v_add_f32_e32 v34, v24, v27
	ds_read_b128 v[24:27], v13 offset:1056
	v_add_f32_e32 v36, v28, v19
	v_fmac_f32_e32 v21, v53, v20
	v_mul_f32_e32 v23, v52, v23
	v_fma_f32 v19, v52, v22, -v35
	v_add_f32_e32 v35, v30, v18
	s_waitcnt lgkmcnt(1)
	v_mul_f32_e32 v18, v39, v15
	v_add_f32_e32 v37, v31, v21
	v_fmac_f32_e32 v23, v53, v22
	v_add_f32_e32 v22, v32, v19
	v_mul_f32_e32 v32, v38, v15
	v_fma_f32 v28, v38, v14, -v18
	ds_read2_b64 v[18:21], v12 offset0:160 offset1:176
	v_mul_f32_e32 v30, v39, v17
	v_mul_f32_e32 v46, v38, v17
	v_fmac_f32_e32 v32, v39, v14
	v_add_f32_e32 v23, v29, v23
	v_add_f32_e32 v7, v7, v28
	v_fma_f32 v38, v38, v16, -v30
	ds_read_b128 v[28:31], v13 offset:1072
	s_waitcnt lgkmcnt(2)
	v_mul_f32_e32 v47, v25, v15
	v_add_f32_e32 v32, v33, v32
	v_mul_f32_e32 v15, v24, v15
	v_add_f32_e32 v33, v34, v38
	v_mul_f32_e32 v38, v25, v17
	v_fmac_f32_e32 v46, v39, v16
	v_fma_f32 v34, v24, v14, -v47
	v_fmac_f32_e32 v15, v25, v14
	v_mul_f32_e32 v39, v24, v17
	v_fma_f32 v14, v24, v16, -v38
	v_add_f32_e32 v36, v36, v46
	v_add_f32_e32 v34, v35, v34
	s_waitcnt lgkmcnt(1)
	v_mul_f32_e32 v17, v41, v19
	v_add_f32_e32 v24, v37, v15
	v_fmac_f32_e32 v39, v25, v16
	v_mul_f32_e32 v25, v40, v19
	v_add_f32_e32 v22, v22, v14
	v_fma_f32 v35, v40, v18, -v17
	ds_read2_b64 v[14:17], v12 offset0:192 offset1:208
	v_mul_f32_e32 v37, v41, v21
	v_fmac_f32_e32 v25, v41, v18
	v_add_f32_e32 v38, v23, v39
	v_add_f32_e32 v7, v7, v35
	v_mul_f32_e32 v23, v40, v21
	v_fma_f32 v35, v40, v20, -v37
	v_add_f32_e32 v32, v32, v25
	v_mul_f32_e32 v25, v27, v19
	v_mul_f32_e32 v19, v26, v19
	v_fmac_f32_e32 v23, v41, v20
	v_add_f32_e32 v33, v33, v35
	v_mul_f32_e32 v35, v27, v21
	v_fma_f32 v25, v26, v18, -v25
	v_fmac_f32_e32 v19, v27, v18
	v_add_f32_e32 v18, v36, v23
	v_mul_f32_e32 v21, v26, v21
	v_fma_f32 v23, v26, v20, -v35
	v_add_f32_e32 v26, v34, v25
	v_add_f32_e32 v19, v24, v19
	s_waitcnt lgkmcnt(0)
	v_mul_f32_e32 v34, v43, v15
	v_fmac_f32_e32 v21, v27, v20
	v_add_f32_e32 v20, v22, v23
	ds_read2_b64 v[22:25], v12 offset0:224 offset1:240
	v_mul_f32_e32 v27, v42, v15
	v_fma_f32 v34, v42, v14, -v34
	v_mul_f32_e32 v35, v43, v17
	v_mul_f32_e32 v36, v42, v17
	v_add_f32_e32 v21, v38, v21
	v_fmac_f32_e32 v27, v43, v14
	v_add_f32_e32 v7, v7, v34
	v_mul_f32_e32 v34, v29, v15
	v_fma_f32 v35, v42, v16, -v35
	v_fmac_f32_e32 v36, v43, v16
	v_add_f32_e32 v27, v32, v27
	v_mul_f32_e32 v15, v28, v15
	v_fma_f32 v32, v28, v14, -v34
	v_mul_f32_e32 v34, v29, v17
	v_add_f32_e32 v33, v33, v35
	v_add_f32_e32 v35, v18, v36
	v_fmac_f32_e32 v15, v29, v14
	v_add_f32_e32 v14, v26, v32
	v_mul_f32_e32 v17, v28, v17
	v_fma_f32 v18, v28, v16, -v34
	s_waitcnt lgkmcnt(0)
	v_mul_f32_e32 v26, v45, v23
	v_mul_f32_e32 v28, v44, v23
	v_add_f32_e32 v15, v19, v15
	v_fmac_f32_e32 v17, v29, v16
	v_add_f32_e32 v29, v20, v18
	v_fma_f32 v16, v44, v22, -v26
	v_mul_f32_e32 v18, v45, v25
	v_mul_f32_e32 v19, v44, v25
	v_add_f32_e32 v26, v21, v17
	v_mul_f32_e32 v17, v30, v23
	v_add_f32_e32 v20, v7, v16
	v_fma_f32 v7, v44, v24, -v18
	v_mul_f32_e32 v16, v31, v23
	v_mul_f32_e32 v23, v31, v25
	v_mul_f32_e32 v25, v30, v25
	v_fmac_f32_e32 v28, v45, v22
	v_fmac_f32_e32 v19, v45, v24
	v_add_f32_e32 v18, v33, v7
	v_fma_f32 v7, v30, v22, -v16
	v_fmac_f32_e32 v17, v31, v22
	v_fma_f32 v22, v30, v24, -v23
	v_fmac_f32_e32 v25, v31, v24
	v_add_f32_e32 v21, v27, v28
	v_add_f32_e32 v19, v35, v19
	;; [unrolled: 1-line block ×6, first 2 shown]
	s_barrier
	buffer_gl0_inv
	s_cbranch_scc0 .LBB91_16
.LBB91_8:                               ; =>This Inner Loop Header: Depth=1
	v_add_nc_u32_e32 v7, s22, v9
	v_cmp_le_i32_e32 vcc_lo, s13, v7
	s_or_b32 s16, s1, vcc_lo
	s_and_saveexec_b32 s17, s16
	s_xor_b32 s16, exec_lo, s17
; %bb.9:                                ;   in Loop: Header=BB91_8 Depth=1
	v_mov_b32_e32 v7, v6
	ds_write_b64 v10, v[6:7]
; %bb.10:                               ;   in Loop: Header=BB91_8 Depth=1
	s_andn2_saveexec_b32 s16, s16
	s_cbranch_execz .LBB91_12
; %bb.11:                               ;   in Loop: Header=BB91_8 Depth=1
	global_load_dwordx2 v[22:23], v[2:3], off
	s_waitcnt vmcnt(0)
	ds_write_b64 v10, v[22:23]
.LBB91_12:                              ;   in Loop: Header=BB91_8 Depth=1
	s_or_b32 exec_lo, exec_lo, s16
	v_add_nc_u32_e32 v7, s22, v8
	v_cmp_le_i32_e32 vcc_lo, s13, v7
	s_or_b32 s16, vcc_lo, s0
	s_and_saveexec_b32 s17, s16
	s_xor_b32 s16, exec_lo, s17
; %bb.13:                               ;   in Loop: Header=BB91_8 Depth=1
	v_mov_b32_e32 v7, v6
	ds_write_b64 v11, v[6:7]
; %bb.14:                               ;   in Loop: Header=BB91_8 Depth=1
	s_andn2_saveexec_b32 s16, s16
	s_cbranch_execz .LBB91_7
; %bb.15:                               ;   in Loop: Header=BB91_8 Depth=1
	global_load_dwordx2 v[22:23], v[4:5], off
	s_waitcnt vmcnt(0)
	ds_write_b64 v11, v[22:23]
	s_branch .LBB91_7
.LBB91_16:
	s_clause 0x2
	s_load_dword s6, s[4:5], 0x50
	s_load_dwordx2 s[10:11], s[4:5], 0x58
	s_load_dwordx2 s[4:5], s[4:5], 0x48
	v_add_nc_u32_e32 v9, s21, v1
	v_add_nc_u32_e32 v0, s20, v0
	v_cmp_neq_f32_e64 s7, s2, 0
	v_cmp_gt_i32_e64 s0, s12, v9
	v_cmp_le_i32_e32 vcc_lo, v0, v9
	s_waitcnt lgkmcnt(0)
	v_mad_i64_i32 v[1:2], null, v9, s6, 0
	s_mul_i32 s1, s11, s8
	s_mul_hi_u32 s11, s10, s8
	s_mul_i32 s10, s10, s8
	s_add_i32 s11, s11, s1
	s_lshl_b64 s[10:11], s[10:11], 3
	v_lshlrev_b64 v[2:3], 3, v[1:2]
	s_add_u32 s4, s4, s10
	s_addc_u32 s5, s5, s11
	s_xor_b32 s8, s9, -1
	v_ashrrev_i32_e32 v1, 31, v0
	s_or_b32 s7, s7, s8
	v_add_co_u32 v6, s1, s4, v2
	v_add_co_ci_u32_e64 v7, null, s5, v3, s1
	v_cndmask_b32_e64 v8, 0, 1, s7
	s_and_b32 s8, s0, vcc_lo
	s_and_saveexec_b32 s1, s8
	s_cbranch_execz .LBB91_20
; %bb.17:
	v_lshlrev_b64 v[4:5], 3, v[0:1]
	v_mul_f32_e32 v2, s15, v21
	v_mul_f32_e32 v3, s14, v21
	v_fma_f32 v2, v20, s14, -v2
	v_add_co_u32 v4, vcc_lo, v6, v4
	v_fmac_f32_e32 v3, s15, v20
	v_add_co_ci_u32_e64 v5, null, v7, v5, vcc_lo
	s_andn2_b32 vcc_lo, exec_lo, s7
	s_cbranch_vccnz .LBB91_19
; %bb.18:
	global_load_dwordx2 v[10:11], v[4:5], off
	s_waitcnt vmcnt(0)
	v_mul_f32_e32 v12, s3, v11
	v_mul_f32_e32 v11, s2, v11
	v_fma_f32 v12, v10, s2, -v12
	v_fmac_f32_e32 v11, s3, v10
	v_add_f32_e32 v2, v2, v12
	v_add_f32_e32 v3, v3, v11
.LBB91_19:
	global_store_dwordx2 v[4:5], v[2:3], off
.LBB91_20:
	s_or_b32 exec_lo, exec_lo, s1
	v_add_nc_u32_e32 v2, 16, v0
	v_cmp_le_i32_e32 vcc_lo, v2, v9
	v_ashrrev_i32_e32 v3, 31, v2
	s_and_b32 s0, s0, vcc_lo
	s_and_saveexec_b32 s1, s0
	s_cbranch_execz .LBB91_24
; %bb.21:
	v_lshlrev_b64 v[10:11], 3, v[2:3]
	v_mul_f32_e32 v4, s15, v19
	v_mul_f32_e32 v5, s14, v19
	v_cmp_ne_u32_e32 vcc_lo, 1, v8
	v_fma_f32 v4, v18, s14, -v4
	v_add_co_u32 v6, s0, v6, v10
	v_fmac_f32_e32 v5, s15, v18
	v_add_co_ci_u32_e64 v7, null, v7, v11, s0
	s_cbranch_vccnz .LBB91_23
; %bb.22:
	global_load_dwordx2 v[10:11], v[6:7], off
	s_waitcnt vmcnt(0)
	v_mul_f32_e32 v12, s3, v11
	v_mul_f32_e32 v11, s2, v11
	v_fma_f32 v12, v10, s2, -v12
	v_fmac_f32_e32 v11, s3, v10
	v_add_f32_e32 v4, v4, v12
	v_add_f32_e32 v5, v5, v11
.LBB91_23:
	global_store_dwordx2 v[6:7], v[4:5], off
.LBB91_24:
	s_or_b32 exec_lo, exec_lo, s1
	v_add_nc_u32_e32 v9, 16, v9
	v_mad_i64_i32 v[4:5], null, v9, s6, 0
	v_cmp_gt_i32_e64 s0, s12, v9
	v_cmp_le_i32_e32 vcc_lo, v0, v9
	v_lshlrev_b64 v[4:5], 3, v[4:5]
	v_add_co_u32 v6, s1, s4, v4
	v_add_co_ci_u32_e64 v7, null, s5, v5, s1
	s_and_b32 s1, s0, vcc_lo
	s_and_saveexec_b32 s4, s1
	s_cbranch_execz .LBB91_28
; %bb.25:
	v_lshlrev_b64 v[0:1], 3, v[0:1]
	v_mul_f32_e32 v4, s15, v17
	v_mul_f32_e32 v5, s14, v17
	v_cmp_ne_u32_e32 vcc_lo, 1, v8
	v_fma_f32 v4, v16, s14, -v4
	v_add_co_u32 v0, s1, v6, v0
	v_fmac_f32_e32 v5, s15, v16
	v_add_co_ci_u32_e64 v1, null, v7, v1, s1
	s_cbranch_vccnz .LBB91_27
; %bb.26:
	global_load_dwordx2 v[10:11], v[0:1], off
	s_waitcnt vmcnt(0)
	v_mul_f32_e32 v12, s3, v11
	v_mul_f32_e32 v11, s2, v11
	v_fma_f32 v12, v10, s2, -v12
	v_fmac_f32_e32 v11, s3, v10
	v_add_f32_e32 v4, v4, v12
	v_add_f32_e32 v5, v5, v11
.LBB91_27:
	global_store_dwordx2 v[0:1], v[4:5], off
.LBB91_28:
	s_or_b32 exec_lo, exec_lo, s4
	v_cmp_le_i32_e32 vcc_lo, v2, v9
	s_and_b32 s0, s0, vcc_lo
	s_and_saveexec_b32 s1, s0
	s_cbranch_execz .LBB91_32
; %bb.29:
	v_lshlrev_b64 v[2:3], 3, v[2:3]
	v_mul_f32_e32 v0, s15, v15
	v_mul_f32_e32 v1, s14, v15
	v_cmp_ne_u32_e32 vcc_lo, 1, v8
	v_fma_f32 v0, v14, s14, -v0
	v_add_co_u32 v2, s0, v6, v2
	v_fmac_f32_e32 v1, s15, v14
	v_add_co_ci_u32_e64 v3, null, v7, v3, s0
	s_cbranch_vccnz .LBB91_31
; %bb.30:
	global_load_dwordx2 v[4:5], v[2:3], off
	s_waitcnt vmcnt(0)
	v_mul_f32_e32 v6, s3, v5
	v_mul_f32_e32 v5, s2, v5
	v_fma_f32 v6, v4, s2, -v6
	v_fmac_f32_e32 v5, s3, v4
	v_add_f32_e32 v0, v0, v6
	v_add_f32_e32 v1, v1, v5
.LBB91_31:
	global_store_dwordx2 v[2:3], v[0:1], off
.LBB91_32:
	s_endpgm
	.section	.rodata,"a",@progbits
	.p2align	6, 0x0
	.amdhsa_kernel _ZL29rocblas_internal_gemmt_kernelIiLi16ELi32ELi8ELc78ELc84ELc85ELb0ELb0E19rocblas_complex_numIfES1_PKS1_PS1_EviT_T9_T10_S5_lS7_S5_lS6_T11_S5_li
		.amdhsa_group_segment_fixed_size 4096
		.amdhsa_private_segment_fixed_size 0
		.amdhsa_kernarg_size 100
		.amdhsa_user_sgpr_count 6
		.amdhsa_user_sgpr_private_segment_buffer 1
		.amdhsa_user_sgpr_dispatch_ptr 0
		.amdhsa_user_sgpr_queue_ptr 0
		.amdhsa_user_sgpr_kernarg_segment_ptr 1
		.amdhsa_user_sgpr_dispatch_id 0
		.amdhsa_user_sgpr_flat_scratch_init 0
		.amdhsa_user_sgpr_private_segment_size 0
		.amdhsa_wavefront_size32 1
		.amdhsa_uses_dynamic_stack 0
		.amdhsa_system_sgpr_private_segment_wavefront_offset 0
		.amdhsa_system_sgpr_workgroup_id_x 1
		.amdhsa_system_sgpr_workgroup_id_y 1
		.amdhsa_system_sgpr_workgroup_id_z 1
		.amdhsa_system_sgpr_workgroup_info 0
		.amdhsa_system_vgpr_workitem_id 1
		.amdhsa_next_free_vgpr 59
		.amdhsa_next_free_sgpr 28
		.amdhsa_reserve_vcc 1
		.amdhsa_reserve_flat_scratch 0
		.amdhsa_float_round_mode_32 0
		.amdhsa_float_round_mode_16_64 0
		.amdhsa_float_denorm_mode_32 3
		.amdhsa_float_denorm_mode_16_64 3
		.amdhsa_dx10_clamp 1
		.amdhsa_ieee_mode 1
		.amdhsa_fp16_overflow 0
		.amdhsa_workgroup_processor_mode 1
		.amdhsa_memory_ordered 1
		.amdhsa_forward_progress 1
		.amdhsa_shared_vgpr_count 0
		.amdhsa_exception_fp_ieee_invalid_op 0
		.amdhsa_exception_fp_denorm_src 0
		.amdhsa_exception_fp_ieee_div_zero 0
		.amdhsa_exception_fp_ieee_overflow 0
		.amdhsa_exception_fp_ieee_underflow 0
		.amdhsa_exception_fp_ieee_inexact 0
		.amdhsa_exception_int_div_zero 0
	.end_amdhsa_kernel
	.section	.text._ZL29rocblas_internal_gemmt_kernelIiLi16ELi32ELi8ELc78ELc84ELc85ELb0ELb0E19rocblas_complex_numIfES1_PKS1_PS1_EviT_T9_T10_S5_lS7_S5_lS6_T11_S5_li,"axG",@progbits,_ZL29rocblas_internal_gemmt_kernelIiLi16ELi32ELi8ELc78ELc84ELc85ELb0ELb0E19rocblas_complex_numIfES1_PKS1_PS1_EviT_T9_T10_S5_lS7_S5_lS6_T11_S5_li,comdat
.Lfunc_end91:
	.size	_ZL29rocblas_internal_gemmt_kernelIiLi16ELi32ELi8ELc78ELc84ELc85ELb0ELb0E19rocblas_complex_numIfES1_PKS1_PS1_EviT_T9_T10_S5_lS7_S5_lS6_T11_S5_li, .Lfunc_end91-_ZL29rocblas_internal_gemmt_kernelIiLi16ELi32ELi8ELc78ELc84ELc85ELb0ELb0E19rocblas_complex_numIfES1_PKS1_PS1_EviT_T9_T10_S5_lS7_S5_lS6_T11_S5_li
                                        ; -- End function
	.set _ZL29rocblas_internal_gemmt_kernelIiLi16ELi32ELi8ELc78ELc84ELc85ELb0ELb0E19rocblas_complex_numIfES1_PKS1_PS1_EviT_T9_T10_S5_lS7_S5_lS6_T11_S5_li.num_vgpr, 59
	.set _ZL29rocblas_internal_gemmt_kernelIiLi16ELi32ELi8ELc78ELc84ELc85ELb0ELb0E19rocblas_complex_numIfES1_PKS1_PS1_EviT_T9_T10_S5_lS7_S5_lS6_T11_S5_li.num_agpr, 0
	.set _ZL29rocblas_internal_gemmt_kernelIiLi16ELi32ELi8ELc78ELc84ELc85ELb0ELb0E19rocblas_complex_numIfES1_PKS1_PS1_EviT_T9_T10_S5_lS7_S5_lS6_T11_S5_li.numbered_sgpr, 28
	.set _ZL29rocblas_internal_gemmt_kernelIiLi16ELi32ELi8ELc78ELc84ELc85ELb0ELb0E19rocblas_complex_numIfES1_PKS1_PS1_EviT_T9_T10_S5_lS7_S5_lS6_T11_S5_li.num_named_barrier, 0
	.set _ZL29rocblas_internal_gemmt_kernelIiLi16ELi32ELi8ELc78ELc84ELc85ELb0ELb0E19rocblas_complex_numIfES1_PKS1_PS1_EviT_T9_T10_S5_lS7_S5_lS6_T11_S5_li.private_seg_size, 0
	.set _ZL29rocblas_internal_gemmt_kernelIiLi16ELi32ELi8ELc78ELc84ELc85ELb0ELb0E19rocblas_complex_numIfES1_PKS1_PS1_EviT_T9_T10_S5_lS7_S5_lS6_T11_S5_li.uses_vcc, 1
	.set _ZL29rocblas_internal_gemmt_kernelIiLi16ELi32ELi8ELc78ELc84ELc85ELb0ELb0E19rocblas_complex_numIfES1_PKS1_PS1_EviT_T9_T10_S5_lS7_S5_lS6_T11_S5_li.uses_flat_scratch, 0
	.set _ZL29rocblas_internal_gemmt_kernelIiLi16ELi32ELi8ELc78ELc84ELc85ELb0ELb0E19rocblas_complex_numIfES1_PKS1_PS1_EviT_T9_T10_S5_lS7_S5_lS6_T11_S5_li.has_dyn_sized_stack, 0
	.set _ZL29rocblas_internal_gemmt_kernelIiLi16ELi32ELi8ELc78ELc84ELc85ELb0ELb0E19rocblas_complex_numIfES1_PKS1_PS1_EviT_T9_T10_S5_lS7_S5_lS6_T11_S5_li.has_recursion, 0
	.set _ZL29rocblas_internal_gemmt_kernelIiLi16ELi32ELi8ELc78ELc84ELc85ELb0ELb0E19rocblas_complex_numIfES1_PKS1_PS1_EviT_T9_T10_S5_lS7_S5_lS6_T11_S5_li.has_indirect_call, 0
	.section	.AMDGPU.csdata,"",@progbits
; Kernel info:
; codeLenInByte = 2532
; TotalNumSgprs: 30
; NumVgprs: 59
; ScratchSize: 0
; MemoryBound: 1
; FloatMode: 240
; IeeeMode: 1
; LDSByteSize: 4096 bytes/workgroup (compile time only)
; SGPRBlocks: 0
; VGPRBlocks: 7
; NumSGPRsForWavesPerEU: 30
; NumVGPRsForWavesPerEU: 59
; Occupancy: 16
; WaveLimiterHint : 0
; COMPUTE_PGM_RSRC2:SCRATCH_EN: 0
; COMPUTE_PGM_RSRC2:USER_SGPR: 6
; COMPUTE_PGM_RSRC2:TRAP_HANDLER: 0
; COMPUTE_PGM_RSRC2:TGID_X_EN: 1
; COMPUTE_PGM_RSRC2:TGID_Y_EN: 1
; COMPUTE_PGM_RSRC2:TGID_Z_EN: 1
; COMPUTE_PGM_RSRC2:TIDIG_COMP_CNT: 1
	.section	.text._ZL29rocblas_internal_gemmt_kernelIiLi16ELi32ELi8ELc78ELc67ELc85ELb0ELb1E19rocblas_complex_numIfES1_PKS1_PS1_EviT_T9_T10_S5_lS7_S5_lS6_T11_S5_li,"axG",@progbits,_ZL29rocblas_internal_gemmt_kernelIiLi16ELi32ELi8ELc78ELc67ELc85ELb0ELb1E19rocblas_complex_numIfES1_PKS1_PS1_EviT_T9_T10_S5_lS7_S5_lS6_T11_S5_li,comdat
	.globl	_ZL29rocblas_internal_gemmt_kernelIiLi16ELi32ELi8ELc78ELc67ELc85ELb0ELb1E19rocblas_complex_numIfES1_PKS1_PS1_EviT_T9_T10_S5_lS7_S5_lS6_T11_S5_li ; -- Begin function _ZL29rocblas_internal_gemmt_kernelIiLi16ELi32ELi8ELc78ELc67ELc85ELb0ELb1E19rocblas_complex_numIfES1_PKS1_PS1_EviT_T9_T10_S5_lS7_S5_lS6_T11_S5_li
	.p2align	8
	.type	_ZL29rocblas_internal_gemmt_kernelIiLi16ELi32ELi8ELc78ELc67ELc85ELb0ELb1E19rocblas_complex_numIfES1_PKS1_PS1_EviT_T9_T10_S5_lS7_S5_lS6_T11_S5_li,@function
_ZL29rocblas_internal_gemmt_kernelIiLi16ELi32ELi8ELc78ELc67ELc85ELb0ELb1E19rocblas_complex_numIfES1_PKS1_PS1_EviT_T9_T10_S5_lS7_S5_lS6_T11_S5_li: ; @_ZL29rocblas_internal_gemmt_kernelIiLi16ELi32ELi8ELc78ELc67ELc85ELb0ELb1E19rocblas_complex_numIfES1_PKS1_PS1_EviT_T9_T10_S5_lS7_S5_lS6_T11_S5_li
; %bb.0:
	s_clause 0x1
	s_load_dwordx2 s[2:3], s[4:5], 0x40
	s_load_dwordx4 s[12:15], s[4:5], 0x0
	s_waitcnt lgkmcnt(0)
	s_and_b32 s0, s3, 0x7fffffff
	v_cmp_eq_f32_e64 s1, s2, 1.0
	s_cmp_eq_u32 s0, 0
	s_mov_b32 s0, 0
	s_cselect_b32 s9, -1, 0
	s_and_b32 s1, s1, s9
	s_andn2_b32 vcc_lo, exec_lo, s1
	s_mov_b32 s1, -1
	s_cbranch_vccnz .LBB92_4
; %bb.1:
	s_cmp_lg_u32 s13, 0
	s_cbranch_scc0 .LBB92_3
; %bb.2:
	v_cmp_neq_f32_e64 s0, s14, 0
	v_cmp_neq_f32_e64 s1, s15, 0
	s_or_b32 s0, s0, s1
.LBB92_3:
	s_mov_b32 s1, s0
.LBB92_4:
	s_and_b32 vcc_lo, exec_lo, s1
	s_cbranch_vccz .LBB92_32
; %bb.5:
	v_cmp_eq_f32_e64 s0, s14, 0
	v_cmp_eq_f32_e64 s1, s15, 0
	s_lshl_b32 s20, s6, 5
	s_lshl_b32 s21, s7, 5
	v_mov_b32_e32 v20, 0
	v_mov_b32_e32 v21, 0
	s_and_b32 s0, s0, s1
	s_cmp_lt_i32 s13, 1
	v_mov_b32_e32 v18, 0
	s_cselect_b32 s1, -1, 0
	v_mov_b32_e32 v19, 0
	v_mov_b32_e32 v16, 0
	;; [unrolled: 1-line block ×5, first 2 shown]
	s_or_b32 s0, s0, s1
	s_mov_b32 s22, 0
	s_and_b32 vcc_lo, exec_lo, s0
	s_cbranch_vccnz .LBB92_16
; %bb.6:
	s_clause 0x1
	s_load_dword s6, s[4:5], 0x18
	s_load_dword s10, s[4:5], 0x30
	v_lshl_add_u32 v2, v1, 4, v0
	s_clause 0x1
	s_load_dwordx4 s[16:19], s[4:5], 0x20
	s_load_dwordx2 s[24:25], s[4:5], 0x10
	v_and_b32_e32 v8, 7, v0
	s_load_dwordx2 s[26:27], s[4:5], 0x38
	v_and_b32_e32 v6, 31, v2
	v_lshrrev_b32_e32 v3, 3, v2
	v_lshrrev_b32_e32 v9, 5, v2
	v_lshlrev_b32_e32 v4, 3, v8
	v_lshlrev_b32_e32 v12, 3, v0
	v_or_b32_e32 v5, s20, v6
	v_add_nc_u32_e32 v2, s21, v3
	v_lshlrev_b32_e32 v7, 3, v6
	v_lshl_or_b32 v3, v3, 6, v4
	v_add_nc_u32_e32 v6, s20, v6
	v_cmp_gt_i32_e32 vcc_lo, s12, v5
	v_cmp_gt_i32_e64 s0, s12, v2
	v_lshl_or_b32 v10, v9, 8, v7
	s_waitcnt lgkmcnt(0)
	v_mad_i64_i32 v[4:5], null, v9, s6, 0
	v_mad_i64_i32 v[14:15], null, s10, v8, 0
	s_mul_i32 s1, s17, s8
	s_mul_hi_u32 s17, s16, s8
	s_mul_i32 s16, s16, s8
	s_add_i32 s17, s17, s1
	v_lshlrev_b64 v[4:5], 3, v[4:5]
	s_lshl_b64 s[16:17], s[16:17], 3
	v_ashrrev_i32_e32 v7, 31, v6
	v_add_nc_u32_e32 v11, 0x800, v3
	v_ashrrev_i32_e32 v3, 31, v2
	v_lshl_add_u32 v13, v1, 6, 0x800
	v_add_co_u32 v16, s1, v4, s16
	v_add_co_ci_u32_e64 v17, null, s17, v5, s1
	s_mul_i32 s1, s27, s8
	s_mul_hi_u32 s16, s26, s8
	v_lshlrev_b64 v[4:5], 3, v[14:15]
	s_add_i32 s17, s16, s1
	s_mul_i32 s16, s26, s8
	v_lshlrev_b64 v[6:7], 3, v[6:7]
	s_lshl_b64 s[16:17], s[16:17], 3
	v_lshlrev_b64 v[2:3], 3, v[2:3]
	v_add_co_u32 v4, s1, s16, v4
	v_add_co_ci_u32_e64 v5, null, s17, v5, s1
	v_add_co_u32 v6, s1, v16, v6
	v_add_co_ci_u32_e64 v7, null, v17, v7, s1
	;; [unrolled: 2-line block ×5, first 2 shown]
	v_mov_b32_e32 v6, 0
	v_add_co_u32 v4, s1, v4, 4
	v_add_co_ci_u32_e64 v5, null, 0, v5, s1
	v_mov_b32_e32 v15, 0
	v_mov_b32_e32 v14, 0
	;; [unrolled: 1-line block ×8, first 2 shown]
	s_ashr_i32 s7, s6, 31
	s_ashr_i32 s11, s10, 31
	s_lshl_b64 s[6:7], s[6:7], 6
	s_lshl_b64 s[10:11], s[10:11], 6
	s_xor_b32 s1, vcc_lo, -1
	s_xor_b32 s0, s0, -1
	s_branch .LBB92_8
.LBB92_7:                               ;   in Loop: Header=BB92_8 Depth=1
	s_or_b32 exec_lo, exec_lo, s16
	ds_write_b32 v11, v7 offset:4
	s_waitcnt lgkmcnt(0)
	s_barrier
	buffer_gl0_inv
	ds_read_b128 v[22:25], v13
	ds_read2_b64 v[26:29], v12 offset1:16
	ds_read_b128 v[30:33], v13 offset:1024
	ds_read_b128 v[34:37], v13 offset:16
	;; [unrolled: 1-line block ×4, first 2 shown]
	ds_read2_b64 v[46:49], v12 offset0:32 offset1:48
	ds_read_b128 v[50:53], v13 offset:1040
	v_add_co_u32 v2, vcc_lo, v2, s6
	v_add_co_ci_u32_e64 v3, null, s7, v3, vcc_lo
	v_add_co_u32 v4, vcc_lo, v4, s10
	v_add_co_ci_u32_e64 v5, null, s11, v5, vcc_lo
	s_add_i32 s22, s22, 8
	s_cmp_lt_i32 s22, s13
	s_waitcnt lgkmcnt(6)
	v_mul_f32_e32 v7, v23, v27
	v_mul_f32_e32 v54, v22, v27
	;; [unrolled: 1-line block ×4, first 2 shown]
	s_waitcnt lgkmcnt(5)
	v_mul_f32_e32 v57, v31, v27
	v_mul_f32_e32 v27, v30, v27
	v_mul_f32_e32 v58, v31, v29
	v_fma_f32 v7, v22, v26, -v7
	v_fmac_f32_e32 v54, v23, v26
	v_fma_f32 v22, v22, v28, -v55
	v_fmac_f32_e32 v56, v23, v28
	;; [unrolled: 2-line block ×3, first 2 shown]
	v_mul_f32_e32 v29, v30, v29
	v_fma_f32 v26, v30, v28, -v58
	v_add_f32_e32 v7, v20, v7
	v_add_f32_e32 v20, v21, v54
	;; [unrolled: 1-line block ×6, first 2 shown]
	s_waitcnt lgkmcnt(1)
	v_mul_f32_e32 v30, v25, v47
	ds_read2_b64 v[16:19], v12 offset0:64 offset1:80
	v_fmac_f32_e32 v29, v31, v28
	v_add_f32_e32 v14, v14, v26
	v_mul_f32_e32 v26, v24, v47
	v_fma_f32 v28, v24, v46, -v30
	v_mul_f32_e32 v30, v25, v49
	v_add_f32_e32 v15, v15, v29
	v_mul_f32_e32 v29, v24, v49
	v_fmac_f32_e32 v26, v25, v46
	v_add_f32_e32 v7, v7, v28
	v_fma_f32 v24, v24, v48, -v30
	v_mul_f32_e32 v28, v33, v47
	v_fmac_f32_e32 v29, v25, v48
	v_add_f32_e32 v26, v20, v26
	v_mul_f32_e32 v20, v32, v47
	v_add_f32_e32 v24, v21, v24
	v_fma_f32 v21, v32, v46, -v28
	v_mul_f32_e32 v25, v33, v49
	v_add_f32_e32 v28, v22, v29
	v_fmac_f32_e32 v20, v33, v46
	v_mul_f32_e32 v29, v32, v49
	v_add_f32_e32 v30, v23, v21
	v_fma_f32 v21, v32, v48, -v25
	s_waitcnt lgkmcnt(0)
	v_mul_f32_e32 v22, v35, v17
	v_add_f32_e32 v25, v27, v20
	v_fmac_f32_e32 v29, v33, v48
	v_mul_f32_e32 v27, v34, v17
	v_add_f32_e32 v14, v14, v21
	v_fma_f32 v31, v34, v16, -v22
	v_mul_f32_e32 v32, v35, v19
	ds_read2_b64 v[20:23], v12 offset0:96 offset1:112
	v_fmac_f32_e32 v27, v35, v16
	v_add_f32_e32 v29, v15, v29
	v_add_f32_e32 v7, v7, v31
	v_mul_f32_e32 v15, v34, v19
	v_fma_f32 v31, v34, v18, -v32
	v_add_f32_e32 v26, v26, v27
	v_mul_f32_e32 v27, v51, v17
	v_mul_f32_e32 v17, v50, v17
	v_fmac_f32_e32 v15, v35, v18
	v_add_f32_e32 v24, v24, v31
	v_mul_f32_e32 v31, v51, v19
	v_mul_f32_e32 v19, v50, v19
	v_fmac_f32_e32 v17, v51, v16
	v_add_f32_e32 v28, v28, v15
	v_fma_f32 v27, v50, v16, -v27
	v_fma_f32 v15, v50, v18, -v31
	v_fmac_f32_e32 v19, v51, v18
	v_add_f32_e32 v31, v25, v17
	s_waitcnt lgkmcnt(0)
	v_mul_f32_e32 v18, v37, v21
	v_add_f32_e32 v32, v14, v15
	ds_read2_b64 v[14:17], v12 offset0:128 offset1:144
	v_add_f32_e32 v30, v30, v27
	v_mul_f32_e32 v25, v36, v21
	v_fma_f32 v18, v36, v20, -v18
	v_mul_f32_e32 v27, v37, v23
	v_add_f32_e32 v29, v29, v19
	v_mul_f32_e32 v19, v36, v23
	v_fmac_f32_e32 v25, v37, v20
	v_add_f32_e32 v7, v7, v18
	v_mul_f32_e32 v18, v53, v21
	v_fma_f32 v27, v36, v22, -v27
	v_fmac_f32_e32 v19, v37, v22
	v_mul_f32_e32 v21, v52, v21
	v_mul_f32_e32 v35, v53, v23
	v_fma_f32 v18, v52, v20, -v18
	v_add_f32_e32 v33, v26, v25
	v_add_f32_e32 v34, v24, v27
	ds_read_b128 v[24:27], v13 offset:1056
	v_add_f32_e32 v36, v28, v19
	v_fmac_f32_e32 v21, v53, v20
	v_mul_f32_e32 v23, v52, v23
	v_fma_f32 v19, v52, v22, -v35
	v_add_f32_e32 v35, v30, v18
	s_waitcnt lgkmcnt(1)
	v_mul_f32_e32 v18, v39, v15
	v_add_f32_e32 v37, v31, v21
	v_fmac_f32_e32 v23, v53, v22
	v_add_f32_e32 v22, v32, v19
	v_mul_f32_e32 v32, v38, v15
	v_fma_f32 v28, v38, v14, -v18
	ds_read2_b64 v[18:21], v12 offset0:160 offset1:176
	v_mul_f32_e32 v30, v39, v17
	v_mul_f32_e32 v46, v38, v17
	v_fmac_f32_e32 v32, v39, v14
	v_add_f32_e32 v23, v29, v23
	v_add_f32_e32 v7, v7, v28
	v_fma_f32 v38, v38, v16, -v30
	ds_read_b128 v[28:31], v13 offset:1072
	s_waitcnt lgkmcnt(2)
	v_mul_f32_e32 v47, v25, v15
	v_add_f32_e32 v32, v33, v32
	v_mul_f32_e32 v15, v24, v15
	v_add_f32_e32 v33, v34, v38
	v_mul_f32_e32 v38, v25, v17
	v_fmac_f32_e32 v46, v39, v16
	v_fma_f32 v34, v24, v14, -v47
	v_fmac_f32_e32 v15, v25, v14
	v_mul_f32_e32 v39, v24, v17
	v_fma_f32 v14, v24, v16, -v38
	v_add_f32_e32 v36, v36, v46
	v_add_f32_e32 v34, v35, v34
	s_waitcnt lgkmcnt(1)
	v_mul_f32_e32 v17, v41, v19
	v_add_f32_e32 v24, v37, v15
	v_fmac_f32_e32 v39, v25, v16
	v_mul_f32_e32 v25, v40, v19
	v_add_f32_e32 v22, v22, v14
	v_fma_f32 v35, v40, v18, -v17
	ds_read2_b64 v[14:17], v12 offset0:192 offset1:208
	v_mul_f32_e32 v37, v41, v21
	v_fmac_f32_e32 v25, v41, v18
	v_add_f32_e32 v38, v23, v39
	v_add_f32_e32 v7, v7, v35
	v_mul_f32_e32 v23, v40, v21
	v_fma_f32 v35, v40, v20, -v37
	v_add_f32_e32 v32, v32, v25
	v_mul_f32_e32 v25, v27, v19
	v_mul_f32_e32 v19, v26, v19
	v_fmac_f32_e32 v23, v41, v20
	v_add_f32_e32 v33, v33, v35
	v_mul_f32_e32 v35, v27, v21
	v_fma_f32 v25, v26, v18, -v25
	v_fmac_f32_e32 v19, v27, v18
	v_add_f32_e32 v18, v36, v23
	v_mul_f32_e32 v21, v26, v21
	v_fma_f32 v23, v26, v20, -v35
	v_add_f32_e32 v26, v34, v25
	v_add_f32_e32 v19, v24, v19
	s_waitcnt lgkmcnt(0)
	v_mul_f32_e32 v34, v43, v15
	v_fmac_f32_e32 v21, v27, v20
	v_add_f32_e32 v20, v22, v23
	ds_read2_b64 v[22:25], v12 offset0:224 offset1:240
	v_mul_f32_e32 v27, v42, v15
	v_fma_f32 v34, v42, v14, -v34
	v_mul_f32_e32 v35, v43, v17
	v_mul_f32_e32 v36, v42, v17
	v_add_f32_e32 v21, v38, v21
	v_fmac_f32_e32 v27, v43, v14
	v_add_f32_e32 v7, v7, v34
	v_mul_f32_e32 v34, v29, v15
	v_fma_f32 v35, v42, v16, -v35
	v_fmac_f32_e32 v36, v43, v16
	v_add_f32_e32 v27, v32, v27
	v_mul_f32_e32 v15, v28, v15
	v_fma_f32 v32, v28, v14, -v34
	v_mul_f32_e32 v34, v29, v17
	v_add_f32_e32 v33, v33, v35
	v_add_f32_e32 v35, v18, v36
	v_fmac_f32_e32 v15, v29, v14
	v_add_f32_e32 v14, v26, v32
	v_mul_f32_e32 v17, v28, v17
	v_fma_f32 v18, v28, v16, -v34
	s_waitcnt lgkmcnt(0)
	v_mul_f32_e32 v26, v45, v23
	v_mul_f32_e32 v28, v44, v23
	v_add_f32_e32 v15, v19, v15
	v_fmac_f32_e32 v17, v29, v16
	v_add_f32_e32 v29, v20, v18
	v_fma_f32 v16, v44, v22, -v26
	v_mul_f32_e32 v18, v45, v25
	v_mul_f32_e32 v19, v44, v25
	v_add_f32_e32 v26, v21, v17
	v_mul_f32_e32 v17, v30, v23
	v_add_f32_e32 v20, v7, v16
	v_fma_f32 v7, v44, v24, -v18
	v_mul_f32_e32 v16, v31, v23
	v_mul_f32_e32 v23, v31, v25
	;; [unrolled: 1-line block ×3, first 2 shown]
	v_fmac_f32_e32 v28, v45, v22
	v_fmac_f32_e32 v19, v45, v24
	v_add_f32_e32 v18, v33, v7
	v_fma_f32 v7, v30, v22, -v16
	v_fmac_f32_e32 v17, v31, v22
	v_fma_f32 v22, v30, v24, -v23
	v_fmac_f32_e32 v25, v31, v24
	v_add_f32_e32 v21, v27, v28
	v_add_f32_e32 v19, v35, v19
	;; [unrolled: 1-line block ×6, first 2 shown]
	s_barrier
	buffer_gl0_inv
	s_cbranch_scc0 .LBB92_16
.LBB92_8:                               ; =>This Inner Loop Header: Depth=1
	v_add_nc_u32_e32 v7, s22, v9
	v_cmp_le_i32_e32 vcc_lo, s13, v7
	s_or_b32 s16, s1, vcc_lo
	s_and_saveexec_b32 s17, s16
	s_xor_b32 s16, exec_lo, s17
; %bb.9:                                ;   in Loop: Header=BB92_8 Depth=1
	v_mov_b32_e32 v7, v6
	ds_write_b64 v10, v[6:7]
; %bb.10:                               ;   in Loop: Header=BB92_8 Depth=1
	s_andn2_saveexec_b32 s16, s16
	s_cbranch_execz .LBB92_12
; %bb.11:                               ;   in Loop: Header=BB92_8 Depth=1
	global_load_dwordx2 v[22:23], v[2:3], off
	s_waitcnt vmcnt(0)
	ds_write_b64 v10, v[22:23]
.LBB92_12:                              ;   in Loop: Header=BB92_8 Depth=1
	s_or_b32 exec_lo, exec_lo, s16
	v_add_nc_u32_e32 v7, s22, v8
	v_cmp_le_i32_e32 vcc_lo, s13, v7
	s_or_b32 s16, vcc_lo, s0
	s_and_saveexec_b32 s17, s16
	s_xor_b32 s16, exec_lo, s17
; %bb.13:                               ;   in Loop: Header=BB92_8 Depth=1
	ds_write_b32 v11, v6
; %bb.14:                               ;   in Loop: Header=BB92_8 Depth=1
	s_or_saveexec_b32 s16, s16
	v_mov_b32_e32 v7, 0
	s_xor_b32 exec_lo, exec_lo, s16
	s_cbranch_execz .LBB92_7
; %bb.15:                               ;   in Loop: Header=BB92_8 Depth=1
	global_load_dwordx2 v[22:23], v[4:5], off offset:-4
	s_waitcnt vmcnt(0)
	v_xor_b32_e32 v7, 0x80000000, v23
	ds_write_b32 v11, v22
	s_branch .LBB92_7
.LBB92_16:
	s_clause 0x2
	s_load_dword s6, s[4:5], 0x50
	s_load_dwordx2 s[10:11], s[4:5], 0x58
	s_load_dwordx2 s[4:5], s[4:5], 0x48
	v_add_nc_u32_e32 v9, s21, v1
	v_add_nc_u32_e32 v0, s20, v0
	v_cmp_neq_f32_e64 s7, s2, 0
	v_cmp_gt_i32_e64 s0, s12, v9
	v_cmp_le_i32_e32 vcc_lo, v0, v9
	s_waitcnt lgkmcnt(0)
	v_mad_i64_i32 v[1:2], null, v9, s6, 0
	s_mul_i32 s1, s11, s8
	s_mul_hi_u32 s11, s10, s8
	s_mul_i32 s10, s10, s8
	s_add_i32 s11, s11, s1
	s_lshl_b64 s[10:11], s[10:11], 3
	v_lshlrev_b64 v[2:3], 3, v[1:2]
	s_add_u32 s4, s4, s10
	s_addc_u32 s5, s5, s11
	s_xor_b32 s8, s9, -1
	v_ashrrev_i32_e32 v1, 31, v0
	s_or_b32 s7, s7, s8
	v_add_co_u32 v6, s1, s4, v2
	v_add_co_ci_u32_e64 v7, null, s5, v3, s1
	v_cndmask_b32_e64 v8, 0, 1, s7
	s_and_b32 s8, s0, vcc_lo
	s_and_saveexec_b32 s1, s8
	s_cbranch_execz .LBB92_20
; %bb.17:
	v_lshlrev_b64 v[4:5], 3, v[0:1]
	v_mul_f32_e32 v2, s15, v21
	v_mul_f32_e32 v3, s14, v21
	v_fma_f32 v2, v20, s14, -v2
	v_add_co_u32 v4, vcc_lo, v6, v4
	v_fmac_f32_e32 v3, s15, v20
	v_add_co_ci_u32_e64 v5, null, v7, v5, vcc_lo
	s_andn2_b32 vcc_lo, exec_lo, s7
	s_cbranch_vccnz .LBB92_19
; %bb.18:
	global_load_dwordx2 v[10:11], v[4:5], off
	s_waitcnt vmcnt(0)
	v_mul_f32_e32 v12, s3, v11
	v_mul_f32_e32 v11, s2, v11
	v_fma_f32 v12, v10, s2, -v12
	v_fmac_f32_e32 v11, s3, v10
	v_add_f32_e32 v2, v2, v12
	v_add_f32_e32 v3, v3, v11
.LBB92_19:
	global_store_dwordx2 v[4:5], v[2:3], off
.LBB92_20:
	s_or_b32 exec_lo, exec_lo, s1
	v_add_nc_u32_e32 v2, 16, v0
	v_cmp_le_i32_e32 vcc_lo, v2, v9
	v_ashrrev_i32_e32 v3, 31, v2
	s_and_b32 s0, s0, vcc_lo
	s_and_saveexec_b32 s1, s0
	s_cbranch_execz .LBB92_24
; %bb.21:
	v_lshlrev_b64 v[10:11], 3, v[2:3]
	v_mul_f32_e32 v4, s15, v19
	v_mul_f32_e32 v5, s14, v19
	v_cmp_ne_u32_e32 vcc_lo, 1, v8
	v_fma_f32 v4, v18, s14, -v4
	v_add_co_u32 v6, s0, v6, v10
	v_fmac_f32_e32 v5, s15, v18
	v_add_co_ci_u32_e64 v7, null, v7, v11, s0
	s_cbranch_vccnz .LBB92_23
; %bb.22:
	global_load_dwordx2 v[10:11], v[6:7], off
	s_waitcnt vmcnt(0)
	v_mul_f32_e32 v12, s3, v11
	v_mul_f32_e32 v11, s2, v11
	v_fma_f32 v12, v10, s2, -v12
	v_fmac_f32_e32 v11, s3, v10
	v_add_f32_e32 v4, v4, v12
	v_add_f32_e32 v5, v5, v11
.LBB92_23:
	global_store_dwordx2 v[6:7], v[4:5], off
.LBB92_24:
	s_or_b32 exec_lo, exec_lo, s1
	v_add_nc_u32_e32 v9, 16, v9
	v_mad_i64_i32 v[4:5], null, v9, s6, 0
	v_cmp_gt_i32_e64 s0, s12, v9
	v_cmp_le_i32_e32 vcc_lo, v0, v9
	v_lshlrev_b64 v[4:5], 3, v[4:5]
	v_add_co_u32 v6, s1, s4, v4
	v_add_co_ci_u32_e64 v7, null, s5, v5, s1
	s_and_b32 s1, s0, vcc_lo
	s_and_saveexec_b32 s4, s1
	s_cbranch_execz .LBB92_28
; %bb.25:
	v_lshlrev_b64 v[0:1], 3, v[0:1]
	v_mul_f32_e32 v4, s15, v17
	v_mul_f32_e32 v5, s14, v17
	v_cmp_ne_u32_e32 vcc_lo, 1, v8
	v_fma_f32 v4, v16, s14, -v4
	v_add_co_u32 v0, s1, v6, v0
	v_fmac_f32_e32 v5, s15, v16
	v_add_co_ci_u32_e64 v1, null, v7, v1, s1
	s_cbranch_vccnz .LBB92_27
; %bb.26:
	global_load_dwordx2 v[10:11], v[0:1], off
	s_waitcnt vmcnt(0)
	v_mul_f32_e32 v12, s3, v11
	v_mul_f32_e32 v11, s2, v11
	v_fma_f32 v12, v10, s2, -v12
	v_fmac_f32_e32 v11, s3, v10
	v_add_f32_e32 v4, v4, v12
	v_add_f32_e32 v5, v5, v11
.LBB92_27:
	global_store_dwordx2 v[0:1], v[4:5], off
.LBB92_28:
	s_or_b32 exec_lo, exec_lo, s4
	v_cmp_le_i32_e32 vcc_lo, v2, v9
	s_and_b32 s0, s0, vcc_lo
	s_and_saveexec_b32 s1, s0
	s_cbranch_execz .LBB92_32
; %bb.29:
	v_lshlrev_b64 v[2:3], 3, v[2:3]
	v_mul_f32_e32 v0, s15, v15
	v_mul_f32_e32 v1, s14, v15
	v_cmp_ne_u32_e32 vcc_lo, 1, v8
	v_fma_f32 v0, v14, s14, -v0
	v_add_co_u32 v2, s0, v6, v2
	v_fmac_f32_e32 v1, s15, v14
	v_add_co_ci_u32_e64 v3, null, v7, v3, s0
	s_cbranch_vccnz .LBB92_31
; %bb.30:
	global_load_dwordx2 v[4:5], v[2:3], off
	s_waitcnt vmcnt(0)
	v_mul_f32_e32 v6, s3, v5
	v_mul_f32_e32 v5, s2, v5
	v_fma_f32 v6, v4, s2, -v6
	v_fmac_f32_e32 v5, s3, v4
	v_add_f32_e32 v0, v0, v6
	v_add_f32_e32 v1, v1, v5
.LBB92_31:
	global_store_dwordx2 v[2:3], v[0:1], off
.LBB92_32:
	s_endpgm
	.section	.rodata,"a",@progbits
	.p2align	6, 0x0
	.amdhsa_kernel _ZL29rocblas_internal_gemmt_kernelIiLi16ELi32ELi8ELc78ELc67ELc85ELb0ELb1E19rocblas_complex_numIfES1_PKS1_PS1_EviT_T9_T10_S5_lS7_S5_lS6_T11_S5_li
		.amdhsa_group_segment_fixed_size 4096
		.amdhsa_private_segment_fixed_size 0
		.amdhsa_kernarg_size 100
		.amdhsa_user_sgpr_count 6
		.amdhsa_user_sgpr_private_segment_buffer 1
		.amdhsa_user_sgpr_dispatch_ptr 0
		.amdhsa_user_sgpr_queue_ptr 0
		.amdhsa_user_sgpr_kernarg_segment_ptr 1
		.amdhsa_user_sgpr_dispatch_id 0
		.amdhsa_user_sgpr_flat_scratch_init 0
		.amdhsa_user_sgpr_private_segment_size 0
		.amdhsa_wavefront_size32 1
		.amdhsa_uses_dynamic_stack 0
		.amdhsa_system_sgpr_private_segment_wavefront_offset 0
		.amdhsa_system_sgpr_workgroup_id_x 1
		.amdhsa_system_sgpr_workgroup_id_y 1
		.amdhsa_system_sgpr_workgroup_id_z 1
		.amdhsa_system_sgpr_workgroup_info 0
		.amdhsa_system_vgpr_workitem_id 1
		.amdhsa_next_free_vgpr 59
		.amdhsa_next_free_sgpr 28
		.amdhsa_reserve_vcc 1
		.amdhsa_reserve_flat_scratch 0
		.amdhsa_float_round_mode_32 0
		.amdhsa_float_round_mode_16_64 0
		.amdhsa_float_denorm_mode_32 3
		.amdhsa_float_denorm_mode_16_64 3
		.amdhsa_dx10_clamp 1
		.amdhsa_ieee_mode 1
		.amdhsa_fp16_overflow 0
		.amdhsa_workgroup_processor_mode 1
		.amdhsa_memory_ordered 1
		.amdhsa_forward_progress 1
		.amdhsa_shared_vgpr_count 0
		.amdhsa_exception_fp_ieee_invalid_op 0
		.amdhsa_exception_fp_denorm_src 0
		.amdhsa_exception_fp_ieee_div_zero 0
		.amdhsa_exception_fp_ieee_overflow 0
		.amdhsa_exception_fp_ieee_underflow 0
		.amdhsa_exception_fp_ieee_inexact 0
		.amdhsa_exception_int_div_zero 0
	.end_amdhsa_kernel
	.section	.text._ZL29rocblas_internal_gemmt_kernelIiLi16ELi32ELi8ELc78ELc67ELc85ELb0ELb1E19rocblas_complex_numIfES1_PKS1_PS1_EviT_T9_T10_S5_lS7_S5_lS6_T11_S5_li,"axG",@progbits,_ZL29rocblas_internal_gemmt_kernelIiLi16ELi32ELi8ELc78ELc67ELc85ELb0ELb1E19rocblas_complex_numIfES1_PKS1_PS1_EviT_T9_T10_S5_lS7_S5_lS6_T11_S5_li,comdat
.Lfunc_end92:
	.size	_ZL29rocblas_internal_gemmt_kernelIiLi16ELi32ELi8ELc78ELc67ELc85ELb0ELb1E19rocblas_complex_numIfES1_PKS1_PS1_EviT_T9_T10_S5_lS7_S5_lS6_T11_S5_li, .Lfunc_end92-_ZL29rocblas_internal_gemmt_kernelIiLi16ELi32ELi8ELc78ELc67ELc85ELb0ELb1E19rocblas_complex_numIfES1_PKS1_PS1_EviT_T9_T10_S5_lS7_S5_lS6_T11_S5_li
                                        ; -- End function
	.set _ZL29rocblas_internal_gemmt_kernelIiLi16ELi32ELi8ELc78ELc67ELc85ELb0ELb1E19rocblas_complex_numIfES1_PKS1_PS1_EviT_T9_T10_S5_lS7_S5_lS6_T11_S5_li.num_vgpr, 59
	.set _ZL29rocblas_internal_gemmt_kernelIiLi16ELi32ELi8ELc78ELc67ELc85ELb0ELb1E19rocblas_complex_numIfES1_PKS1_PS1_EviT_T9_T10_S5_lS7_S5_lS6_T11_S5_li.num_agpr, 0
	.set _ZL29rocblas_internal_gemmt_kernelIiLi16ELi32ELi8ELc78ELc67ELc85ELb0ELb1E19rocblas_complex_numIfES1_PKS1_PS1_EviT_T9_T10_S5_lS7_S5_lS6_T11_S5_li.numbered_sgpr, 28
	.set _ZL29rocblas_internal_gemmt_kernelIiLi16ELi32ELi8ELc78ELc67ELc85ELb0ELb1E19rocblas_complex_numIfES1_PKS1_PS1_EviT_T9_T10_S5_lS7_S5_lS6_T11_S5_li.num_named_barrier, 0
	.set _ZL29rocblas_internal_gemmt_kernelIiLi16ELi32ELi8ELc78ELc67ELc85ELb0ELb1E19rocblas_complex_numIfES1_PKS1_PS1_EviT_T9_T10_S5_lS7_S5_lS6_T11_S5_li.private_seg_size, 0
	.set _ZL29rocblas_internal_gemmt_kernelIiLi16ELi32ELi8ELc78ELc67ELc85ELb0ELb1E19rocblas_complex_numIfES1_PKS1_PS1_EviT_T9_T10_S5_lS7_S5_lS6_T11_S5_li.uses_vcc, 1
	.set _ZL29rocblas_internal_gemmt_kernelIiLi16ELi32ELi8ELc78ELc67ELc85ELb0ELb1E19rocblas_complex_numIfES1_PKS1_PS1_EviT_T9_T10_S5_lS7_S5_lS6_T11_S5_li.uses_flat_scratch, 0
	.set _ZL29rocblas_internal_gemmt_kernelIiLi16ELi32ELi8ELc78ELc67ELc85ELb0ELb1E19rocblas_complex_numIfES1_PKS1_PS1_EviT_T9_T10_S5_lS7_S5_lS6_T11_S5_li.has_dyn_sized_stack, 0
	.set _ZL29rocblas_internal_gemmt_kernelIiLi16ELi32ELi8ELc78ELc67ELc85ELb0ELb1E19rocblas_complex_numIfES1_PKS1_PS1_EviT_T9_T10_S5_lS7_S5_lS6_T11_S5_li.has_recursion, 0
	.set _ZL29rocblas_internal_gemmt_kernelIiLi16ELi32ELi8ELc78ELc67ELc85ELb0ELb1E19rocblas_complex_numIfES1_PKS1_PS1_EviT_T9_T10_S5_lS7_S5_lS6_T11_S5_li.has_indirect_call, 0
	.section	.AMDGPU.csdata,"",@progbits
; Kernel info:
; codeLenInByte = 2568
; TotalNumSgprs: 30
; NumVgprs: 59
; ScratchSize: 0
; MemoryBound: 1
; FloatMode: 240
; IeeeMode: 1
; LDSByteSize: 4096 bytes/workgroup (compile time only)
; SGPRBlocks: 0
; VGPRBlocks: 7
; NumSGPRsForWavesPerEU: 30
; NumVGPRsForWavesPerEU: 59
; Occupancy: 16
; WaveLimiterHint : 0
; COMPUTE_PGM_RSRC2:SCRATCH_EN: 0
; COMPUTE_PGM_RSRC2:USER_SGPR: 6
; COMPUTE_PGM_RSRC2:TRAP_HANDLER: 0
; COMPUTE_PGM_RSRC2:TGID_X_EN: 1
; COMPUTE_PGM_RSRC2:TGID_Y_EN: 1
; COMPUTE_PGM_RSRC2:TGID_Z_EN: 1
; COMPUTE_PGM_RSRC2:TIDIG_COMP_CNT: 1
	.section	.text._ZL29rocblas_internal_gemmt_kernelIiLi16ELi32ELi8ELc84ELc78ELc85ELb0ELb0E19rocblas_complex_numIfES1_PKS1_PS1_EviT_T9_T10_S5_lS7_S5_lS6_T11_S5_li,"axG",@progbits,_ZL29rocblas_internal_gemmt_kernelIiLi16ELi32ELi8ELc84ELc78ELc85ELb0ELb0E19rocblas_complex_numIfES1_PKS1_PS1_EviT_T9_T10_S5_lS7_S5_lS6_T11_S5_li,comdat
	.globl	_ZL29rocblas_internal_gemmt_kernelIiLi16ELi32ELi8ELc84ELc78ELc85ELb0ELb0E19rocblas_complex_numIfES1_PKS1_PS1_EviT_T9_T10_S5_lS7_S5_lS6_T11_S5_li ; -- Begin function _ZL29rocblas_internal_gemmt_kernelIiLi16ELi32ELi8ELc84ELc78ELc85ELb0ELb0E19rocblas_complex_numIfES1_PKS1_PS1_EviT_T9_T10_S5_lS7_S5_lS6_T11_S5_li
	.p2align	8
	.type	_ZL29rocblas_internal_gemmt_kernelIiLi16ELi32ELi8ELc84ELc78ELc85ELb0ELb0E19rocblas_complex_numIfES1_PKS1_PS1_EviT_T9_T10_S5_lS7_S5_lS6_T11_S5_li,@function
_ZL29rocblas_internal_gemmt_kernelIiLi16ELi32ELi8ELc84ELc78ELc85ELb0ELb0E19rocblas_complex_numIfES1_PKS1_PS1_EviT_T9_T10_S5_lS7_S5_lS6_T11_S5_li: ; @_ZL29rocblas_internal_gemmt_kernelIiLi16ELi32ELi8ELc84ELc78ELc85ELb0ELb0E19rocblas_complex_numIfES1_PKS1_PS1_EviT_T9_T10_S5_lS7_S5_lS6_T11_S5_li
; %bb.0:
	s_clause 0x1
	s_load_dwordx2 s[2:3], s[4:5], 0x40
	s_load_dwordx4 s[12:15], s[4:5], 0x0
	s_waitcnt lgkmcnt(0)
	s_and_b32 s0, s3, 0x7fffffff
	v_cmp_eq_f32_e64 s1, s2, 1.0
	s_cmp_eq_u32 s0, 0
	s_mov_b32 s0, 0
	s_cselect_b32 s9, -1, 0
	s_and_b32 s1, s1, s9
	s_andn2_b32 vcc_lo, exec_lo, s1
	s_mov_b32 s1, -1
	s_cbranch_vccnz .LBB93_4
; %bb.1:
	s_cmp_lg_u32 s13, 0
	s_cbranch_scc0 .LBB93_3
; %bb.2:
	v_cmp_neq_f32_e64 s0, s14, 0
	v_cmp_neq_f32_e64 s1, s15, 0
	s_or_b32 s0, s0, s1
.LBB93_3:
	s_mov_b32 s1, s0
.LBB93_4:
	s_and_b32 vcc_lo, exec_lo, s1
	s_cbranch_vccz .LBB93_32
; %bb.5:
	v_cmp_eq_f32_e64 s0, s14, 0
	v_cmp_eq_f32_e64 s1, s15, 0
	s_lshl_b32 s6, s6, 5
	s_lshl_b32 s7, s7, 5
	v_mov_b32_e32 v20, 0
	v_mov_b32_e32 v21, 0
	s_and_b32 s0, s0, s1
	s_cmp_lt_i32 s13, 1
	v_mov_b32_e32 v18, 0
	s_cselect_b32 s1, -1, 0
	v_mov_b32_e32 v19, 0
	v_mov_b32_e32 v16, 0
	;; [unrolled: 1-line block ×5, first 2 shown]
	s_or_b32 s0, s0, s1
	s_mov_b32 s10, 0
	s_and_b32 vcc_lo, exec_lo, s0
	s_cbranch_vccnz .LBB93_16
; %bb.6:
	s_clause 0x1
	s_load_dword s0, s[4:5], 0x18
	s_load_dwordx2 s[20:21], s[4:5], 0x10
	v_lshl_add_u32 v2, v1, 4, v0
	s_clause 0x2
	s_load_dwordx4 s[16:19], s[4:5], 0x20
	s_load_dword s1, s[4:5], 0x30
	s_load_dwordx2 s[22:23], s[4:5], 0x38
	v_and_b32_e32 v8, 7, v0
	v_lshlrev_b32_e32 v9, 3, v0
	v_lshl_add_u32 v10, v1, 6, 0x800
	v_and_b32_e32 v4, 31, v2
	v_lshrrev_b32_e32 v3, 3, v2
	v_lshrrev_b32_e32 v11, 5, v2
	v_lshlrev_b32_e32 v6, 3, v8
	v_mov_b32_e32 v17, 0
	v_add_nc_u32_e32 v2, s6, v4
	v_add_nc_u32_e32 v5, s7, v3
	v_or_b32_e32 v7, s6, v4
	v_lshl_or_b32 v13, v3, 6, v6
	v_lshlrev_b32_e32 v4, 3, v4
	v_lshlrev_b32_e32 v15, 3, v11
	v_mov_b32_e32 v16, 0
	v_cmp_gt_i32_e32 vcc_lo, s12, v7
	s_waitcnt lgkmcnt(0)
	v_mad_i64_i32 v[2:3], null, s0, v2, 0
	v_lshl_or_b32 v12, v11, 8, v4
	v_cmp_gt_i32_e64 s0, s12, v5
	s_mul_i32 s11, s17, s8
	s_mul_hi_u32 s17, s16, s8
	v_mad_i64_i32 v[4:5], null, s1, v5, 0
	v_lshlrev_b64 v[2:3], 3, v[2:3]
	s_mul_i32 s16, s16, s8
	s_add_i32 s17, s17, s11
	s_mul_hi_u32 s11, s22, s8
	s_lshl_b64 s[16:17], s[16:17], 3
	v_add_nc_u32_e32 v13, 0x800, v13
	v_add_co_u32 v7, s1, v2, s16
	v_add_co_ci_u32_e64 v14, null, s17, v3, s1
	s_mul_i32 s1, s23, s8
	v_lshlrev_b64 v[3:4], 3, v[4:5]
	s_add_i32 s17, s11, s1
	s_mul_i32 s16, s22, s8
	v_mov_b32_e32 v2, 0
	s_lshl_b64 s[16:17], s[16:17], 3
	v_mov_b32_e32 v19, 0
	v_add_co_u32 v3, s1, v3, s16
	v_add_co_ci_u32_e64 v4, null, s17, v4, s1
	v_add_co_u32 v5, s1, v7, v15
	v_add_co_ci_u32_e64 v7, null, 0, v14, s1
	;; [unrolled: 2-line block ×5, first 2 shown]
	v_mov_b32_e32 v15, 0
	v_mov_b32_e32 v14, 0
	;; [unrolled: 1-line block ×5, first 2 shown]
	s_xor_b32 s1, vcc_lo, -1
	s_xor_b32 s0, s0, -1
	s_branch .LBB93_8
.LBB93_7:                               ;   in Loop: Header=BB93_8 Depth=1
	s_or_b32 exec_lo, exec_lo, s11
	s_waitcnt lgkmcnt(0)
	s_barrier
	buffer_gl0_inv
	ds_read_b128 v[22:25], v10
	ds_read2_b64 v[26:29], v9 offset1:16
	ds_read_b128 v[30:33], v10 offset:1024
	ds_read_b128 v[34:37], v10 offset:16
	;; [unrolled: 1-line block ×4, first 2 shown]
	ds_read2_b64 v[46:49], v9 offset0:32 offset1:48
	ds_read_b128 v[50:53], v10 offset:1040
	v_add_co_u32 v4, vcc_lo, v4, 64
	v_add_co_ci_u32_e64 v5, null, 0, v5, vcc_lo
	v_add_co_u32 v6, vcc_lo, v6, 64
	v_add_co_ci_u32_e64 v7, null, 0, v7, vcc_lo
	s_add_i32 s10, s10, 8
	s_cmp_lt_i32 s10, s13
	s_waitcnt lgkmcnt(6)
	v_mul_f32_e32 v3, v23, v27
	v_mul_f32_e32 v54, v22, v27
	;; [unrolled: 1-line block ×4, first 2 shown]
	s_waitcnt lgkmcnt(5)
	v_mul_f32_e32 v57, v31, v27
	v_mul_f32_e32 v27, v30, v27
	;; [unrolled: 1-line block ×3, first 2 shown]
	v_fma_f32 v3, v22, v26, -v3
	v_fmac_f32_e32 v54, v23, v26
	v_fma_f32 v22, v22, v28, -v55
	v_fmac_f32_e32 v56, v23, v28
	;; [unrolled: 2-line block ×3, first 2 shown]
	v_mul_f32_e32 v29, v30, v29
	v_fma_f32 v26, v30, v28, -v58
	v_add_f32_e32 v3, v20, v3
	v_add_f32_e32 v20, v21, v54
	;; [unrolled: 1-line block ×6, first 2 shown]
	s_waitcnt lgkmcnt(1)
	v_mul_f32_e32 v30, v25, v47
	ds_read2_b64 v[16:19], v9 offset0:64 offset1:80
	v_fmac_f32_e32 v29, v31, v28
	v_add_f32_e32 v14, v14, v26
	v_mul_f32_e32 v26, v24, v47
	v_fma_f32 v28, v24, v46, -v30
	v_mul_f32_e32 v30, v25, v49
	v_add_f32_e32 v15, v15, v29
	v_mul_f32_e32 v29, v24, v49
	v_fmac_f32_e32 v26, v25, v46
	v_add_f32_e32 v3, v3, v28
	v_fma_f32 v24, v24, v48, -v30
	v_mul_f32_e32 v28, v33, v47
	v_fmac_f32_e32 v29, v25, v48
	v_add_f32_e32 v26, v20, v26
	v_mul_f32_e32 v20, v32, v47
	v_add_f32_e32 v24, v21, v24
	v_fma_f32 v21, v32, v46, -v28
	v_mul_f32_e32 v25, v33, v49
	v_add_f32_e32 v28, v22, v29
	v_fmac_f32_e32 v20, v33, v46
	v_mul_f32_e32 v29, v32, v49
	v_add_f32_e32 v30, v23, v21
	v_fma_f32 v21, v32, v48, -v25
	s_waitcnt lgkmcnt(0)
	v_mul_f32_e32 v22, v35, v17
	v_add_f32_e32 v25, v27, v20
	v_fmac_f32_e32 v29, v33, v48
	v_mul_f32_e32 v27, v34, v17
	v_add_f32_e32 v14, v14, v21
	v_fma_f32 v31, v34, v16, -v22
	v_mul_f32_e32 v32, v35, v19
	ds_read2_b64 v[20:23], v9 offset0:96 offset1:112
	v_fmac_f32_e32 v27, v35, v16
	v_add_f32_e32 v29, v15, v29
	v_add_f32_e32 v3, v3, v31
	v_mul_f32_e32 v15, v34, v19
	v_fma_f32 v31, v34, v18, -v32
	v_add_f32_e32 v26, v26, v27
	v_mul_f32_e32 v27, v51, v17
	v_mul_f32_e32 v17, v50, v17
	v_fmac_f32_e32 v15, v35, v18
	v_add_f32_e32 v24, v24, v31
	v_mul_f32_e32 v31, v51, v19
	v_mul_f32_e32 v19, v50, v19
	v_fmac_f32_e32 v17, v51, v16
	v_add_f32_e32 v28, v28, v15
	v_fma_f32 v27, v50, v16, -v27
	v_fma_f32 v15, v50, v18, -v31
	v_fmac_f32_e32 v19, v51, v18
	v_add_f32_e32 v31, v25, v17
	s_waitcnt lgkmcnt(0)
	v_mul_f32_e32 v18, v37, v21
	v_add_f32_e32 v32, v14, v15
	ds_read2_b64 v[14:17], v9 offset0:128 offset1:144
	v_add_f32_e32 v30, v30, v27
	v_mul_f32_e32 v25, v36, v21
	v_fma_f32 v18, v36, v20, -v18
	v_mul_f32_e32 v27, v37, v23
	v_add_f32_e32 v29, v29, v19
	v_mul_f32_e32 v19, v36, v23
	v_fmac_f32_e32 v25, v37, v20
	v_add_f32_e32 v3, v3, v18
	v_mul_f32_e32 v18, v53, v21
	v_fma_f32 v27, v36, v22, -v27
	v_fmac_f32_e32 v19, v37, v22
	v_mul_f32_e32 v21, v52, v21
	v_mul_f32_e32 v35, v53, v23
	v_fma_f32 v18, v52, v20, -v18
	v_add_f32_e32 v33, v26, v25
	v_add_f32_e32 v34, v24, v27
	ds_read_b128 v[24:27], v10 offset:1056
	v_add_f32_e32 v36, v28, v19
	v_fmac_f32_e32 v21, v53, v20
	v_mul_f32_e32 v23, v52, v23
	v_fma_f32 v19, v52, v22, -v35
	v_add_f32_e32 v35, v30, v18
	s_waitcnt lgkmcnt(1)
	v_mul_f32_e32 v18, v39, v15
	v_add_f32_e32 v37, v31, v21
	v_fmac_f32_e32 v23, v53, v22
	v_add_f32_e32 v22, v32, v19
	v_mul_f32_e32 v32, v38, v15
	v_fma_f32 v28, v38, v14, -v18
	ds_read2_b64 v[18:21], v9 offset0:160 offset1:176
	v_mul_f32_e32 v30, v39, v17
	v_mul_f32_e32 v46, v38, v17
	v_fmac_f32_e32 v32, v39, v14
	v_add_f32_e32 v23, v29, v23
	v_add_f32_e32 v3, v3, v28
	v_fma_f32 v38, v38, v16, -v30
	ds_read_b128 v[28:31], v10 offset:1072
	s_waitcnt lgkmcnt(2)
	v_mul_f32_e32 v47, v25, v15
	v_add_f32_e32 v32, v33, v32
	v_mul_f32_e32 v15, v24, v15
	v_add_f32_e32 v33, v34, v38
	v_mul_f32_e32 v38, v25, v17
	v_fmac_f32_e32 v46, v39, v16
	v_fma_f32 v34, v24, v14, -v47
	v_fmac_f32_e32 v15, v25, v14
	v_mul_f32_e32 v39, v24, v17
	v_fma_f32 v14, v24, v16, -v38
	v_add_f32_e32 v36, v36, v46
	v_add_f32_e32 v34, v35, v34
	s_waitcnt lgkmcnt(1)
	v_mul_f32_e32 v17, v41, v19
	v_add_f32_e32 v24, v37, v15
	v_fmac_f32_e32 v39, v25, v16
	v_mul_f32_e32 v25, v40, v19
	v_add_f32_e32 v22, v22, v14
	v_fma_f32 v35, v40, v18, -v17
	ds_read2_b64 v[14:17], v9 offset0:192 offset1:208
	v_mul_f32_e32 v37, v41, v21
	v_fmac_f32_e32 v25, v41, v18
	v_add_f32_e32 v38, v23, v39
	v_add_f32_e32 v3, v3, v35
	v_mul_f32_e32 v23, v40, v21
	v_fma_f32 v35, v40, v20, -v37
	v_add_f32_e32 v32, v32, v25
	v_mul_f32_e32 v25, v27, v19
	v_mul_f32_e32 v19, v26, v19
	v_fmac_f32_e32 v23, v41, v20
	v_add_f32_e32 v33, v33, v35
	v_mul_f32_e32 v35, v27, v21
	v_fma_f32 v25, v26, v18, -v25
	v_fmac_f32_e32 v19, v27, v18
	v_add_f32_e32 v18, v36, v23
	v_mul_f32_e32 v21, v26, v21
	v_fma_f32 v23, v26, v20, -v35
	v_add_f32_e32 v26, v34, v25
	v_add_f32_e32 v19, v24, v19
	s_waitcnt lgkmcnt(0)
	v_mul_f32_e32 v34, v43, v15
	v_fmac_f32_e32 v21, v27, v20
	v_add_f32_e32 v20, v22, v23
	ds_read2_b64 v[22:25], v9 offset0:224 offset1:240
	v_mul_f32_e32 v27, v42, v15
	v_fma_f32 v34, v42, v14, -v34
	v_mul_f32_e32 v35, v43, v17
	v_mul_f32_e32 v36, v42, v17
	v_add_f32_e32 v21, v38, v21
	v_fmac_f32_e32 v27, v43, v14
	v_add_f32_e32 v3, v3, v34
	v_mul_f32_e32 v34, v29, v15
	v_fma_f32 v35, v42, v16, -v35
	v_fmac_f32_e32 v36, v43, v16
	v_add_f32_e32 v27, v32, v27
	v_mul_f32_e32 v15, v28, v15
	v_fma_f32 v32, v28, v14, -v34
	v_mul_f32_e32 v34, v29, v17
	v_add_f32_e32 v33, v33, v35
	v_add_f32_e32 v35, v18, v36
	v_fmac_f32_e32 v15, v29, v14
	v_add_f32_e32 v14, v26, v32
	v_mul_f32_e32 v17, v28, v17
	v_fma_f32 v18, v28, v16, -v34
	s_waitcnt lgkmcnt(0)
	v_mul_f32_e32 v26, v45, v23
	v_mul_f32_e32 v28, v44, v23
	v_add_f32_e32 v15, v19, v15
	v_fmac_f32_e32 v17, v29, v16
	v_add_f32_e32 v29, v20, v18
	v_fma_f32 v16, v44, v22, -v26
	v_mul_f32_e32 v18, v45, v25
	v_mul_f32_e32 v19, v44, v25
	v_add_f32_e32 v26, v21, v17
	v_mul_f32_e32 v17, v30, v23
	v_add_f32_e32 v20, v3, v16
	v_fma_f32 v3, v44, v24, -v18
	v_mul_f32_e32 v16, v31, v23
	v_mul_f32_e32 v23, v31, v25
	;; [unrolled: 1-line block ×3, first 2 shown]
	v_fmac_f32_e32 v28, v45, v22
	v_fmac_f32_e32 v19, v45, v24
	v_add_f32_e32 v18, v33, v3
	v_fma_f32 v3, v30, v22, -v16
	v_fmac_f32_e32 v17, v31, v22
	v_fma_f32 v22, v30, v24, -v23
	v_fmac_f32_e32 v25, v31, v24
	v_add_f32_e32 v21, v27, v28
	v_add_f32_e32 v19, v35, v19
	;; [unrolled: 1-line block ×6, first 2 shown]
	s_barrier
	buffer_gl0_inv
	s_cbranch_scc0 .LBB93_16
.LBB93_8:                               ; =>This Inner Loop Header: Depth=1
	v_add_nc_u32_e32 v3, s10, v11
	v_cmp_le_i32_e32 vcc_lo, s13, v3
	s_or_b32 s11, s1, vcc_lo
	s_and_saveexec_b32 s16, s11
	s_xor_b32 s11, exec_lo, s16
; %bb.9:                                ;   in Loop: Header=BB93_8 Depth=1
	v_mov_b32_e32 v3, v2
	ds_write_b64 v12, v[2:3]
; %bb.10:                               ;   in Loop: Header=BB93_8 Depth=1
	s_andn2_saveexec_b32 s11, s11
	s_cbranch_execz .LBB93_12
; %bb.11:                               ;   in Loop: Header=BB93_8 Depth=1
	global_load_dwordx2 v[22:23], v[4:5], off
	s_waitcnt vmcnt(0)
	ds_write_b64 v12, v[22:23]
.LBB93_12:                              ;   in Loop: Header=BB93_8 Depth=1
	s_or_b32 exec_lo, exec_lo, s11
	v_add_nc_u32_e32 v3, s10, v8
	v_cmp_le_i32_e32 vcc_lo, s13, v3
	s_or_b32 s11, vcc_lo, s0
	s_and_saveexec_b32 s16, s11
	s_xor_b32 s11, exec_lo, s16
; %bb.13:                               ;   in Loop: Header=BB93_8 Depth=1
	v_mov_b32_e32 v3, v2
	ds_write_b64 v13, v[2:3]
; %bb.14:                               ;   in Loop: Header=BB93_8 Depth=1
	s_andn2_saveexec_b32 s11, s11
	s_cbranch_execz .LBB93_7
; %bb.15:                               ;   in Loop: Header=BB93_8 Depth=1
	global_load_dwordx2 v[22:23], v[6:7], off
	s_waitcnt vmcnt(0)
	ds_write_b64 v13, v[22:23]
	s_branch .LBB93_7
.LBB93_16:
	s_clause 0x2
	s_load_dword s10, s[4:5], 0x50
	s_load_dwordx2 s[16:17], s[4:5], 0x58
	s_load_dwordx2 s[4:5], s[4:5], 0x48
	v_add_nc_u32_e32 v9, s7, v1
	v_add_nc_u32_e32 v0, s6, v0
	v_cmp_neq_f32_e64 s11, s2, 0
	v_cmp_gt_i32_e64 s0, s12, v9
	v_cmp_le_i32_e32 vcc_lo, v0, v9
	s_waitcnt lgkmcnt(0)
	v_mad_i64_i32 v[1:2], null, v9, s10, 0
	s_mul_i32 s1, s17, s8
	s_mul_hi_u32 s7, s16, s8
	s_mul_i32 s6, s16, s8
	s_add_i32 s7, s7, s1
	s_lshl_b64 s[6:7], s[6:7], 3
	v_lshlrev_b64 v[2:3], 3, v[1:2]
	s_add_u32 s4, s4, s6
	s_addc_u32 s5, s5, s7
	s_xor_b32 s6, s9, -1
	v_ashrrev_i32_e32 v1, 31, v0
	s_or_b32 s6, s11, s6
	v_add_co_u32 v6, s1, s4, v2
	v_add_co_ci_u32_e64 v7, null, s5, v3, s1
	v_cndmask_b32_e64 v8, 0, 1, s6
	s_and_b32 s7, s0, vcc_lo
	s_and_saveexec_b32 s1, s7
	s_cbranch_execz .LBB93_20
; %bb.17:
	v_lshlrev_b64 v[4:5], 3, v[0:1]
	v_mul_f32_e32 v2, s15, v21
	v_mul_f32_e32 v3, s14, v21
	v_fma_f32 v2, v20, s14, -v2
	v_add_co_u32 v4, vcc_lo, v6, v4
	v_fmac_f32_e32 v3, s15, v20
	v_add_co_ci_u32_e64 v5, null, v7, v5, vcc_lo
	s_andn2_b32 vcc_lo, exec_lo, s6
	s_cbranch_vccnz .LBB93_19
; %bb.18:
	global_load_dwordx2 v[10:11], v[4:5], off
	s_waitcnt vmcnt(0)
	v_mul_f32_e32 v12, s3, v11
	v_mul_f32_e32 v11, s2, v11
	v_fma_f32 v12, v10, s2, -v12
	v_fmac_f32_e32 v11, s3, v10
	v_add_f32_e32 v2, v2, v12
	v_add_f32_e32 v3, v3, v11
.LBB93_19:
	global_store_dwordx2 v[4:5], v[2:3], off
.LBB93_20:
	s_or_b32 exec_lo, exec_lo, s1
	v_add_nc_u32_e32 v2, 16, v0
	v_cmp_le_i32_e32 vcc_lo, v2, v9
	v_ashrrev_i32_e32 v3, 31, v2
	s_and_b32 s0, s0, vcc_lo
	s_and_saveexec_b32 s1, s0
	s_cbranch_execz .LBB93_24
; %bb.21:
	v_lshlrev_b64 v[10:11], 3, v[2:3]
	v_mul_f32_e32 v4, s15, v19
	v_mul_f32_e32 v5, s14, v19
	v_cmp_ne_u32_e32 vcc_lo, 1, v8
	v_fma_f32 v4, v18, s14, -v4
	v_add_co_u32 v6, s0, v6, v10
	v_fmac_f32_e32 v5, s15, v18
	v_add_co_ci_u32_e64 v7, null, v7, v11, s0
	s_cbranch_vccnz .LBB93_23
; %bb.22:
	global_load_dwordx2 v[10:11], v[6:7], off
	s_waitcnt vmcnt(0)
	v_mul_f32_e32 v12, s3, v11
	v_mul_f32_e32 v11, s2, v11
	v_fma_f32 v12, v10, s2, -v12
	v_fmac_f32_e32 v11, s3, v10
	v_add_f32_e32 v4, v4, v12
	v_add_f32_e32 v5, v5, v11
.LBB93_23:
	global_store_dwordx2 v[6:7], v[4:5], off
.LBB93_24:
	s_or_b32 exec_lo, exec_lo, s1
	v_add_nc_u32_e32 v9, 16, v9
	v_mad_i64_i32 v[4:5], null, v9, s10, 0
	v_cmp_gt_i32_e64 s0, s12, v9
	v_cmp_le_i32_e32 vcc_lo, v0, v9
	v_lshlrev_b64 v[4:5], 3, v[4:5]
	v_add_co_u32 v6, s1, s4, v4
	v_add_co_ci_u32_e64 v7, null, s5, v5, s1
	s_and_b32 s1, s0, vcc_lo
	s_and_saveexec_b32 s4, s1
	s_cbranch_execz .LBB93_28
; %bb.25:
	v_lshlrev_b64 v[0:1], 3, v[0:1]
	v_mul_f32_e32 v4, s15, v17
	v_mul_f32_e32 v5, s14, v17
	v_cmp_ne_u32_e32 vcc_lo, 1, v8
	v_fma_f32 v4, v16, s14, -v4
	v_add_co_u32 v0, s1, v6, v0
	v_fmac_f32_e32 v5, s15, v16
	v_add_co_ci_u32_e64 v1, null, v7, v1, s1
	s_cbranch_vccnz .LBB93_27
; %bb.26:
	global_load_dwordx2 v[10:11], v[0:1], off
	s_waitcnt vmcnt(0)
	v_mul_f32_e32 v12, s3, v11
	v_mul_f32_e32 v11, s2, v11
	v_fma_f32 v12, v10, s2, -v12
	v_fmac_f32_e32 v11, s3, v10
	v_add_f32_e32 v4, v4, v12
	v_add_f32_e32 v5, v5, v11
.LBB93_27:
	global_store_dwordx2 v[0:1], v[4:5], off
.LBB93_28:
	s_or_b32 exec_lo, exec_lo, s4
	v_cmp_le_i32_e32 vcc_lo, v2, v9
	s_and_b32 s0, s0, vcc_lo
	s_and_saveexec_b32 s1, s0
	s_cbranch_execz .LBB93_32
; %bb.29:
	v_lshlrev_b64 v[2:3], 3, v[2:3]
	v_mul_f32_e32 v0, s15, v15
	v_mul_f32_e32 v1, s14, v15
	v_cmp_ne_u32_e32 vcc_lo, 1, v8
	v_fma_f32 v0, v14, s14, -v0
	v_add_co_u32 v2, s0, v6, v2
	v_fmac_f32_e32 v1, s15, v14
	v_add_co_ci_u32_e64 v3, null, v7, v3, s0
	s_cbranch_vccnz .LBB93_31
; %bb.30:
	global_load_dwordx2 v[4:5], v[2:3], off
	s_waitcnt vmcnt(0)
	v_mul_f32_e32 v6, s3, v5
	v_mul_f32_e32 v5, s2, v5
	v_fma_f32 v6, v4, s2, -v6
	v_fmac_f32_e32 v5, s3, v4
	v_add_f32_e32 v0, v0, v6
	v_add_f32_e32 v1, v1, v5
.LBB93_31:
	global_store_dwordx2 v[2:3], v[0:1], off
.LBB93_32:
	s_endpgm
	.section	.rodata,"a",@progbits
	.p2align	6, 0x0
	.amdhsa_kernel _ZL29rocblas_internal_gemmt_kernelIiLi16ELi32ELi8ELc84ELc78ELc85ELb0ELb0E19rocblas_complex_numIfES1_PKS1_PS1_EviT_T9_T10_S5_lS7_S5_lS6_T11_S5_li
		.amdhsa_group_segment_fixed_size 4096
		.amdhsa_private_segment_fixed_size 0
		.amdhsa_kernarg_size 100
		.amdhsa_user_sgpr_count 6
		.amdhsa_user_sgpr_private_segment_buffer 1
		.amdhsa_user_sgpr_dispatch_ptr 0
		.amdhsa_user_sgpr_queue_ptr 0
		.amdhsa_user_sgpr_kernarg_segment_ptr 1
		.amdhsa_user_sgpr_dispatch_id 0
		.amdhsa_user_sgpr_flat_scratch_init 0
		.amdhsa_user_sgpr_private_segment_size 0
		.amdhsa_wavefront_size32 1
		.amdhsa_uses_dynamic_stack 0
		.amdhsa_system_sgpr_private_segment_wavefront_offset 0
		.amdhsa_system_sgpr_workgroup_id_x 1
		.amdhsa_system_sgpr_workgroup_id_y 1
		.amdhsa_system_sgpr_workgroup_id_z 1
		.amdhsa_system_sgpr_workgroup_info 0
		.amdhsa_system_vgpr_workitem_id 1
		.amdhsa_next_free_vgpr 59
		.amdhsa_next_free_sgpr 24
		.amdhsa_reserve_vcc 1
		.amdhsa_reserve_flat_scratch 0
		.amdhsa_float_round_mode_32 0
		.amdhsa_float_round_mode_16_64 0
		.amdhsa_float_denorm_mode_32 3
		.amdhsa_float_denorm_mode_16_64 3
		.amdhsa_dx10_clamp 1
		.amdhsa_ieee_mode 1
		.amdhsa_fp16_overflow 0
		.amdhsa_workgroup_processor_mode 1
		.amdhsa_memory_ordered 1
		.amdhsa_forward_progress 1
		.amdhsa_shared_vgpr_count 0
		.amdhsa_exception_fp_ieee_invalid_op 0
		.amdhsa_exception_fp_denorm_src 0
		.amdhsa_exception_fp_ieee_div_zero 0
		.amdhsa_exception_fp_ieee_overflow 0
		.amdhsa_exception_fp_ieee_underflow 0
		.amdhsa_exception_fp_ieee_inexact 0
		.amdhsa_exception_int_div_zero 0
	.end_amdhsa_kernel
	.section	.text._ZL29rocblas_internal_gemmt_kernelIiLi16ELi32ELi8ELc84ELc78ELc85ELb0ELb0E19rocblas_complex_numIfES1_PKS1_PS1_EviT_T9_T10_S5_lS7_S5_lS6_T11_S5_li,"axG",@progbits,_ZL29rocblas_internal_gemmt_kernelIiLi16ELi32ELi8ELc84ELc78ELc85ELb0ELb0E19rocblas_complex_numIfES1_PKS1_PS1_EviT_T9_T10_S5_lS7_S5_lS6_T11_S5_li,comdat
.Lfunc_end93:
	.size	_ZL29rocblas_internal_gemmt_kernelIiLi16ELi32ELi8ELc84ELc78ELc85ELb0ELb0E19rocblas_complex_numIfES1_PKS1_PS1_EviT_T9_T10_S5_lS7_S5_lS6_T11_S5_li, .Lfunc_end93-_ZL29rocblas_internal_gemmt_kernelIiLi16ELi32ELi8ELc84ELc78ELc85ELb0ELb0E19rocblas_complex_numIfES1_PKS1_PS1_EviT_T9_T10_S5_lS7_S5_lS6_T11_S5_li
                                        ; -- End function
	.set _ZL29rocblas_internal_gemmt_kernelIiLi16ELi32ELi8ELc84ELc78ELc85ELb0ELb0E19rocblas_complex_numIfES1_PKS1_PS1_EviT_T9_T10_S5_lS7_S5_lS6_T11_S5_li.num_vgpr, 59
	.set _ZL29rocblas_internal_gemmt_kernelIiLi16ELi32ELi8ELc84ELc78ELc85ELb0ELb0E19rocblas_complex_numIfES1_PKS1_PS1_EviT_T9_T10_S5_lS7_S5_lS6_T11_S5_li.num_agpr, 0
	.set _ZL29rocblas_internal_gemmt_kernelIiLi16ELi32ELi8ELc84ELc78ELc85ELb0ELb0E19rocblas_complex_numIfES1_PKS1_PS1_EviT_T9_T10_S5_lS7_S5_lS6_T11_S5_li.numbered_sgpr, 24
	.set _ZL29rocblas_internal_gemmt_kernelIiLi16ELi32ELi8ELc84ELc78ELc85ELb0ELb0E19rocblas_complex_numIfES1_PKS1_PS1_EviT_T9_T10_S5_lS7_S5_lS6_T11_S5_li.num_named_barrier, 0
	.set _ZL29rocblas_internal_gemmt_kernelIiLi16ELi32ELi8ELc84ELc78ELc85ELb0ELb0E19rocblas_complex_numIfES1_PKS1_PS1_EviT_T9_T10_S5_lS7_S5_lS6_T11_S5_li.private_seg_size, 0
	.set _ZL29rocblas_internal_gemmt_kernelIiLi16ELi32ELi8ELc84ELc78ELc85ELb0ELb0E19rocblas_complex_numIfES1_PKS1_PS1_EviT_T9_T10_S5_lS7_S5_lS6_T11_S5_li.uses_vcc, 1
	.set _ZL29rocblas_internal_gemmt_kernelIiLi16ELi32ELi8ELc84ELc78ELc85ELb0ELb0E19rocblas_complex_numIfES1_PKS1_PS1_EviT_T9_T10_S5_lS7_S5_lS6_T11_S5_li.uses_flat_scratch, 0
	.set _ZL29rocblas_internal_gemmt_kernelIiLi16ELi32ELi8ELc84ELc78ELc85ELb0ELb0E19rocblas_complex_numIfES1_PKS1_PS1_EviT_T9_T10_S5_lS7_S5_lS6_T11_S5_li.has_dyn_sized_stack, 0
	.set _ZL29rocblas_internal_gemmt_kernelIiLi16ELi32ELi8ELc84ELc78ELc85ELb0ELb0E19rocblas_complex_numIfES1_PKS1_PS1_EviT_T9_T10_S5_lS7_S5_lS6_T11_S5_li.has_recursion, 0
	.set _ZL29rocblas_internal_gemmt_kernelIiLi16ELi32ELi8ELc84ELc78ELc85ELb0ELb0E19rocblas_complex_numIfES1_PKS1_PS1_EviT_T9_T10_S5_lS7_S5_lS6_T11_S5_li.has_indirect_call, 0
	.section	.AMDGPU.csdata,"",@progbits
; Kernel info:
; codeLenInByte = 2496
; TotalNumSgprs: 26
; NumVgprs: 59
; ScratchSize: 0
; MemoryBound: 1
; FloatMode: 240
; IeeeMode: 1
; LDSByteSize: 4096 bytes/workgroup (compile time only)
; SGPRBlocks: 0
; VGPRBlocks: 7
; NumSGPRsForWavesPerEU: 26
; NumVGPRsForWavesPerEU: 59
; Occupancy: 16
; WaveLimiterHint : 0
; COMPUTE_PGM_RSRC2:SCRATCH_EN: 0
; COMPUTE_PGM_RSRC2:USER_SGPR: 6
; COMPUTE_PGM_RSRC2:TRAP_HANDLER: 0
; COMPUTE_PGM_RSRC2:TGID_X_EN: 1
; COMPUTE_PGM_RSRC2:TGID_Y_EN: 1
; COMPUTE_PGM_RSRC2:TGID_Z_EN: 1
; COMPUTE_PGM_RSRC2:TIDIG_COMP_CNT: 1
	.section	.text._ZL29rocblas_internal_gemmt_kernelIiLi16ELi32ELi8ELc84ELc84ELc85ELb0ELb0E19rocblas_complex_numIfES1_PKS1_PS1_EviT_T9_T10_S5_lS7_S5_lS6_T11_S5_li,"axG",@progbits,_ZL29rocblas_internal_gemmt_kernelIiLi16ELi32ELi8ELc84ELc84ELc85ELb0ELb0E19rocblas_complex_numIfES1_PKS1_PS1_EviT_T9_T10_S5_lS7_S5_lS6_T11_S5_li,comdat
	.globl	_ZL29rocblas_internal_gemmt_kernelIiLi16ELi32ELi8ELc84ELc84ELc85ELb0ELb0E19rocblas_complex_numIfES1_PKS1_PS1_EviT_T9_T10_S5_lS7_S5_lS6_T11_S5_li ; -- Begin function _ZL29rocblas_internal_gemmt_kernelIiLi16ELi32ELi8ELc84ELc84ELc85ELb0ELb0E19rocblas_complex_numIfES1_PKS1_PS1_EviT_T9_T10_S5_lS7_S5_lS6_T11_S5_li
	.p2align	8
	.type	_ZL29rocblas_internal_gemmt_kernelIiLi16ELi32ELi8ELc84ELc84ELc85ELb0ELb0E19rocblas_complex_numIfES1_PKS1_PS1_EviT_T9_T10_S5_lS7_S5_lS6_T11_S5_li,@function
_ZL29rocblas_internal_gemmt_kernelIiLi16ELi32ELi8ELc84ELc84ELc85ELb0ELb0E19rocblas_complex_numIfES1_PKS1_PS1_EviT_T9_T10_S5_lS7_S5_lS6_T11_S5_li: ; @_ZL29rocblas_internal_gemmt_kernelIiLi16ELi32ELi8ELc84ELc84ELc85ELb0ELb0E19rocblas_complex_numIfES1_PKS1_PS1_EviT_T9_T10_S5_lS7_S5_lS6_T11_S5_li
; %bb.0:
	s_clause 0x1
	s_load_dwordx2 s[2:3], s[4:5], 0x40
	s_load_dwordx4 s[12:15], s[4:5], 0x0
	s_waitcnt lgkmcnt(0)
	s_and_b32 s0, s3, 0x7fffffff
	v_cmp_eq_f32_e64 s1, s2, 1.0
	s_cmp_eq_u32 s0, 0
	s_mov_b32 s0, 0
	s_cselect_b32 s9, -1, 0
	s_and_b32 s1, s1, s9
	s_andn2_b32 vcc_lo, exec_lo, s1
	s_mov_b32 s1, -1
	s_cbranch_vccnz .LBB94_4
; %bb.1:
	s_cmp_lg_u32 s13, 0
	s_cbranch_scc0 .LBB94_3
; %bb.2:
	v_cmp_neq_f32_e64 s0, s14, 0
	v_cmp_neq_f32_e64 s1, s15, 0
	s_or_b32 s0, s0, s1
.LBB94_3:
	s_mov_b32 s1, s0
.LBB94_4:
	s_and_b32 vcc_lo, exec_lo, s1
	s_cbranch_vccz .LBB94_32
; %bb.5:
	v_cmp_eq_f32_e64 s0, s14, 0
	v_cmp_eq_f32_e64 s1, s15, 0
	s_lshl_b32 s10, s6, 5
	s_lshl_b32 s11, s7, 5
	v_mov_b32_e32 v20, 0
	v_mov_b32_e32 v21, 0
	s_and_b32 s0, s0, s1
	s_cmp_lt_i32 s13, 1
	v_mov_b32_e32 v18, 0
	s_cselect_b32 s1, -1, 0
	v_mov_b32_e32 v19, 0
	v_mov_b32_e32 v16, 0
	;; [unrolled: 1-line block ×5, first 2 shown]
	s_or_b32 s0, s0, s1
	s_mov_b32 s20, 0
	s_and_b32 vcc_lo, exec_lo, s0
	s_cbranch_vccnz .LBB94_16
; %bb.6:
	s_clause 0x1
	s_load_dword s0, s[4:5], 0x18
	s_load_dwordx2 s[22:23], s[4:5], 0x10
	v_lshl_add_u32 v2, v1, 4, v0
	s_clause 0x2
	s_load_dwordx4 s[16:19], s[4:5], 0x20
	s_load_dword s6, s[4:5], 0x30
	s_load_dwordx2 s[24:25], s[4:5], 0x38
	v_and_b32_e32 v8, 7, v0
	v_lshlrev_b32_e32 v9, 3, v0
	v_lshl_add_u32 v13, v1, 6, 0x800
	v_and_b32_e32 v4, 31, v2
	v_lshrrev_b32_e32 v5, 3, v2
	v_lshrrev_b32_e32 v10, 5, v2
	v_lshlrev_b32_e32 v2, 3, v8
	v_mov_b32_e32 v19, 0
	v_or_b32_e32 v6, s10, v4
	v_lshlrev_b32_e32 v7, 3, v4
	v_add_nc_u32_e32 v4, s10, v4
	v_add_nc_u32_e32 v3, s11, v5
	v_lshl_or_b32 v2, v5, 6, v2
	v_cmp_gt_i32_e32 vcc_lo, s12, v6
	v_lshl_or_b32 v11, v10, 8, v7
	v_lshlrev_b32_e32 v17, 3, v10
	s_waitcnt lgkmcnt(0)
	v_mad_i64_i32 v[5:6], null, s0, v4, 0
	s_mul_i32 s1, s17, s8
	s_mul_hi_u32 s17, s16, s8
	v_mad_i64_i32 v[14:15], null, s6, v8, 0
	s_add_i32 s17, s17, s1
	s_mul_i32 s16, s16, s8
	v_lshlrev_b64 v[5:6], 3, v[5:6]
	s_lshl_b64 s[16:17], s[16:17], 3
	v_ashrrev_i32_e32 v4, 31, v3
	v_cmp_gt_i32_e64 s0, s12, v3
	v_add_nc_u32_e32 v12, 0x800, v2
	v_mov_b32_e32 v2, 0
	v_add_co_u32 v7, s1, v5, s16
	v_add_co_ci_u32_e64 v16, null, s17, v6, s1
	s_mul_i32 s1, s25, s8
	s_mul_hi_u32 s16, s24, s8
	v_lshlrev_b64 v[5:6], 3, v[14:15]
	s_add_i32 s17, s16, s1
	s_mul_i32 s16, s24, s8
	v_lshlrev_b64 v[3:4], 3, v[3:4]
	s_lshl_b64 s[16:17], s[16:17], 3
	v_mov_b32_e32 v18, 0
	v_add_co_u32 v5, s1, s16, v5
	v_add_co_ci_u32_e64 v6, null, s17, v6, s1
	v_add_co_u32 v7, s1, v7, v17
	v_add_co_ci_u32_e64 v14, null, 0, v16, s1
	;; [unrolled: 2-line block ×5, first 2 shown]
	v_mov_b32_e32 v15, 0
	v_mov_b32_e32 v14, 0
	;; [unrolled: 1-line block ×6, first 2 shown]
	s_ashr_i32 s7, s6, 31
	s_xor_b32 s1, vcc_lo, -1
	s_lshl_b64 s[6:7], s[6:7], 6
	s_xor_b32 s0, s0, -1
	s_branch .LBB94_8
.LBB94_7:                               ;   in Loop: Header=BB94_8 Depth=1
	s_or_b32 exec_lo, exec_lo, s16
	s_waitcnt lgkmcnt(0)
	s_barrier
	buffer_gl0_inv
	ds_read_b128 v[22:25], v13
	ds_read2_b64 v[26:29], v9 offset1:16
	ds_read_b128 v[30:33], v13 offset:1024
	ds_read_b128 v[34:37], v13 offset:16
	;; [unrolled: 1-line block ×4, first 2 shown]
	ds_read2_b64 v[46:49], v9 offset0:32 offset1:48
	ds_read_b128 v[50:53], v13 offset:1040
	v_add_co_u32 v4, vcc_lo, v4, 64
	v_add_co_ci_u32_e64 v5, null, 0, v5, vcc_lo
	v_add_co_u32 v6, vcc_lo, v6, s6
	v_add_co_ci_u32_e64 v7, null, s7, v7, vcc_lo
	s_add_i32 s20, s20, 8
	s_cmp_lt_i32 s20, s13
	s_waitcnt lgkmcnt(6)
	v_mul_f32_e32 v3, v23, v27
	v_mul_f32_e32 v54, v22, v27
	;; [unrolled: 1-line block ×4, first 2 shown]
	s_waitcnt lgkmcnt(5)
	v_mul_f32_e32 v57, v31, v27
	v_mul_f32_e32 v27, v30, v27
	;; [unrolled: 1-line block ×3, first 2 shown]
	v_fma_f32 v3, v22, v26, -v3
	v_fmac_f32_e32 v54, v23, v26
	v_fma_f32 v22, v22, v28, -v55
	v_fmac_f32_e32 v56, v23, v28
	;; [unrolled: 2-line block ×3, first 2 shown]
	v_mul_f32_e32 v29, v30, v29
	v_fma_f32 v26, v30, v28, -v58
	v_add_f32_e32 v3, v20, v3
	v_add_f32_e32 v20, v21, v54
	;; [unrolled: 1-line block ×6, first 2 shown]
	s_waitcnt lgkmcnt(1)
	v_mul_f32_e32 v30, v25, v47
	ds_read2_b64 v[16:19], v9 offset0:64 offset1:80
	v_fmac_f32_e32 v29, v31, v28
	v_add_f32_e32 v14, v14, v26
	v_mul_f32_e32 v26, v24, v47
	v_fma_f32 v28, v24, v46, -v30
	v_mul_f32_e32 v30, v25, v49
	v_add_f32_e32 v15, v15, v29
	v_mul_f32_e32 v29, v24, v49
	v_fmac_f32_e32 v26, v25, v46
	v_add_f32_e32 v3, v3, v28
	v_fma_f32 v24, v24, v48, -v30
	v_mul_f32_e32 v28, v33, v47
	v_fmac_f32_e32 v29, v25, v48
	v_add_f32_e32 v26, v20, v26
	v_mul_f32_e32 v20, v32, v47
	v_add_f32_e32 v24, v21, v24
	v_fma_f32 v21, v32, v46, -v28
	v_mul_f32_e32 v25, v33, v49
	v_add_f32_e32 v28, v22, v29
	v_fmac_f32_e32 v20, v33, v46
	v_mul_f32_e32 v29, v32, v49
	v_add_f32_e32 v30, v23, v21
	v_fma_f32 v21, v32, v48, -v25
	s_waitcnt lgkmcnt(0)
	v_mul_f32_e32 v22, v35, v17
	v_add_f32_e32 v25, v27, v20
	v_fmac_f32_e32 v29, v33, v48
	v_mul_f32_e32 v27, v34, v17
	v_add_f32_e32 v14, v14, v21
	v_fma_f32 v31, v34, v16, -v22
	v_mul_f32_e32 v32, v35, v19
	ds_read2_b64 v[20:23], v9 offset0:96 offset1:112
	v_fmac_f32_e32 v27, v35, v16
	v_add_f32_e32 v29, v15, v29
	v_add_f32_e32 v3, v3, v31
	v_mul_f32_e32 v15, v34, v19
	v_fma_f32 v31, v34, v18, -v32
	v_add_f32_e32 v26, v26, v27
	v_mul_f32_e32 v27, v51, v17
	v_mul_f32_e32 v17, v50, v17
	v_fmac_f32_e32 v15, v35, v18
	v_add_f32_e32 v24, v24, v31
	v_mul_f32_e32 v31, v51, v19
	v_mul_f32_e32 v19, v50, v19
	v_fmac_f32_e32 v17, v51, v16
	v_add_f32_e32 v28, v28, v15
	v_fma_f32 v27, v50, v16, -v27
	v_fma_f32 v15, v50, v18, -v31
	v_fmac_f32_e32 v19, v51, v18
	v_add_f32_e32 v31, v25, v17
	s_waitcnt lgkmcnt(0)
	v_mul_f32_e32 v18, v37, v21
	v_add_f32_e32 v32, v14, v15
	ds_read2_b64 v[14:17], v9 offset0:128 offset1:144
	v_add_f32_e32 v30, v30, v27
	v_mul_f32_e32 v25, v36, v21
	v_fma_f32 v18, v36, v20, -v18
	v_mul_f32_e32 v27, v37, v23
	v_add_f32_e32 v29, v29, v19
	v_mul_f32_e32 v19, v36, v23
	v_fmac_f32_e32 v25, v37, v20
	v_add_f32_e32 v3, v3, v18
	v_mul_f32_e32 v18, v53, v21
	v_fma_f32 v27, v36, v22, -v27
	v_fmac_f32_e32 v19, v37, v22
	v_mul_f32_e32 v21, v52, v21
	v_mul_f32_e32 v35, v53, v23
	v_fma_f32 v18, v52, v20, -v18
	v_add_f32_e32 v33, v26, v25
	v_add_f32_e32 v34, v24, v27
	ds_read_b128 v[24:27], v13 offset:1056
	v_add_f32_e32 v36, v28, v19
	v_fmac_f32_e32 v21, v53, v20
	v_mul_f32_e32 v23, v52, v23
	v_fma_f32 v19, v52, v22, -v35
	v_add_f32_e32 v35, v30, v18
	s_waitcnt lgkmcnt(1)
	v_mul_f32_e32 v18, v39, v15
	v_add_f32_e32 v37, v31, v21
	v_fmac_f32_e32 v23, v53, v22
	v_add_f32_e32 v22, v32, v19
	v_mul_f32_e32 v32, v38, v15
	v_fma_f32 v28, v38, v14, -v18
	ds_read2_b64 v[18:21], v9 offset0:160 offset1:176
	v_mul_f32_e32 v30, v39, v17
	v_mul_f32_e32 v46, v38, v17
	v_fmac_f32_e32 v32, v39, v14
	v_add_f32_e32 v23, v29, v23
	v_add_f32_e32 v3, v3, v28
	v_fma_f32 v38, v38, v16, -v30
	ds_read_b128 v[28:31], v13 offset:1072
	s_waitcnt lgkmcnt(2)
	v_mul_f32_e32 v47, v25, v15
	v_add_f32_e32 v32, v33, v32
	v_mul_f32_e32 v15, v24, v15
	v_add_f32_e32 v33, v34, v38
	v_mul_f32_e32 v38, v25, v17
	v_fmac_f32_e32 v46, v39, v16
	v_fma_f32 v34, v24, v14, -v47
	v_fmac_f32_e32 v15, v25, v14
	v_mul_f32_e32 v39, v24, v17
	v_fma_f32 v14, v24, v16, -v38
	v_add_f32_e32 v36, v36, v46
	v_add_f32_e32 v34, v35, v34
	s_waitcnt lgkmcnt(1)
	v_mul_f32_e32 v17, v41, v19
	v_add_f32_e32 v24, v37, v15
	v_fmac_f32_e32 v39, v25, v16
	v_mul_f32_e32 v25, v40, v19
	v_add_f32_e32 v22, v22, v14
	v_fma_f32 v35, v40, v18, -v17
	ds_read2_b64 v[14:17], v9 offset0:192 offset1:208
	v_mul_f32_e32 v37, v41, v21
	v_fmac_f32_e32 v25, v41, v18
	v_add_f32_e32 v38, v23, v39
	v_add_f32_e32 v3, v3, v35
	v_mul_f32_e32 v23, v40, v21
	v_fma_f32 v35, v40, v20, -v37
	v_add_f32_e32 v32, v32, v25
	v_mul_f32_e32 v25, v27, v19
	v_mul_f32_e32 v19, v26, v19
	v_fmac_f32_e32 v23, v41, v20
	v_add_f32_e32 v33, v33, v35
	v_mul_f32_e32 v35, v27, v21
	v_fma_f32 v25, v26, v18, -v25
	v_fmac_f32_e32 v19, v27, v18
	v_add_f32_e32 v18, v36, v23
	v_mul_f32_e32 v21, v26, v21
	v_fma_f32 v23, v26, v20, -v35
	v_add_f32_e32 v26, v34, v25
	v_add_f32_e32 v19, v24, v19
	s_waitcnt lgkmcnt(0)
	v_mul_f32_e32 v34, v43, v15
	v_fmac_f32_e32 v21, v27, v20
	v_add_f32_e32 v20, v22, v23
	ds_read2_b64 v[22:25], v9 offset0:224 offset1:240
	v_mul_f32_e32 v27, v42, v15
	v_fma_f32 v34, v42, v14, -v34
	v_mul_f32_e32 v35, v43, v17
	v_mul_f32_e32 v36, v42, v17
	v_add_f32_e32 v21, v38, v21
	v_fmac_f32_e32 v27, v43, v14
	v_add_f32_e32 v3, v3, v34
	v_mul_f32_e32 v34, v29, v15
	v_fma_f32 v35, v42, v16, -v35
	v_fmac_f32_e32 v36, v43, v16
	v_add_f32_e32 v27, v32, v27
	v_mul_f32_e32 v15, v28, v15
	v_fma_f32 v32, v28, v14, -v34
	v_mul_f32_e32 v34, v29, v17
	v_add_f32_e32 v33, v33, v35
	v_add_f32_e32 v35, v18, v36
	v_fmac_f32_e32 v15, v29, v14
	v_add_f32_e32 v14, v26, v32
	v_mul_f32_e32 v17, v28, v17
	v_fma_f32 v18, v28, v16, -v34
	s_waitcnt lgkmcnt(0)
	v_mul_f32_e32 v26, v45, v23
	v_mul_f32_e32 v28, v44, v23
	v_add_f32_e32 v15, v19, v15
	v_fmac_f32_e32 v17, v29, v16
	v_add_f32_e32 v29, v20, v18
	v_fma_f32 v16, v44, v22, -v26
	v_mul_f32_e32 v18, v45, v25
	v_mul_f32_e32 v19, v44, v25
	v_add_f32_e32 v26, v21, v17
	v_mul_f32_e32 v17, v30, v23
	v_add_f32_e32 v20, v3, v16
	v_fma_f32 v3, v44, v24, -v18
	v_mul_f32_e32 v16, v31, v23
	v_mul_f32_e32 v23, v31, v25
	;; [unrolled: 1-line block ×3, first 2 shown]
	v_fmac_f32_e32 v28, v45, v22
	v_fmac_f32_e32 v19, v45, v24
	v_add_f32_e32 v18, v33, v3
	v_fma_f32 v3, v30, v22, -v16
	v_fmac_f32_e32 v17, v31, v22
	v_fma_f32 v22, v30, v24, -v23
	v_fmac_f32_e32 v25, v31, v24
	v_add_f32_e32 v21, v27, v28
	v_add_f32_e32 v19, v35, v19
	;; [unrolled: 1-line block ×6, first 2 shown]
	s_barrier
	buffer_gl0_inv
	s_cbranch_scc0 .LBB94_16
.LBB94_8:                               ; =>This Inner Loop Header: Depth=1
	v_add_nc_u32_e32 v3, s20, v10
	v_cmp_le_i32_e32 vcc_lo, s13, v3
	s_or_b32 s16, s1, vcc_lo
	s_and_saveexec_b32 s17, s16
	s_xor_b32 s16, exec_lo, s17
; %bb.9:                                ;   in Loop: Header=BB94_8 Depth=1
	v_mov_b32_e32 v3, v2
	ds_write_b64 v11, v[2:3]
; %bb.10:                               ;   in Loop: Header=BB94_8 Depth=1
	s_andn2_saveexec_b32 s16, s16
	s_cbranch_execz .LBB94_12
; %bb.11:                               ;   in Loop: Header=BB94_8 Depth=1
	global_load_dwordx2 v[22:23], v[4:5], off
	s_waitcnt vmcnt(0)
	ds_write_b64 v11, v[22:23]
.LBB94_12:                              ;   in Loop: Header=BB94_8 Depth=1
	s_or_b32 exec_lo, exec_lo, s16
	v_add_nc_u32_e32 v3, s20, v8
	v_cmp_le_i32_e32 vcc_lo, s13, v3
	s_or_b32 s16, vcc_lo, s0
	s_and_saveexec_b32 s17, s16
	s_xor_b32 s16, exec_lo, s17
; %bb.13:                               ;   in Loop: Header=BB94_8 Depth=1
	v_mov_b32_e32 v3, v2
	ds_write_b64 v12, v[2:3]
; %bb.14:                               ;   in Loop: Header=BB94_8 Depth=1
	s_andn2_saveexec_b32 s16, s16
	s_cbranch_execz .LBB94_7
; %bb.15:                               ;   in Loop: Header=BB94_8 Depth=1
	global_load_dwordx2 v[22:23], v[6:7], off
	s_waitcnt vmcnt(0)
	ds_write_b64 v12, v[22:23]
	s_branch .LBB94_7
.LBB94_16:
	s_clause 0x2
	s_load_dword s6, s[4:5], 0x50
	s_load_dwordx2 s[16:17], s[4:5], 0x58
	s_load_dwordx2 s[4:5], s[4:5], 0x48
	v_add_nc_u32_e32 v9, s11, v1
	v_add_nc_u32_e32 v0, s10, v0
	v_cmp_neq_f32_e64 s7, s2, 0
	v_cmp_gt_i32_e64 s0, s12, v9
	v_cmp_le_i32_e32 vcc_lo, v0, v9
	s_waitcnt lgkmcnt(0)
	v_mad_i64_i32 v[1:2], null, v9, s6, 0
	s_mul_i32 s1, s17, s8
	s_mul_hi_u32 s11, s16, s8
	s_mul_i32 s10, s16, s8
	s_add_i32 s11, s11, s1
	s_lshl_b64 s[10:11], s[10:11], 3
	v_lshlrev_b64 v[2:3], 3, v[1:2]
	s_add_u32 s4, s4, s10
	s_addc_u32 s5, s5, s11
	s_xor_b32 s8, s9, -1
	v_ashrrev_i32_e32 v1, 31, v0
	s_or_b32 s7, s7, s8
	v_add_co_u32 v6, s1, s4, v2
	v_add_co_ci_u32_e64 v7, null, s5, v3, s1
	v_cndmask_b32_e64 v8, 0, 1, s7
	s_and_b32 s8, s0, vcc_lo
	s_and_saveexec_b32 s1, s8
	s_cbranch_execz .LBB94_20
; %bb.17:
	v_lshlrev_b64 v[4:5], 3, v[0:1]
	v_mul_f32_e32 v2, s15, v21
	v_mul_f32_e32 v3, s14, v21
	v_fma_f32 v2, v20, s14, -v2
	v_add_co_u32 v4, vcc_lo, v6, v4
	v_fmac_f32_e32 v3, s15, v20
	v_add_co_ci_u32_e64 v5, null, v7, v5, vcc_lo
	s_andn2_b32 vcc_lo, exec_lo, s7
	s_cbranch_vccnz .LBB94_19
; %bb.18:
	global_load_dwordx2 v[10:11], v[4:5], off
	s_waitcnt vmcnt(0)
	v_mul_f32_e32 v12, s3, v11
	v_mul_f32_e32 v11, s2, v11
	v_fma_f32 v12, v10, s2, -v12
	v_fmac_f32_e32 v11, s3, v10
	v_add_f32_e32 v2, v2, v12
	v_add_f32_e32 v3, v3, v11
.LBB94_19:
	global_store_dwordx2 v[4:5], v[2:3], off
.LBB94_20:
	s_or_b32 exec_lo, exec_lo, s1
	v_add_nc_u32_e32 v2, 16, v0
	v_cmp_le_i32_e32 vcc_lo, v2, v9
	v_ashrrev_i32_e32 v3, 31, v2
	s_and_b32 s0, s0, vcc_lo
	s_and_saveexec_b32 s1, s0
	s_cbranch_execz .LBB94_24
; %bb.21:
	v_lshlrev_b64 v[10:11], 3, v[2:3]
	v_mul_f32_e32 v4, s15, v19
	v_mul_f32_e32 v5, s14, v19
	v_cmp_ne_u32_e32 vcc_lo, 1, v8
	v_fma_f32 v4, v18, s14, -v4
	v_add_co_u32 v6, s0, v6, v10
	v_fmac_f32_e32 v5, s15, v18
	v_add_co_ci_u32_e64 v7, null, v7, v11, s0
	s_cbranch_vccnz .LBB94_23
; %bb.22:
	global_load_dwordx2 v[10:11], v[6:7], off
	s_waitcnt vmcnt(0)
	v_mul_f32_e32 v12, s3, v11
	v_mul_f32_e32 v11, s2, v11
	v_fma_f32 v12, v10, s2, -v12
	v_fmac_f32_e32 v11, s3, v10
	v_add_f32_e32 v4, v4, v12
	v_add_f32_e32 v5, v5, v11
.LBB94_23:
	global_store_dwordx2 v[6:7], v[4:5], off
.LBB94_24:
	s_or_b32 exec_lo, exec_lo, s1
	v_add_nc_u32_e32 v9, 16, v9
	v_mad_i64_i32 v[4:5], null, v9, s6, 0
	v_cmp_gt_i32_e64 s0, s12, v9
	v_cmp_le_i32_e32 vcc_lo, v0, v9
	v_lshlrev_b64 v[4:5], 3, v[4:5]
	v_add_co_u32 v6, s1, s4, v4
	v_add_co_ci_u32_e64 v7, null, s5, v5, s1
	s_and_b32 s1, s0, vcc_lo
	s_and_saveexec_b32 s4, s1
	s_cbranch_execz .LBB94_28
; %bb.25:
	v_lshlrev_b64 v[0:1], 3, v[0:1]
	v_mul_f32_e32 v4, s15, v17
	v_mul_f32_e32 v5, s14, v17
	v_cmp_ne_u32_e32 vcc_lo, 1, v8
	v_fma_f32 v4, v16, s14, -v4
	v_add_co_u32 v0, s1, v6, v0
	v_fmac_f32_e32 v5, s15, v16
	v_add_co_ci_u32_e64 v1, null, v7, v1, s1
	s_cbranch_vccnz .LBB94_27
; %bb.26:
	global_load_dwordx2 v[10:11], v[0:1], off
	s_waitcnt vmcnt(0)
	v_mul_f32_e32 v12, s3, v11
	v_mul_f32_e32 v11, s2, v11
	v_fma_f32 v12, v10, s2, -v12
	v_fmac_f32_e32 v11, s3, v10
	v_add_f32_e32 v4, v4, v12
	v_add_f32_e32 v5, v5, v11
.LBB94_27:
	global_store_dwordx2 v[0:1], v[4:5], off
.LBB94_28:
	s_or_b32 exec_lo, exec_lo, s4
	v_cmp_le_i32_e32 vcc_lo, v2, v9
	s_and_b32 s0, s0, vcc_lo
	s_and_saveexec_b32 s1, s0
	s_cbranch_execz .LBB94_32
; %bb.29:
	v_lshlrev_b64 v[2:3], 3, v[2:3]
	v_mul_f32_e32 v0, s15, v15
	v_mul_f32_e32 v1, s14, v15
	v_cmp_ne_u32_e32 vcc_lo, 1, v8
	v_fma_f32 v0, v14, s14, -v0
	v_add_co_u32 v2, s0, v6, v2
	v_fmac_f32_e32 v1, s15, v14
	v_add_co_ci_u32_e64 v3, null, v7, v3, s0
	s_cbranch_vccnz .LBB94_31
; %bb.30:
	global_load_dwordx2 v[4:5], v[2:3], off
	s_waitcnt vmcnt(0)
	v_mul_f32_e32 v6, s3, v5
	v_mul_f32_e32 v5, s2, v5
	v_fma_f32 v6, v4, s2, -v6
	v_fmac_f32_e32 v5, s3, v4
	v_add_f32_e32 v0, v0, v6
	v_add_f32_e32 v1, v1, v5
.LBB94_31:
	global_store_dwordx2 v[2:3], v[0:1], off
.LBB94_32:
	s_endpgm
	.section	.rodata,"a",@progbits
	.p2align	6, 0x0
	.amdhsa_kernel _ZL29rocblas_internal_gemmt_kernelIiLi16ELi32ELi8ELc84ELc84ELc85ELb0ELb0E19rocblas_complex_numIfES1_PKS1_PS1_EviT_T9_T10_S5_lS7_S5_lS6_T11_S5_li
		.amdhsa_group_segment_fixed_size 4096
		.amdhsa_private_segment_fixed_size 0
		.amdhsa_kernarg_size 100
		.amdhsa_user_sgpr_count 6
		.amdhsa_user_sgpr_private_segment_buffer 1
		.amdhsa_user_sgpr_dispatch_ptr 0
		.amdhsa_user_sgpr_queue_ptr 0
		.amdhsa_user_sgpr_kernarg_segment_ptr 1
		.amdhsa_user_sgpr_dispatch_id 0
		.amdhsa_user_sgpr_flat_scratch_init 0
		.amdhsa_user_sgpr_private_segment_size 0
		.amdhsa_wavefront_size32 1
		.amdhsa_uses_dynamic_stack 0
		.amdhsa_system_sgpr_private_segment_wavefront_offset 0
		.amdhsa_system_sgpr_workgroup_id_x 1
		.amdhsa_system_sgpr_workgroup_id_y 1
		.amdhsa_system_sgpr_workgroup_id_z 1
		.amdhsa_system_sgpr_workgroup_info 0
		.amdhsa_system_vgpr_workitem_id 1
		.amdhsa_next_free_vgpr 59
		.amdhsa_next_free_sgpr 26
		.amdhsa_reserve_vcc 1
		.amdhsa_reserve_flat_scratch 0
		.amdhsa_float_round_mode_32 0
		.amdhsa_float_round_mode_16_64 0
		.amdhsa_float_denorm_mode_32 3
		.amdhsa_float_denorm_mode_16_64 3
		.amdhsa_dx10_clamp 1
		.amdhsa_ieee_mode 1
		.amdhsa_fp16_overflow 0
		.amdhsa_workgroup_processor_mode 1
		.amdhsa_memory_ordered 1
		.amdhsa_forward_progress 1
		.amdhsa_shared_vgpr_count 0
		.amdhsa_exception_fp_ieee_invalid_op 0
		.amdhsa_exception_fp_denorm_src 0
		.amdhsa_exception_fp_ieee_div_zero 0
		.amdhsa_exception_fp_ieee_overflow 0
		.amdhsa_exception_fp_ieee_underflow 0
		.amdhsa_exception_fp_ieee_inexact 0
		.amdhsa_exception_int_div_zero 0
	.end_amdhsa_kernel
	.section	.text._ZL29rocblas_internal_gemmt_kernelIiLi16ELi32ELi8ELc84ELc84ELc85ELb0ELb0E19rocblas_complex_numIfES1_PKS1_PS1_EviT_T9_T10_S5_lS7_S5_lS6_T11_S5_li,"axG",@progbits,_ZL29rocblas_internal_gemmt_kernelIiLi16ELi32ELi8ELc84ELc84ELc85ELb0ELb0E19rocblas_complex_numIfES1_PKS1_PS1_EviT_T9_T10_S5_lS7_S5_lS6_T11_S5_li,comdat
.Lfunc_end94:
	.size	_ZL29rocblas_internal_gemmt_kernelIiLi16ELi32ELi8ELc84ELc84ELc85ELb0ELb0E19rocblas_complex_numIfES1_PKS1_PS1_EviT_T9_T10_S5_lS7_S5_lS6_T11_S5_li, .Lfunc_end94-_ZL29rocblas_internal_gemmt_kernelIiLi16ELi32ELi8ELc84ELc84ELc85ELb0ELb0E19rocblas_complex_numIfES1_PKS1_PS1_EviT_T9_T10_S5_lS7_S5_lS6_T11_S5_li
                                        ; -- End function
	.set _ZL29rocblas_internal_gemmt_kernelIiLi16ELi32ELi8ELc84ELc84ELc85ELb0ELb0E19rocblas_complex_numIfES1_PKS1_PS1_EviT_T9_T10_S5_lS7_S5_lS6_T11_S5_li.num_vgpr, 59
	.set _ZL29rocblas_internal_gemmt_kernelIiLi16ELi32ELi8ELc84ELc84ELc85ELb0ELb0E19rocblas_complex_numIfES1_PKS1_PS1_EviT_T9_T10_S5_lS7_S5_lS6_T11_S5_li.num_agpr, 0
	.set _ZL29rocblas_internal_gemmt_kernelIiLi16ELi32ELi8ELc84ELc84ELc85ELb0ELb0E19rocblas_complex_numIfES1_PKS1_PS1_EviT_T9_T10_S5_lS7_S5_lS6_T11_S5_li.numbered_sgpr, 26
	.set _ZL29rocblas_internal_gemmt_kernelIiLi16ELi32ELi8ELc84ELc84ELc85ELb0ELb0E19rocblas_complex_numIfES1_PKS1_PS1_EviT_T9_T10_S5_lS7_S5_lS6_T11_S5_li.num_named_barrier, 0
	.set _ZL29rocblas_internal_gemmt_kernelIiLi16ELi32ELi8ELc84ELc84ELc85ELb0ELb0E19rocblas_complex_numIfES1_PKS1_PS1_EviT_T9_T10_S5_lS7_S5_lS6_T11_S5_li.private_seg_size, 0
	.set _ZL29rocblas_internal_gemmt_kernelIiLi16ELi32ELi8ELc84ELc84ELc85ELb0ELb0E19rocblas_complex_numIfES1_PKS1_PS1_EviT_T9_T10_S5_lS7_S5_lS6_T11_S5_li.uses_vcc, 1
	.set _ZL29rocblas_internal_gemmt_kernelIiLi16ELi32ELi8ELc84ELc84ELc85ELb0ELb0E19rocblas_complex_numIfES1_PKS1_PS1_EviT_T9_T10_S5_lS7_S5_lS6_T11_S5_li.uses_flat_scratch, 0
	.set _ZL29rocblas_internal_gemmt_kernelIiLi16ELi32ELi8ELc84ELc84ELc85ELb0ELb0E19rocblas_complex_numIfES1_PKS1_PS1_EviT_T9_T10_S5_lS7_S5_lS6_T11_S5_li.has_dyn_sized_stack, 0
	.set _ZL29rocblas_internal_gemmt_kernelIiLi16ELi32ELi8ELc84ELc84ELc85ELb0ELb0E19rocblas_complex_numIfES1_PKS1_PS1_EviT_T9_T10_S5_lS7_S5_lS6_T11_S5_li.has_recursion, 0
	.set _ZL29rocblas_internal_gemmt_kernelIiLi16ELi32ELi8ELc84ELc84ELc85ELb0ELb0E19rocblas_complex_numIfES1_PKS1_PS1_EviT_T9_T10_S5_lS7_S5_lS6_T11_S5_li.has_indirect_call, 0
	.section	.AMDGPU.csdata,"",@progbits
; Kernel info:
; codeLenInByte = 2516
; TotalNumSgprs: 28
; NumVgprs: 59
; ScratchSize: 0
; MemoryBound: 1
; FloatMode: 240
; IeeeMode: 1
; LDSByteSize: 4096 bytes/workgroup (compile time only)
; SGPRBlocks: 0
; VGPRBlocks: 7
; NumSGPRsForWavesPerEU: 28
; NumVGPRsForWavesPerEU: 59
; Occupancy: 16
; WaveLimiterHint : 0
; COMPUTE_PGM_RSRC2:SCRATCH_EN: 0
; COMPUTE_PGM_RSRC2:USER_SGPR: 6
; COMPUTE_PGM_RSRC2:TRAP_HANDLER: 0
; COMPUTE_PGM_RSRC2:TGID_X_EN: 1
; COMPUTE_PGM_RSRC2:TGID_Y_EN: 1
; COMPUTE_PGM_RSRC2:TGID_Z_EN: 1
; COMPUTE_PGM_RSRC2:TIDIG_COMP_CNT: 1
	.section	.text._ZL29rocblas_internal_gemmt_kernelIiLi16ELi32ELi8ELc84ELc67ELc85ELb0ELb1E19rocblas_complex_numIfES1_PKS1_PS1_EviT_T9_T10_S5_lS7_S5_lS6_T11_S5_li,"axG",@progbits,_ZL29rocblas_internal_gemmt_kernelIiLi16ELi32ELi8ELc84ELc67ELc85ELb0ELb1E19rocblas_complex_numIfES1_PKS1_PS1_EviT_T9_T10_S5_lS7_S5_lS6_T11_S5_li,comdat
	.globl	_ZL29rocblas_internal_gemmt_kernelIiLi16ELi32ELi8ELc84ELc67ELc85ELb0ELb1E19rocblas_complex_numIfES1_PKS1_PS1_EviT_T9_T10_S5_lS7_S5_lS6_T11_S5_li ; -- Begin function _ZL29rocblas_internal_gemmt_kernelIiLi16ELi32ELi8ELc84ELc67ELc85ELb0ELb1E19rocblas_complex_numIfES1_PKS1_PS1_EviT_T9_T10_S5_lS7_S5_lS6_T11_S5_li
	.p2align	8
	.type	_ZL29rocblas_internal_gemmt_kernelIiLi16ELi32ELi8ELc84ELc67ELc85ELb0ELb1E19rocblas_complex_numIfES1_PKS1_PS1_EviT_T9_T10_S5_lS7_S5_lS6_T11_S5_li,@function
_ZL29rocblas_internal_gemmt_kernelIiLi16ELi32ELi8ELc84ELc67ELc85ELb0ELb1E19rocblas_complex_numIfES1_PKS1_PS1_EviT_T9_T10_S5_lS7_S5_lS6_T11_S5_li: ; @_ZL29rocblas_internal_gemmt_kernelIiLi16ELi32ELi8ELc84ELc67ELc85ELb0ELb1E19rocblas_complex_numIfES1_PKS1_PS1_EviT_T9_T10_S5_lS7_S5_lS6_T11_S5_li
; %bb.0:
	s_clause 0x1
	s_load_dwordx2 s[2:3], s[4:5], 0x40
	s_load_dwordx4 s[12:15], s[4:5], 0x0
	s_waitcnt lgkmcnt(0)
	s_and_b32 s0, s3, 0x7fffffff
	v_cmp_eq_f32_e64 s1, s2, 1.0
	s_cmp_eq_u32 s0, 0
	s_mov_b32 s0, 0
	s_cselect_b32 s9, -1, 0
	s_and_b32 s1, s1, s9
	s_andn2_b32 vcc_lo, exec_lo, s1
	s_mov_b32 s1, -1
	s_cbranch_vccnz .LBB95_4
; %bb.1:
	s_cmp_lg_u32 s13, 0
	s_cbranch_scc0 .LBB95_3
; %bb.2:
	v_cmp_neq_f32_e64 s0, s14, 0
	v_cmp_neq_f32_e64 s1, s15, 0
	s_or_b32 s0, s0, s1
.LBB95_3:
	s_mov_b32 s1, s0
.LBB95_4:
	s_and_b32 vcc_lo, exec_lo, s1
	s_cbranch_vccz .LBB95_32
; %bb.5:
	v_cmp_eq_f32_e64 s0, s14, 0
	v_cmp_eq_f32_e64 s1, s15, 0
	s_lshl_b32 s10, s6, 5
	s_lshl_b32 s11, s7, 5
	v_mov_b32_e32 v20, 0
	v_mov_b32_e32 v21, 0
	s_and_b32 s0, s0, s1
	s_cmp_lt_i32 s13, 1
	v_mov_b32_e32 v18, 0
	s_cselect_b32 s1, -1, 0
	v_mov_b32_e32 v19, 0
	v_mov_b32_e32 v16, 0
	;; [unrolled: 1-line block ×5, first 2 shown]
	s_or_b32 s0, s0, s1
	s_mov_b32 s20, 0
	s_and_b32 vcc_lo, exec_lo, s0
	s_cbranch_vccnz .LBB95_16
; %bb.6:
	s_clause 0x1
	s_load_dword s1, s[4:5], 0x18
	s_load_dwordx2 s[22:23], s[4:5], 0x10
	v_lshl_add_u32 v2, v1, 4, v0
	v_and_b32_e32 v8, 7, v0
	s_clause 0x2
	s_load_dword s6, s[4:5], 0x30
	s_load_dwordx4 s[16:19], s[4:5], 0x20
	s_load_dwordx2 s[24:25], s[4:5], 0x38
	v_and_b32_e32 v3, 31, v2
	v_lshrrev_b32_e32 v4, 3, v2
	v_lshlrev_b32_e32 v5, 3, v8
	v_lshrrev_b32_e32 v9, 5, v2
	v_lshlrev_b32_e32 v12, 3, v0
	v_or_b32_e32 v6, s10, v3
	v_lshlrev_b32_e32 v7, 3, v3
	v_add_nc_u32_e32 v2, s11, v4
	v_lshl_or_b32 v4, v4, 6, v5
	v_add_nc_u32_e32 v3, s10, v3
	v_cmp_gt_i32_e32 vcc_lo, s12, v6
	v_lshl_or_b32 v10, v9, 8, v7
	v_lshlrev_b32_e32 v16, 3, v9
	v_add_nc_u32_e32 v11, 0x800, v4
	s_waitcnt lgkmcnt(0)
	v_mad_i64_i32 v[4:5], null, s1, v3, 0
	v_ashrrev_i32_e32 v3, 31, v2
	v_mad_i64_i32 v[6:7], null, s6, v8, 0
	s_mul_i32 s1, s17, s8
	s_mul_hi_u32 s17, s16, s8
	s_mul_i32 s16, s16, s8
	v_lshlrev_b64 v[4:5], 3, v[4:5]
	s_add_i32 s17, s17, s1
	s_mul_i32 s21, s25, s8
	s_lshl_b64 s[16:17], s[16:17], 3
	s_mul_hi_u32 s25, s24, s8
	v_cmp_gt_i32_e64 s0, s12, v2
	v_add_co_u32 v14, s1, v4, s16
	v_add_co_ci_u32_e64 v15, null, s17, v5, s1
	v_lshlrev_b64 v[4:5], 3, v[6:7]
	s_add_i32 s17, s25, s21
	s_mul_i32 s16, s24, s8
	v_lshlrev_b64 v[6:7], 3, v[2:3]
	s_lshl_b64 s[16:17], s[16:17], 3
	v_lshl_add_u32 v13, v1, 6, 0x800
	v_add_co_u32 v3, s1, s16, v4
	v_add_co_ci_u32_e64 v4, null, s17, v5, s1
	v_mov_b32_e32 v2, 0
	v_add_co_u32 v3, s1, v3, v6
	v_add_co_ci_u32_e64 v4, null, v4, v7, s1
	v_add_co_u32 v5, s1, v14, v16
	v_add_co_ci_u32_e64 v6, null, 0, v15, s1
	;; [unrolled: 2-line block ×5, first 2 shown]
	v_mov_b32_e32 v15, 0
	v_mov_b32_e32 v14, 0
	;; [unrolled: 1-line block ×8, first 2 shown]
	s_ashr_i32 s7, s6, 31
	s_xor_b32 s1, vcc_lo, -1
	s_lshl_b64 s[6:7], s[6:7], 6
	s_xor_b32 s0, s0, -1
	s_branch .LBB95_8
.LBB95_7:                               ;   in Loop: Header=BB95_8 Depth=1
	s_or_b32 exec_lo, exec_lo, s16
	ds_write_b32 v11, v3 offset:4
	s_waitcnt lgkmcnt(0)
	s_barrier
	buffer_gl0_inv
	ds_read_b128 v[22:25], v13
	ds_read2_b64 v[26:29], v12 offset1:16
	ds_read_b128 v[30:33], v13 offset:1024
	ds_read_b128 v[34:37], v13 offset:16
	;; [unrolled: 1-line block ×4, first 2 shown]
	ds_read2_b64 v[46:49], v12 offset0:32 offset1:48
	ds_read_b128 v[50:53], v13 offset:1040
	v_add_co_u32 v4, vcc_lo, v4, 64
	v_add_co_ci_u32_e64 v5, null, 0, v5, vcc_lo
	v_add_co_u32 v6, vcc_lo, v6, s6
	v_add_co_ci_u32_e64 v7, null, s7, v7, vcc_lo
	s_add_i32 s20, s20, 8
	s_cmp_lt_i32 s20, s13
	s_waitcnt lgkmcnt(6)
	v_mul_f32_e32 v3, v23, v27
	v_mul_f32_e32 v54, v22, v27
	;; [unrolled: 1-line block ×4, first 2 shown]
	s_waitcnt lgkmcnt(5)
	v_mul_f32_e32 v57, v31, v27
	v_mul_f32_e32 v27, v30, v27
	;; [unrolled: 1-line block ×3, first 2 shown]
	v_fma_f32 v3, v22, v26, -v3
	v_fmac_f32_e32 v54, v23, v26
	v_fma_f32 v22, v22, v28, -v55
	v_fmac_f32_e32 v56, v23, v28
	;; [unrolled: 2-line block ×3, first 2 shown]
	v_mul_f32_e32 v29, v30, v29
	v_fma_f32 v26, v30, v28, -v58
	v_add_f32_e32 v3, v20, v3
	v_add_f32_e32 v20, v21, v54
	;; [unrolled: 1-line block ×6, first 2 shown]
	s_waitcnt lgkmcnt(1)
	v_mul_f32_e32 v30, v25, v47
	ds_read2_b64 v[16:19], v12 offset0:64 offset1:80
	v_fmac_f32_e32 v29, v31, v28
	v_add_f32_e32 v14, v14, v26
	v_mul_f32_e32 v26, v24, v47
	v_fma_f32 v28, v24, v46, -v30
	v_mul_f32_e32 v30, v25, v49
	v_add_f32_e32 v15, v15, v29
	v_mul_f32_e32 v29, v24, v49
	v_fmac_f32_e32 v26, v25, v46
	v_add_f32_e32 v3, v3, v28
	v_fma_f32 v24, v24, v48, -v30
	v_mul_f32_e32 v28, v33, v47
	v_fmac_f32_e32 v29, v25, v48
	v_add_f32_e32 v26, v20, v26
	v_mul_f32_e32 v20, v32, v47
	v_add_f32_e32 v24, v21, v24
	v_fma_f32 v21, v32, v46, -v28
	v_mul_f32_e32 v25, v33, v49
	v_add_f32_e32 v28, v22, v29
	v_fmac_f32_e32 v20, v33, v46
	v_mul_f32_e32 v29, v32, v49
	v_add_f32_e32 v30, v23, v21
	v_fma_f32 v21, v32, v48, -v25
	s_waitcnt lgkmcnt(0)
	v_mul_f32_e32 v22, v35, v17
	v_add_f32_e32 v25, v27, v20
	v_fmac_f32_e32 v29, v33, v48
	v_mul_f32_e32 v27, v34, v17
	v_add_f32_e32 v14, v14, v21
	v_fma_f32 v31, v34, v16, -v22
	v_mul_f32_e32 v32, v35, v19
	ds_read2_b64 v[20:23], v12 offset0:96 offset1:112
	v_fmac_f32_e32 v27, v35, v16
	v_add_f32_e32 v29, v15, v29
	v_add_f32_e32 v3, v3, v31
	v_mul_f32_e32 v15, v34, v19
	v_fma_f32 v31, v34, v18, -v32
	v_add_f32_e32 v26, v26, v27
	v_mul_f32_e32 v27, v51, v17
	v_mul_f32_e32 v17, v50, v17
	v_fmac_f32_e32 v15, v35, v18
	v_add_f32_e32 v24, v24, v31
	v_mul_f32_e32 v31, v51, v19
	v_mul_f32_e32 v19, v50, v19
	v_fmac_f32_e32 v17, v51, v16
	v_add_f32_e32 v28, v28, v15
	v_fma_f32 v27, v50, v16, -v27
	v_fma_f32 v15, v50, v18, -v31
	v_fmac_f32_e32 v19, v51, v18
	v_add_f32_e32 v31, v25, v17
	s_waitcnt lgkmcnt(0)
	v_mul_f32_e32 v18, v37, v21
	v_add_f32_e32 v32, v14, v15
	ds_read2_b64 v[14:17], v12 offset0:128 offset1:144
	v_add_f32_e32 v30, v30, v27
	v_mul_f32_e32 v25, v36, v21
	v_fma_f32 v18, v36, v20, -v18
	v_mul_f32_e32 v27, v37, v23
	v_add_f32_e32 v29, v29, v19
	v_mul_f32_e32 v19, v36, v23
	v_fmac_f32_e32 v25, v37, v20
	v_add_f32_e32 v3, v3, v18
	v_mul_f32_e32 v18, v53, v21
	v_fma_f32 v27, v36, v22, -v27
	v_fmac_f32_e32 v19, v37, v22
	v_mul_f32_e32 v21, v52, v21
	v_mul_f32_e32 v35, v53, v23
	v_fma_f32 v18, v52, v20, -v18
	v_add_f32_e32 v33, v26, v25
	v_add_f32_e32 v34, v24, v27
	ds_read_b128 v[24:27], v13 offset:1056
	v_add_f32_e32 v36, v28, v19
	v_fmac_f32_e32 v21, v53, v20
	v_mul_f32_e32 v23, v52, v23
	v_fma_f32 v19, v52, v22, -v35
	v_add_f32_e32 v35, v30, v18
	s_waitcnt lgkmcnt(1)
	v_mul_f32_e32 v18, v39, v15
	v_add_f32_e32 v37, v31, v21
	v_fmac_f32_e32 v23, v53, v22
	v_add_f32_e32 v22, v32, v19
	v_mul_f32_e32 v32, v38, v15
	v_fma_f32 v28, v38, v14, -v18
	ds_read2_b64 v[18:21], v12 offset0:160 offset1:176
	v_mul_f32_e32 v30, v39, v17
	v_mul_f32_e32 v46, v38, v17
	v_fmac_f32_e32 v32, v39, v14
	v_add_f32_e32 v23, v29, v23
	v_add_f32_e32 v3, v3, v28
	v_fma_f32 v38, v38, v16, -v30
	ds_read_b128 v[28:31], v13 offset:1072
	s_waitcnt lgkmcnt(2)
	v_mul_f32_e32 v47, v25, v15
	v_add_f32_e32 v32, v33, v32
	v_mul_f32_e32 v15, v24, v15
	v_add_f32_e32 v33, v34, v38
	v_mul_f32_e32 v38, v25, v17
	v_fmac_f32_e32 v46, v39, v16
	v_fma_f32 v34, v24, v14, -v47
	v_fmac_f32_e32 v15, v25, v14
	v_mul_f32_e32 v39, v24, v17
	v_fma_f32 v14, v24, v16, -v38
	v_add_f32_e32 v36, v36, v46
	v_add_f32_e32 v34, v35, v34
	s_waitcnt lgkmcnt(1)
	v_mul_f32_e32 v17, v41, v19
	v_add_f32_e32 v24, v37, v15
	v_fmac_f32_e32 v39, v25, v16
	v_mul_f32_e32 v25, v40, v19
	v_add_f32_e32 v22, v22, v14
	v_fma_f32 v35, v40, v18, -v17
	ds_read2_b64 v[14:17], v12 offset0:192 offset1:208
	v_mul_f32_e32 v37, v41, v21
	v_fmac_f32_e32 v25, v41, v18
	v_add_f32_e32 v38, v23, v39
	v_add_f32_e32 v3, v3, v35
	v_mul_f32_e32 v23, v40, v21
	v_fma_f32 v35, v40, v20, -v37
	v_add_f32_e32 v32, v32, v25
	v_mul_f32_e32 v25, v27, v19
	v_mul_f32_e32 v19, v26, v19
	v_fmac_f32_e32 v23, v41, v20
	v_add_f32_e32 v33, v33, v35
	v_mul_f32_e32 v35, v27, v21
	v_fma_f32 v25, v26, v18, -v25
	v_fmac_f32_e32 v19, v27, v18
	v_add_f32_e32 v18, v36, v23
	v_mul_f32_e32 v21, v26, v21
	v_fma_f32 v23, v26, v20, -v35
	v_add_f32_e32 v26, v34, v25
	v_add_f32_e32 v19, v24, v19
	s_waitcnt lgkmcnt(0)
	v_mul_f32_e32 v34, v43, v15
	v_fmac_f32_e32 v21, v27, v20
	v_add_f32_e32 v20, v22, v23
	ds_read2_b64 v[22:25], v12 offset0:224 offset1:240
	v_mul_f32_e32 v27, v42, v15
	v_fma_f32 v34, v42, v14, -v34
	v_mul_f32_e32 v35, v43, v17
	v_mul_f32_e32 v36, v42, v17
	v_add_f32_e32 v21, v38, v21
	v_fmac_f32_e32 v27, v43, v14
	v_add_f32_e32 v3, v3, v34
	v_mul_f32_e32 v34, v29, v15
	v_fma_f32 v35, v42, v16, -v35
	v_fmac_f32_e32 v36, v43, v16
	v_add_f32_e32 v27, v32, v27
	v_mul_f32_e32 v15, v28, v15
	v_fma_f32 v32, v28, v14, -v34
	v_mul_f32_e32 v34, v29, v17
	v_add_f32_e32 v33, v33, v35
	v_add_f32_e32 v35, v18, v36
	v_fmac_f32_e32 v15, v29, v14
	v_add_f32_e32 v14, v26, v32
	v_mul_f32_e32 v17, v28, v17
	v_fma_f32 v18, v28, v16, -v34
	s_waitcnt lgkmcnt(0)
	v_mul_f32_e32 v26, v45, v23
	v_mul_f32_e32 v28, v44, v23
	v_add_f32_e32 v15, v19, v15
	v_fmac_f32_e32 v17, v29, v16
	v_add_f32_e32 v29, v20, v18
	v_fma_f32 v16, v44, v22, -v26
	v_mul_f32_e32 v18, v45, v25
	v_mul_f32_e32 v19, v44, v25
	v_add_f32_e32 v26, v21, v17
	v_mul_f32_e32 v17, v30, v23
	v_add_f32_e32 v20, v3, v16
	v_fma_f32 v3, v44, v24, -v18
	v_mul_f32_e32 v16, v31, v23
	v_mul_f32_e32 v23, v31, v25
	;; [unrolled: 1-line block ×3, first 2 shown]
	v_fmac_f32_e32 v28, v45, v22
	v_fmac_f32_e32 v19, v45, v24
	v_add_f32_e32 v18, v33, v3
	v_fma_f32 v3, v30, v22, -v16
	v_fmac_f32_e32 v17, v31, v22
	v_fma_f32 v22, v30, v24, -v23
	v_fmac_f32_e32 v25, v31, v24
	v_add_f32_e32 v21, v27, v28
	v_add_f32_e32 v19, v35, v19
	;; [unrolled: 1-line block ×6, first 2 shown]
	s_barrier
	buffer_gl0_inv
	s_cbranch_scc0 .LBB95_16
.LBB95_8:                               ; =>This Inner Loop Header: Depth=1
	v_add_nc_u32_e32 v3, s20, v9
	v_cmp_le_i32_e32 vcc_lo, s13, v3
	s_or_b32 s16, s1, vcc_lo
	s_and_saveexec_b32 s17, s16
	s_xor_b32 s16, exec_lo, s17
; %bb.9:                                ;   in Loop: Header=BB95_8 Depth=1
	v_mov_b32_e32 v3, v2
	ds_write_b64 v10, v[2:3]
; %bb.10:                               ;   in Loop: Header=BB95_8 Depth=1
	s_andn2_saveexec_b32 s16, s16
	s_cbranch_execz .LBB95_12
; %bb.11:                               ;   in Loop: Header=BB95_8 Depth=1
	global_load_dwordx2 v[22:23], v[4:5], off
	s_waitcnt vmcnt(0)
	ds_write_b64 v10, v[22:23]
.LBB95_12:                              ;   in Loop: Header=BB95_8 Depth=1
	s_or_b32 exec_lo, exec_lo, s16
	v_add_nc_u32_e32 v3, s20, v8
	v_cmp_le_i32_e32 vcc_lo, s13, v3
	s_or_b32 s16, vcc_lo, s0
	s_and_saveexec_b32 s17, s16
	s_xor_b32 s16, exec_lo, s17
; %bb.13:                               ;   in Loop: Header=BB95_8 Depth=1
	ds_write_b32 v11, v2
; %bb.14:                               ;   in Loop: Header=BB95_8 Depth=1
	s_or_saveexec_b32 s16, s16
	v_mov_b32_e32 v3, 0
	s_xor_b32 exec_lo, exec_lo, s16
	s_cbranch_execz .LBB95_7
; %bb.15:                               ;   in Loop: Header=BB95_8 Depth=1
	global_load_dwordx2 v[22:23], v[6:7], off offset:-4
	s_waitcnt vmcnt(0)
	v_xor_b32_e32 v3, 0x80000000, v23
	ds_write_b32 v11, v22
	s_branch .LBB95_7
.LBB95_16:
	s_clause 0x2
	s_load_dword s6, s[4:5], 0x50
	s_load_dwordx2 s[16:17], s[4:5], 0x58
	s_load_dwordx2 s[4:5], s[4:5], 0x48
	v_add_nc_u32_e32 v9, s11, v1
	v_add_nc_u32_e32 v0, s10, v0
	v_cmp_neq_f32_e64 s7, s2, 0
	v_cmp_gt_i32_e64 s0, s12, v9
	v_cmp_le_i32_e32 vcc_lo, v0, v9
	s_waitcnt lgkmcnt(0)
	v_mad_i64_i32 v[1:2], null, v9, s6, 0
	s_mul_i32 s1, s17, s8
	s_mul_hi_u32 s11, s16, s8
	s_mul_i32 s10, s16, s8
	s_add_i32 s11, s11, s1
	s_lshl_b64 s[10:11], s[10:11], 3
	v_lshlrev_b64 v[2:3], 3, v[1:2]
	s_add_u32 s4, s4, s10
	s_addc_u32 s5, s5, s11
	s_xor_b32 s8, s9, -1
	v_ashrrev_i32_e32 v1, 31, v0
	s_or_b32 s7, s7, s8
	v_add_co_u32 v6, s1, s4, v2
	v_add_co_ci_u32_e64 v7, null, s5, v3, s1
	v_cndmask_b32_e64 v8, 0, 1, s7
	s_and_b32 s8, s0, vcc_lo
	s_and_saveexec_b32 s1, s8
	s_cbranch_execz .LBB95_20
; %bb.17:
	v_lshlrev_b64 v[4:5], 3, v[0:1]
	v_mul_f32_e32 v2, s15, v21
	v_mul_f32_e32 v3, s14, v21
	v_fma_f32 v2, v20, s14, -v2
	v_add_co_u32 v4, vcc_lo, v6, v4
	v_fmac_f32_e32 v3, s15, v20
	v_add_co_ci_u32_e64 v5, null, v7, v5, vcc_lo
	s_andn2_b32 vcc_lo, exec_lo, s7
	s_cbranch_vccnz .LBB95_19
; %bb.18:
	global_load_dwordx2 v[10:11], v[4:5], off
	s_waitcnt vmcnt(0)
	v_mul_f32_e32 v12, s3, v11
	v_mul_f32_e32 v11, s2, v11
	v_fma_f32 v12, v10, s2, -v12
	v_fmac_f32_e32 v11, s3, v10
	v_add_f32_e32 v2, v2, v12
	v_add_f32_e32 v3, v3, v11
.LBB95_19:
	global_store_dwordx2 v[4:5], v[2:3], off
.LBB95_20:
	s_or_b32 exec_lo, exec_lo, s1
	v_add_nc_u32_e32 v2, 16, v0
	v_cmp_le_i32_e32 vcc_lo, v2, v9
	v_ashrrev_i32_e32 v3, 31, v2
	s_and_b32 s0, s0, vcc_lo
	s_and_saveexec_b32 s1, s0
	s_cbranch_execz .LBB95_24
; %bb.21:
	v_lshlrev_b64 v[10:11], 3, v[2:3]
	v_mul_f32_e32 v4, s15, v19
	v_mul_f32_e32 v5, s14, v19
	v_cmp_ne_u32_e32 vcc_lo, 1, v8
	v_fma_f32 v4, v18, s14, -v4
	v_add_co_u32 v6, s0, v6, v10
	v_fmac_f32_e32 v5, s15, v18
	v_add_co_ci_u32_e64 v7, null, v7, v11, s0
	s_cbranch_vccnz .LBB95_23
; %bb.22:
	global_load_dwordx2 v[10:11], v[6:7], off
	s_waitcnt vmcnt(0)
	v_mul_f32_e32 v12, s3, v11
	v_mul_f32_e32 v11, s2, v11
	v_fma_f32 v12, v10, s2, -v12
	v_fmac_f32_e32 v11, s3, v10
	v_add_f32_e32 v4, v4, v12
	v_add_f32_e32 v5, v5, v11
.LBB95_23:
	global_store_dwordx2 v[6:7], v[4:5], off
.LBB95_24:
	s_or_b32 exec_lo, exec_lo, s1
	v_add_nc_u32_e32 v9, 16, v9
	v_mad_i64_i32 v[4:5], null, v9, s6, 0
	v_cmp_gt_i32_e64 s0, s12, v9
	v_cmp_le_i32_e32 vcc_lo, v0, v9
	v_lshlrev_b64 v[4:5], 3, v[4:5]
	v_add_co_u32 v6, s1, s4, v4
	v_add_co_ci_u32_e64 v7, null, s5, v5, s1
	s_and_b32 s1, s0, vcc_lo
	s_and_saveexec_b32 s4, s1
	s_cbranch_execz .LBB95_28
; %bb.25:
	v_lshlrev_b64 v[0:1], 3, v[0:1]
	v_mul_f32_e32 v4, s15, v17
	v_mul_f32_e32 v5, s14, v17
	v_cmp_ne_u32_e32 vcc_lo, 1, v8
	v_fma_f32 v4, v16, s14, -v4
	v_add_co_u32 v0, s1, v6, v0
	v_fmac_f32_e32 v5, s15, v16
	v_add_co_ci_u32_e64 v1, null, v7, v1, s1
	s_cbranch_vccnz .LBB95_27
; %bb.26:
	global_load_dwordx2 v[10:11], v[0:1], off
	s_waitcnt vmcnt(0)
	v_mul_f32_e32 v12, s3, v11
	v_mul_f32_e32 v11, s2, v11
	v_fma_f32 v12, v10, s2, -v12
	v_fmac_f32_e32 v11, s3, v10
	v_add_f32_e32 v4, v4, v12
	v_add_f32_e32 v5, v5, v11
.LBB95_27:
	global_store_dwordx2 v[0:1], v[4:5], off
.LBB95_28:
	s_or_b32 exec_lo, exec_lo, s4
	v_cmp_le_i32_e32 vcc_lo, v2, v9
	s_and_b32 s0, s0, vcc_lo
	s_and_saveexec_b32 s1, s0
	s_cbranch_execz .LBB95_32
; %bb.29:
	v_lshlrev_b64 v[2:3], 3, v[2:3]
	v_mul_f32_e32 v0, s15, v15
	v_mul_f32_e32 v1, s14, v15
	v_cmp_ne_u32_e32 vcc_lo, 1, v8
	v_fma_f32 v0, v14, s14, -v0
	v_add_co_u32 v2, s0, v6, v2
	v_fmac_f32_e32 v1, s15, v14
	v_add_co_ci_u32_e64 v3, null, v7, v3, s0
	s_cbranch_vccnz .LBB95_31
; %bb.30:
	global_load_dwordx2 v[4:5], v[2:3], off
	s_waitcnt vmcnt(0)
	v_mul_f32_e32 v6, s3, v5
	v_mul_f32_e32 v5, s2, v5
	v_fma_f32 v6, v4, s2, -v6
	v_fmac_f32_e32 v5, s3, v4
	v_add_f32_e32 v0, v0, v6
	v_add_f32_e32 v1, v1, v5
.LBB95_31:
	global_store_dwordx2 v[2:3], v[0:1], off
.LBB95_32:
	s_endpgm
	.section	.rodata,"a",@progbits
	.p2align	6, 0x0
	.amdhsa_kernel _ZL29rocblas_internal_gemmt_kernelIiLi16ELi32ELi8ELc84ELc67ELc85ELb0ELb1E19rocblas_complex_numIfES1_PKS1_PS1_EviT_T9_T10_S5_lS7_S5_lS6_T11_S5_li
		.amdhsa_group_segment_fixed_size 4096
		.amdhsa_private_segment_fixed_size 0
		.amdhsa_kernarg_size 100
		.amdhsa_user_sgpr_count 6
		.amdhsa_user_sgpr_private_segment_buffer 1
		.amdhsa_user_sgpr_dispatch_ptr 0
		.amdhsa_user_sgpr_queue_ptr 0
		.amdhsa_user_sgpr_kernarg_segment_ptr 1
		.amdhsa_user_sgpr_dispatch_id 0
		.amdhsa_user_sgpr_flat_scratch_init 0
		.amdhsa_user_sgpr_private_segment_size 0
		.amdhsa_wavefront_size32 1
		.amdhsa_uses_dynamic_stack 0
		.amdhsa_system_sgpr_private_segment_wavefront_offset 0
		.amdhsa_system_sgpr_workgroup_id_x 1
		.amdhsa_system_sgpr_workgroup_id_y 1
		.amdhsa_system_sgpr_workgroup_id_z 1
		.amdhsa_system_sgpr_workgroup_info 0
		.amdhsa_system_vgpr_workitem_id 1
		.amdhsa_next_free_vgpr 59
		.amdhsa_next_free_sgpr 26
		.amdhsa_reserve_vcc 1
		.amdhsa_reserve_flat_scratch 0
		.amdhsa_float_round_mode_32 0
		.amdhsa_float_round_mode_16_64 0
		.amdhsa_float_denorm_mode_32 3
		.amdhsa_float_denorm_mode_16_64 3
		.amdhsa_dx10_clamp 1
		.amdhsa_ieee_mode 1
		.amdhsa_fp16_overflow 0
		.amdhsa_workgroup_processor_mode 1
		.amdhsa_memory_ordered 1
		.amdhsa_forward_progress 1
		.amdhsa_shared_vgpr_count 0
		.amdhsa_exception_fp_ieee_invalid_op 0
		.amdhsa_exception_fp_denorm_src 0
		.amdhsa_exception_fp_ieee_div_zero 0
		.amdhsa_exception_fp_ieee_overflow 0
		.amdhsa_exception_fp_ieee_underflow 0
		.amdhsa_exception_fp_ieee_inexact 0
		.amdhsa_exception_int_div_zero 0
	.end_amdhsa_kernel
	.section	.text._ZL29rocblas_internal_gemmt_kernelIiLi16ELi32ELi8ELc84ELc67ELc85ELb0ELb1E19rocblas_complex_numIfES1_PKS1_PS1_EviT_T9_T10_S5_lS7_S5_lS6_T11_S5_li,"axG",@progbits,_ZL29rocblas_internal_gemmt_kernelIiLi16ELi32ELi8ELc84ELc67ELc85ELb0ELb1E19rocblas_complex_numIfES1_PKS1_PS1_EviT_T9_T10_S5_lS7_S5_lS6_T11_S5_li,comdat
.Lfunc_end95:
	.size	_ZL29rocblas_internal_gemmt_kernelIiLi16ELi32ELi8ELc84ELc67ELc85ELb0ELb1E19rocblas_complex_numIfES1_PKS1_PS1_EviT_T9_T10_S5_lS7_S5_lS6_T11_S5_li, .Lfunc_end95-_ZL29rocblas_internal_gemmt_kernelIiLi16ELi32ELi8ELc84ELc67ELc85ELb0ELb1E19rocblas_complex_numIfES1_PKS1_PS1_EviT_T9_T10_S5_lS7_S5_lS6_T11_S5_li
                                        ; -- End function
	.set _ZL29rocblas_internal_gemmt_kernelIiLi16ELi32ELi8ELc84ELc67ELc85ELb0ELb1E19rocblas_complex_numIfES1_PKS1_PS1_EviT_T9_T10_S5_lS7_S5_lS6_T11_S5_li.num_vgpr, 59
	.set _ZL29rocblas_internal_gemmt_kernelIiLi16ELi32ELi8ELc84ELc67ELc85ELb0ELb1E19rocblas_complex_numIfES1_PKS1_PS1_EviT_T9_T10_S5_lS7_S5_lS6_T11_S5_li.num_agpr, 0
	.set _ZL29rocblas_internal_gemmt_kernelIiLi16ELi32ELi8ELc84ELc67ELc85ELb0ELb1E19rocblas_complex_numIfES1_PKS1_PS1_EviT_T9_T10_S5_lS7_S5_lS6_T11_S5_li.numbered_sgpr, 26
	.set _ZL29rocblas_internal_gemmt_kernelIiLi16ELi32ELi8ELc84ELc67ELc85ELb0ELb1E19rocblas_complex_numIfES1_PKS1_PS1_EviT_T9_T10_S5_lS7_S5_lS6_T11_S5_li.num_named_barrier, 0
	.set _ZL29rocblas_internal_gemmt_kernelIiLi16ELi32ELi8ELc84ELc67ELc85ELb0ELb1E19rocblas_complex_numIfES1_PKS1_PS1_EviT_T9_T10_S5_lS7_S5_lS6_T11_S5_li.private_seg_size, 0
	.set _ZL29rocblas_internal_gemmt_kernelIiLi16ELi32ELi8ELc84ELc67ELc85ELb0ELb1E19rocblas_complex_numIfES1_PKS1_PS1_EviT_T9_T10_S5_lS7_S5_lS6_T11_S5_li.uses_vcc, 1
	.set _ZL29rocblas_internal_gemmt_kernelIiLi16ELi32ELi8ELc84ELc67ELc85ELb0ELb1E19rocblas_complex_numIfES1_PKS1_PS1_EviT_T9_T10_S5_lS7_S5_lS6_T11_S5_li.uses_flat_scratch, 0
	.set _ZL29rocblas_internal_gemmt_kernelIiLi16ELi32ELi8ELc84ELc67ELc85ELb0ELb1E19rocblas_complex_numIfES1_PKS1_PS1_EviT_T9_T10_S5_lS7_S5_lS6_T11_S5_li.has_dyn_sized_stack, 0
	.set _ZL29rocblas_internal_gemmt_kernelIiLi16ELi32ELi8ELc84ELc67ELc85ELb0ELb1E19rocblas_complex_numIfES1_PKS1_PS1_EviT_T9_T10_S5_lS7_S5_lS6_T11_S5_li.has_recursion, 0
	.set _ZL29rocblas_internal_gemmt_kernelIiLi16ELi32ELi8ELc84ELc67ELc85ELb0ELb1E19rocblas_complex_numIfES1_PKS1_PS1_EviT_T9_T10_S5_lS7_S5_lS6_T11_S5_li.has_indirect_call, 0
	.section	.AMDGPU.csdata,"",@progbits
; Kernel info:
; codeLenInByte = 2552
; TotalNumSgprs: 28
; NumVgprs: 59
; ScratchSize: 0
; MemoryBound: 1
; FloatMode: 240
; IeeeMode: 1
; LDSByteSize: 4096 bytes/workgroup (compile time only)
; SGPRBlocks: 0
; VGPRBlocks: 7
; NumSGPRsForWavesPerEU: 28
; NumVGPRsForWavesPerEU: 59
; Occupancy: 16
; WaveLimiterHint : 0
; COMPUTE_PGM_RSRC2:SCRATCH_EN: 0
; COMPUTE_PGM_RSRC2:USER_SGPR: 6
; COMPUTE_PGM_RSRC2:TRAP_HANDLER: 0
; COMPUTE_PGM_RSRC2:TGID_X_EN: 1
; COMPUTE_PGM_RSRC2:TGID_Y_EN: 1
; COMPUTE_PGM_RSRC2:TGID_Z_EN: 1
; COMPUTE_PGM_RSRC2:TIDIG_COMP_CNT: 1
	.section	.text._ZL29rocblas_internal_gemmt_kernelIiLi16ELi32ELi8ELc67ELc78ELc85ELb1ELb0E19rocblas_complex_numIfES1_PKS1_PS1_EviT_T9_T10_S5_lS7_S5_lS6_T11_S5_li,"axG",@progbits,_ZL29rocblas_internal_gemmt_kernelIiLi16ELi32ELi8ELc67ELc78ELc85ELb1ELb0E19rocblas_complex_numIfES1_PKS1_PS1_EviT_T9_T10_S5_lS7_S5_lS6_T11_S5_li,comdat
	.globl	_ZL29rocblas_internal_gemmt_kernelIiLi16ELi32ELi8ELc67ELc78ELc85ELb1ELb0E19rocblas_complex_numIfES1_PKS1_PS1_EviT_T9_T10_S5_lS7_S5_lS6_T11_S5_li ; -- Begin function _ZL29rocblas_internal_gemmt_kernelIiLi16ELi32ELi8ELc67ELc78ELc85ELb1ELb0E19rocblas_complex_numIfES1_PKS1_PS1_EviT_T9_T10_S5_lS7_S5_lS6_T11_S5_li
	.p2align	8
	.type	_ZL29rocblas_internal_gemmt_kernelIiLi16ELi32ELi8ELc67ELc78ELc85ELb1ELb0E19rocblas_complex_numIfES1_PKS1_PS1_EviT_T9_T10_S5_lS7_S5_lS6_T11_S5_li,@function
_ZL29rocblas_internal_gemmt_kernelIiLi16ELi32ELi8ELc67ELc78ELc85ELb1ELb0E19rocblas_complex_numIfES1_PKS1_PS1_EviT_T9_T10_S5_lS7_S5_lS6_T11_S5_li: ; @_ZL29rocblas_internal_gemmt_kernelIiLi16ELi32ELi8ELc67ELc78ELc85ELb1ELb0E19rocblas_complex_numIfES1_PKS1_PS1_EviT_T9_T10_S5_lS7_S5_lS6_T11_S5_li
; %bb.0:
	s_clause 0x1
	s_load_dwordx2 s[2:3], s[4:5], 0x40
	s_load_dwordx4 s[12:15], s[4:5], 0x0
	s_waitcnt lgkmcnt(0)
	s_and_b32 s0, s3, 0x7fffffff
	v_cmp_eq_f32_e64 s1, s2, 1.0
	s_cmp_eq_u32 s0, 0
	s_mov_b32 s0, 0
	s_cselect_b32 s9, -1, 0
	s_and_b32 s1, s1, s9
	s_andn2_b32 vcc_lo, exec_lo, s1
	s_mov_b32 s1, -1
	s_cbranch_vccnz .LBB96_4
; %bb.1:
	s_cmp_lg_u32 s13, 0
	s_cbranch_scc0 .LBB96_3
; %bb.2:
	v_cmp_neq_f32_e64 s0, s14, 0
	v_cmp_neq_f32_e64 s1, s15, 0
	s_or_b32 s0, s0, s1
.LBB96_3:
	s_mov_b32 s1, s0
.LBB96_4:
	s_and_b32 vcc_lo, exec_lo, s1
	s_cbranch_vccz .LBB96_32
; %bb.5:
	v_cmp_eq_f32_e64 s0, s14, 0
	v_cmp_eq_f32_e64 s1, s15, 0
	s_lshl_b32 s6, s6, 5
	s_lshl_b32 s7, s7, 5
	v_mov_b32_e32 v20, 0
	v_mov_b32_e32 v21, 0
	s_and_b32 s0, s0, s1
	s_cmp_lt_i32 s13, 1
	v_mov_b32_e32 v18, 0
	s_cselect_b32 s1, -1, 0
	v_mov_b32_e32 v19, 0
	v_mov_b32_e32 v16, 0
	;; [unrolled: 1-line block ×5, first 2 shown]
	s_or_b32 s0, s0, s1
	s_mov_b32 s10, 0
	s_and_b32 vcc_lo, exec_lo, s0
	s_cbranch_vccnz .LBB96_16
; %bb.6:
	s_clause 0x1
	s_load_dword s0, s[4:5], 0x18
	s_load_dwordx2 s[20:21], s[4:5], 0x10
	v_lshl_add_u32 v2, v1, 4, v0
	s_clause 0x2
	s_load_dwordx4 s[16:19], s[4:5], 0x20
	s_load_dword s1, s[4:5], 0x30
	s_load_dwordx2 s[22:23], s[4:5], 0x38
	v_and_b32_e32 v8, 7, v0
	v_lshlrev_b32_e32 v9, 3, v0
	v_lshl_add_u32 v10, v1, 6, 0x800
	v_and_b32_e32 v4, 31, v2
	v_lshrrev_b32_e32 v3, 3, v2
	v_lshrrev_b32_e32 v11, 5, v2
	v_lshlrev_b32_e32 v6, 3, v8
	v_mov_b32_e32 v17, 0
	v_add_nc_u32_e32 v2, s6, v4
	v_add_nc_u32_e32 v5, s7, v3
	v_or_b32_e32 v7, s6, v4
	v_lshl_or_b32 v13, v3, 6, v6
	v_lshlrev_b32_e32 v4, 3, v4
	v_lshlrev_b32_e32 v15, 3, v11
	v_mov_b32_e32 v16, 0
	v_cmp_gt_i32_e32 vcc_lo, s12, v7
	s_waitcnt lgkmcnt(0)
	v_mad_i64_i32 v[2:3], null, s0, v2, 0
	v_lshl_or_b32 v12, v11, 8, v4
	v_cmp_gt_i32_e64 s0, s12, v5
	s_mul_i32 s11, s17, s8
	s_mul_hi_u32 s17, s16, s8
	v_mad_i64_i32 v[4:5], null, s1, v5, 0
	v_lshlrev_b64 v[2:3], 3, v[2:3]
	s_mul_i32 s16, s16, s8
	s_add_i32 s17, s17, s11
	s_mul_hi_u32 s11, s22, s8
	s_lshl_b64 s[16:17], s[16:17], 3
	v_add_nc_u32_e32 v13, 0x800, v13
	v_add_co_u32 v7, s1, v2, s16
	v_add_co_ci_u32_e64 v14, null, s17, v3, s1
	s_mul_i32 s1, s23, s8
	v_lshlrev_b64 v[3:4], 3, v[4:5]
	s_add_i32 s17, s11, s1
	s_mul_i32 s16, s22, s8
	v_add_co_u32 v5, s1, v7, v15
	s_lshl_b64 s[16:17], s[16:17], 3
	v_add_co_ci_u32_e64 v7, null, 0, v14, s1
	v_add_co_u32 v3, s1, v3, s16
	v_add_co_ci_u32_e64 v4, null, s17, v4, s1
	v_add_co_u32 v5, s1, s20, v5
	;; [unrolled: 2-line block ×5, first 2 shown]
	v_mov_b32_e32 v2, 0
	v_add_co_ci_u32_e64 v7, null, s19, v14, s1
	v_mov_b32_e32 v15, 0
	v_mov_b32_e32 v14, 0
	v_mov_b32_e32 v19, 0
	v_mov_b32_e32 v18, 0
	v_mov_b32_e32 v21, 0
	v_mov_b32_e32 v20, 0
	s_xor_b32 s1, vcc_lo, -1
	s_xor_b32 s0, s0, -1
	s_branch .LBB96_8
.LBB96_7:                               ;   in Loop: Header=BB96_8 Depth=1
	s_or_b32 exec_lo, exec_lo, s11
	s_waitcnt lgkmcnt(0)
	s_barrier
	buffer_gl0_inv
	ds_read_b128 v[22:25], v10
	ds_read2_b64 v[26:29], v9 offset1:16
	ds_read_b128 v[30:33], v10 offset:1024
	ds_read_b128 v[34:37], v10 offset:16
	;; [unrolled: 1-line block ×4, first 2 shown]
	ds_read2_b64 v[46:49], v9 offset0:32 offset1:48
	ds_read_b128 v[50:53], v10 offset:1040
	v_add_co_u32 v4, vcc_lo, v4, 64
	v_add_co_ci_u32_e64 v5, null, 0, v5, vcc_lo
	v_add_co_u32 v6, vcc_lo, v6, 64
	v_add_co_ci_u32_e64 v7, null, 0, v7, vcc_lo
	s_add_i32 s10, s10, 8
	s_cmp_lt_i32 s10, s13
	s_waitcnt lgkmcnt(6)
	v_mul_f32_e32 v3, v23, v27
	v_mul_f32_e32 v54, v22, v27
	;; [unrolled: 1-line block ×4, first 2 shown]
	s_waitcnt lgkmcnt(5)
	v_mul_f32_e32 v57, v31, v27
	v_mul_f32_e32 v27, v30, v27
	;; [unrolled: 1-line block ×3, first 2 shown]
	v_fma_f32 v3, v22, v26, -v3
	v_fmac_f32_e32 v54, v23, v26
	v_fma_f32 v22, v22, v28, -v55
	v_fmac_f32_e32 v56, v23, v28
	;; [unrolled: 2-line block ×3, first 2 shown]
	v_mul_f32_e32 v29, v30, v29
	v_fma_f32 v26, v30, v28, -v58
	v_add_f32_e32 v3, v20, v3
	v_add_f32_e32 v20, v21, v54
	;; [unrolled: 1-line block ×6, first 2 shown]
	s_waitcnt lgkmcnt(1)
	v_mul_f32_e32 v30, v25, v47
	ds_read2_b64 v[16:19], v9 offset0:64 offset1:80
	v_fmac_f32_e32 v29, v31, v28
	v_add_f32_e32 v14, v14, v26
	v_mul_f32_e32 v26, v24, v47
	v_fma_f32 v28, v24, v46, -v30
	v_mul_f32_e32 v30, v25, v49
	v_add_f32_e32 v15, v15, v29
	v_mul_f32_e32 v29, v24, v49
	v_fmac_f32_e32 v26, v25, v46
	v_add_f32_e32 v3, v3, v28
	v_fma_f32 v24, v24, v48, -v30
	v_mul_f32_e32 v28, v33, v47
	v_fmac_f32_e32 v29, v25, v48
	v_add_f32_e32 v26, v20, v26
	v_mul_f32_e32 v20, v32, v47
	v_add_f32_e32 v24, v21, v24
	v_fma_f32 v21, v32, v46, -v28
	v_mul_f32_e32 v25, v33, v49
	v_add_f32_e32 v28, v22, v29
	v_fmac_f32_e32 v20, v33, v46
	v_mul_f32_e32 v29, v32, v49
	v_add_f32_e32 v30, v23, v21
	v_fma_f32 v21, v32, v48, -v25
	s_waitcnt lgkmcnt(0)
	v_mul_f32_e32 v22, v35, v17
	v_add_f32_e32 v25, v27, v20
	v_fmac_f32_e32 v29, v33, v48
	v_mul_f32_e32 v27, v34, v17
	v_add_f32_e32 v14, v14, v21
	v_fma_f32 v31, v34, v16, -v22
	v_mul_f32_e32 v32, v35, v19
	ds_read2_b64 v[20:23], v9 offset0:96 offset1:112
	v_fmac_f32_e32 v27, v35, v16
	v_add_f32_e32 v29, v15, v29
	v_add_f32_e32 v3, v3, v31
	v_mul_f32_e32 v15, v34, v19
	v_fma_f32 v31, v34, v18, -v32
	v_add_f32_e32 v26, v26, v27
	v_mul_f32_e32 v27, v51, v17
	v_mul_f32_e32 v17, v50, v17
	v_fmac_f32_e32 v15, v35, v18
	v_add_f32_e32 v24, v24, v31
	v_mul_f32_e32 v31, v51, v19
	v_mul_f32_e32 v19, v50, v19
	v_fmac_f32_e32 v17, v51, v16
	v_add_f32_e32 v28, v28, v15
	v_fma_f32 v27, v50, v16, -v27
	v_fma_f32 v15, v50, v18, -v31
	v_fmac_f32_e32 v19, v51, v18
	v_add_f32_e32 v31, v25, v17
	s_waitcnt lgkmcnt(0)
	v_mul_f32_e32 v18, v37, v21
	v_add_f32_e32 v32, v14, v15
	ds_read2_b64 v[14:17], v9 offset0:128 offset1:144
	v_add_f32_e32 v30, v30, v27
	v_mul_f32_e32 v25, v36, v21
	v_fma_f32 v18, v36, v20, -v18
	v_mul_f32_e32 v27, v37, v23
	v_add_f32_e32 v29, v29, v19
	v_mul_f32_e32 v19, v36, v23
	v_fmac_f32_e32 v25, v37, v20
	v_add_f32_e32 v3, v3, v18
	v_mul_f32_e32 v18, v53, v21
	v_fma_f32 v27, v36, v22, -v27
	v_fmac_f32_e32 v19, v37, v22
	v_mul_f32_e32 v21, v52, v21
	v_mul_f32_e32 v35, v53, v23
	v_fma_f32 v18, v52, v20, -v18
	v_add_f32_e32 v33, v26, v25
	v_add_f32_e32 v34, v24, v27
	ds_read_b128 v[24:27], v10 offset:1056
	v_add_f32_e32 v36, v28, v19
	v_fmac_f32_e32 v21, v53, v20
	v_mul_f32_e32 v23, v52, v23
	v_fma_f32 v19, v52, v22, -v35
	v_add_f32_e32 v35, v30, v18
	s_waitcnt lgkmcnt(1)
	v_mul_f32_e32 v18, v39, v15
	v_add_f32_e32 v37, v31, v21
	v_fmac_f32_e32 v23, v53, v22
	v_add_f32_e32 v22, v32, v19
	v_mul_f32_e32 v32, v38, v15
	v_fma_f32 v28, v38, v14, -v18
	ds_read2_b64 v[18:21], v9 offset0:160 offset1:176
	v_mul_f32_e32 v30, v39, v17
	v_mul_f32_e32 v46, v38, v17
	v_fmac_f32_e32 v32, v39, v14
	v_add_f32_e32 v23, v29, v23
	v_add_f32_e32 v3, v3, v28
	v_fma_f32 v38, v38, v16, -v30
	ds_read_b128 v[28:31], v10 offset:1072
	s_waitcnt lgkmcnt(2)
	v_mul_f32_e32 v47, v25, v15
	v_add_f32_e32 v32, v33, v32
	v_mul_f32_e32 v15, v24, v15
	v_add_f32_e32 v33, v34, v38
	v_mul_f32_e32 v38, v25, v17
	v_fmac_f32_e32 v46, v39, v16
	v_fma_f32 v34, v24, v14, -v47
	v_fmac_f32_e32 v15, v25, v14
	v_mul_f32_e32 v39, v24, v17
	v_fma_f32 v14, v24, v16, -v38
	v_add_f32_e32 v36, v36, v46
	v_add_f32_e32 v34, v35, v34
	s_waitcnt lgkmcnt(1)
	v_mul_f32_e32 v17, v41, v19
	v_add_f32_e32 v24, v37, v15
	v_fmac_f32_e32 v39, v25, v16
	v_mul_f32_e32 v25, v40, v19
	v_add_f32_e32 v22, v22, v14
	v_fma_f32 v35, v40, v18, -v17
	ds_read2_b64 v[14:17], v9 offset0:192 offset1:208
	v_mul_f32_e32 v37, v41, v21
	v_fmac_f32_e32 v25, v41, v18
	v_add_f32_e32 v38, v23, v39
	v_add_f32_e32 v3, v3, v35
	v_mul_f32_e32 v23, v40, v21
	v_fma_f32 v35, v40, v20, -v37
	v_add_f32_e32 v32, v32, v25
	v_mul_f32_e32 v25, v27, v19
	v_mul_f32_e32 v19, v26, v19
	v_fmac_f32_e32 v23, v41, v20
	v_add_f32_e32 v33, v33, v35
	v_mul_f32_e32 v35, v27, v21
	v_fma_f32 v25, v26, v18, -v25
	v_fmac_f32_e32 v19, v27, v18
	v_add_f32_e32 v18, v36, v23
	v_mul_f32_e32 v21, v26, v21
	v_fma_f32 v23, v26, v20, -v35
	v_add_f32_e32 v26, v34, v25
	v_add_f32_e32 v19, v24, v19
	s_waitcnt lgkmcnt(0)
	v_mul_f32_e32 v34, v43, v15
	v_fmac_f32_e32 v21, v27, v20
	v_add_f32_e32 v20, v22, v23
	ds_read2_b64 v[22:25], v9 offset0:224 offset1:240
	v_mul_f32_e32 v27, v42, v15
	v_fma_f32 v34, v42, v14, -v34
	v_mul_f32_e32 v35, v43, v17
	v_mul_f32_e32 v36, v42, v17
	v_add_f32_e32 v21, v38, v21
	v_fmac_f32_e32 v27, v43, v14
	v_add_f32_e32 v3, v3, v34
	v_mul_f32_e32 v34, v29, v15
	v_fma_f32 v35, v42, v16, -v35
	v_fmac_f32_e32 v36, v43, v16
	v_add_f32_e32 v27, v32, v27
	v_mul_f32_e32 v15, v28, v15
	v_fma_f32 v32, v28, v14, -v34
	v_mul_f32_e32 v34, v29, v17
	v_add_f32_e32 v33, v33, v35
	v_add_f32_e32 v35, v18, v36
	v_fmac_f32_e32 v15, v29, v14
	v_add_f32_e32 v14, v26, v32
	v_mul_f32_e32 v17, v28, v17
	v_fma_f32 v18, v28, v16, -v34
	s_waitcnt lgkmcnt(0)
	v_mul_f32_e32 v26, v45, v23
	v_mul_f32_e32 v28, v44, v23
	v_add_f32_e32 v15, v19, v15
	v_fmac_f32_e32 v17, v29, v16
	v_add_f32_e32 v29, v20, v18
	v_fma_f32 v16, v44, v22, -v26
	v_mul_f32_e32 v18, v45, v25
	v_mul_f32_e32 v19, v44, v25
	v_add_f32_e32 v26, v21, v17
	v_mul_f32_e32 v17, v30, v23
	v_add_f32_e32 v20, v3, v16
	v_fma_f32 v3, v44, v24, -v18
	v_mul_f32_e32 v16, v31, v23
	v_mul_f32_e32 v23, v31, v25
	;; [unrolled: 1-line block ×3, first 2 shown]
	v_fmac_f32_e32 v28, v45, v22
	v_fmac_f32_e32 v19, v45, v24
	v_add_f32_e32 v18, v33, v3
	v_fma_f32 v3, v30, v22, -v16
	v_fmac_f32_e32 v17, v31, v22
	v_fma_f32 v22, v30, v24, -v23
	v_fmac_f32_e32 v25, v31, v24
	v_add_f32_e32 v21, v27, v28
	v_add_f32_e32 v19, v35, v19
	;; [unrolled: 1-line block ×6, first 2 shown]
	s_barrier
	buffer_gl0_inv
	s_cbranch_scc0 .LBB96_16
.LBB96_8:                               ; =>This Inner Loop Header: Depth=1
	v_add_nc_u32_e32 v3, s10, v11
	v_cmp_le_i32_e32 vcc_lo, s13, v3
	s_or_b32 s11, s1, vcc_lo
	s_and_saveexec_b32 s16, s11
	s_xor_b32 s11, exec_lo, s16
; %bb.9:                                ;   in Loop: Header=BB96_8 Depth=1
	ds_write_b32 v12, v2
; %bb.10:                               ;   in Loop: Header=BB96_8 Depth=1
	s_or_saveexec_b32 s11, s11
	v_mov_b32_e32 v3, 0
	s_xor_b32 exec_lo, exec_lo, s11
	s_cbranch_execz .LBB96_12
; %bb.11:                               ;   in Loop: Header=BB96_8 Depth=1
	global_load_dwordx2 v[22:23], v[4:5], off offset:-4
	s_waitcnt vmcnt(0)
	v_xor_b32_e32 v3, 0x80000000, v23
	ds_write_b32 v12, v22
.LBB96_12:                              ;   in Loop: Header=BB96_8 Depth=1
	s_or_b32 exec_lo, exec_lo, s11
	v_add_nc_u32_e32 v22, s10, v8
	ds_write_b32 v12, v3 offset:4
	v_cmp_le_i32_e32 vcc_lo, s13, v22
	s_or_b32 s11, vcc_lo, s0
	s_and_saveexec_b32 s16, s11
	s_xor_b32 s11, exec_lo, s16
; %bb.13:                               ;   in Loop: Header=BB96_8 Depth=1
	v_mov_b32_e32 v3, v2
	ds_write_b64 v13, v[2:3]
; %bb.14:                               ;   in Loop: Header=BB96_8 Depth=1
	s_andn2_saveexec_b32 s11, s11
	s_cbranch_execz .LBB96_7
; %bb.15:                               ;   in Loop: Header=BB96_8 Depth=1
	global_load_dwordx2 v[22:23], v[6:7], off
	s_waitcnt vmcnt(0)
	ds_write_b64 v13, v[22:23]
	s_branch .LBB96_7
.LBB96_16:
	s_clause 0x2
	s_load_dword s10, s[4:5], 0x50
	s_load_dwordx2 s[16:17], s[4:5], 0x58
	s_load_dwordx2 s[4:5], s[4:5], 0x48
	v_add_nc_u32_e32 v9, s7, v1
	v_add_nc_u32_e32 v0, s6, v0
	v_cmp_neq_f32_e64 s11, s2, 0
	v_cmp_gt_i32_e64 s0, s12, v9
	v_cmp_le_i32_e32 vcc_lo, v0, v9
	s_waitcnt lgkmcnt(0)
	v_mad_i64_i32 v[1:2], null, v9, s10, 0
	s_mul_i32 s1, s17, s8
	s_mul_hi_u32 s7, s16, s8
	s_mul_i32 s6, s16, s8
	s_add_i32 s7, s7, s1
	s_lshl_b64 s[6:7], s[6:7], 3
	v_lshlrev_b64 v[2:3], 3, v[1:2]
	s_add_u32 s4, s4, s6
	s_addc_u32 s5, s5, s7
	s_xor_b32 s6, s9, -1
	v_ashrrev_i32_e32 v1, 31, v0
	s_or_b32 s6, s11, s6
	v_add_co_u32 v6, s1, s4, v2
	v_add_co_ci_u32_e64 v7, null, s5, v3, s1
	v_cndmask_b32_e64 v8, 0, 1, s6
	s_and_b32 s7, s0, vcc_lo
	s_and_saveexec_b32 s1, s7
	s_cbranch_execz .LBB96_20
; %bb.17:
	v_lshlrev_b64 v[4:5], 3, v[0:1]
	v_mul_f32_e32 v2, s15, v21
	v_mul_f32_e32 v3, s14, v21
	v_fma_f32 v2, v20, s14, -v2
	v_add_co_u32 v4, vcc_lo, v6, v4
	v_fmac_f32_e32 v3, s15, v20
	v_add_co_ci_u32_e64 v5, null, v7, v5, vcc_lo
	s_andn2_b32 vcc_lo, exec_lo, s6
	s_cbranch_vccnz .LBB96_19
; %bb.18:
	global_load_dwordx2 v[10:11], v[4:5], off
	s_waitcnt vmcnt(0)
	v_mul_f32_e32 v12, s3, v11
	v_mul_f32_e32 v11, s2, v11
	v_fma_f32 v12, v10, s2, -v12
	v_fmac_f32_e32 v11, s3, v10
	v_add_f32_e32 v2, v2, v12
	v_add_f32_e32 v3, v3, v11
.LBB96_19:
	global_store_dwordx2 v[4:5], v[2:3], off
.LBB96_20:
	s_or_b32 exec_lo, exec_lo, s1
	v_add_nc_u32_e32 v2, 16, v0
	v_cmp_le_i32_e32 vcc_lo, v2, v9
	v_ashrrev_i32_e32 v3, 31, v2
	s_and_b32 s0, s0, vcc_lo
	s_and_saveexec_b32 s1, s0
	s_cbranch_execz .LBB96_24
; %bb.21:
	v_lshlrev_b64 v[10:11], 3, v[2:3]
	v_mul_f32_e32 v4, s15, v19
	v_mul_f32_e32 v5, s14, v19
	v_cmp_ne_u32_e32 vcc_lo, 1, v8
	v_fma_f32 v4, v18, s14, -v4
	v_add_co_u32 v6, s0, v6, v10
	v_fmac_f32_e32 v5, s15, v18
	v_add_co_ci_u32_e64 v7, null, v7, v11, s0
	s_cbranch_vccnz .LBB96_23
; %bb.22:
	global_load_dwordx2 v[10:11], v[6:7], off
	s_waitcnt vmcnt(0)
	v_mul_f32_e32 v12, s3, v11
	v_mul_f32_e32 v11, s2, v11
	v_fma_f32 v12, v10, s2, -v12
	v_fmac_f32_e32 v11, s3, v10
	v_add_f32_e32 v4, v4, v12
	v_add_f32_e32 v5, v5, v11
.LBB96_23:
	global_store_dwordx2 v[6:7], v[4:5], off
.LBB96_24:
	s_or_b32 exec_lo, exec_lo, s1
	v_add_nc_u32_e32 v9, 16, v9
	v_mad_i64_i32 v[4:5], null, v9, s10, 0
	v_cmp_gt_i32_e64 s0, s12, v9
	v_cmp_le_i32_e32 vcc_lo, v0, v9
	v_lshlrev_b64 v[4:5], 3, v[4:5]
	v_add_co_u32 v6, s1, s4, v4
	v_add_co_ci_u32_e64 v7, null, s5, v5, s1
	s_and_b32 s1, s0, vcc_lo
	s_and_saveexec_b32 s4, s1
	s_cbranch_execz .LBB96_28
; %bb.25:
	v_lshlrev_b64 v[0:1], 3, v[0:1]
	v_mul_f32_e32 v4, s15, v17
	v_mul_f32_e32 v5, s14, v17
	v_cmp_ne_u32_e32 vcc_lo, 1, v8
	v_fma_f32 v4, v16, s14, -v4
	v_add_co_u32 v0, s1, v6, v0
	v_fmac_f32_e32 v5, s15, v16
	v_add_co_ci_u32_e64 v1, null, v7, v1, s1
	s_cbranch_vccnz .LBB96_27
; %bb.26:
	global_load_dwordx2 v[10:11], v[0:1], off
	s_waitcnt vmcnt(0)
	v_mul_f32_e32 v12, s3, v11
	v_mul_f32_e32 v11, s2, v11
	v_fma_f32 v12, v10, s2, -v12
	v_fmac_f32_e32 v11, s3, v10
	v_add_f32_e32 v4, v4, v12
	v_add_f32_e32 v5, v5, v11
.LBB96_27:
	global_store_dwordx2 v[0:1], v[4:5], off
.LBB96_28:
	s_or_b32 exec_lo, exec_lo, s4
	v_cmp_le_i32_e32 vcc_lo, v2, v9
	s_and_b32 s0, s0, vcc_lo
	s_and_saveexec_b32 s1, s0
	s_cbranch_execz .LBB96_32
; %bb.29:
	v_lshlrev_b64 v[2:3], 3, v[2:3]
	v_mul_f32_e32 v0, s15, v15
	v_mul_f32_e32 v1, s14, v15
	v_cmp_ne_u32_e32 vcc_lo, 1, v8
	v_fma_f32 v0, v14, s14, -v0
	v_add_co_u32 v2, s0, v6, v2
	v_fmac_f32_e32 v1, s15, v14
	v_add_co_ci_u32_e64 v3, null, v7, v3, s0
	s_cbranch_vccnz .LBB96_31
; %bb.30:
	global_load_dwordx2 v[4:5], v[2:3], off
	s_waitcnt vmcnt(0)
	v_mul_f32_e32 v6, s3, v5
	v_mul_f32_e32 v5, s2, v5
	v_fma_f32 v6, v4, s2, -v6
	v_fmac_f32_e32 v5, s3, v4
	v_add_f32_e32 v0, v0, v6
	v_add_f32_e32 v1, v1, v5
.LBB96_31:
	global_store_dwordx2 v[2:3], v[0:1], off
.LBB96_32:
	s_endpgm
	.section	.rodata,"a",@progbits
	.p2align	6, 0x0
	.amdhsa_kernel _ZL29rocblas_internal_gemmt_kernelIiLi16ELi32ELi8ELc67ELc78ELc85ELb1ELb0E19rocblas_complex_numIfES1_PKS1_PS1_EviT_T9_T10_S5_lS7_S5_lS6_T11_S5_li
		.amdhsa_group_segment_fixed_size 4096
		.amdhsa_private_segment_fixed_size 0
		.amdhsa_kernarg_size 100
		.amdhsa_user_sgpr_count 6
		.amdhsa_user_sgpr_private_segment_buffer 1
		.amdhsa_user_sgpr_dispatch_ptr 0
		.amdhsa_user_sgpr_queue_ptr 0
		.amdhsa_user_sgpr_kernarg_segment_ptr 1
		.amdhsa_user_sgpr_dispatch_id 0
		.amdhsa_user_sgpr_flat_scratch_init 0
		.amdhsa_user_sgpr_private_segment_size 0
		.amdhsa_wavefront_size32 1
		.amdhsa_uses_dynamic_stack 0
		.amdhsa_system_sgpr_private_segment_wavefront_offset 0
		.amdhsa_system_sgpr_workgroup_id_x 1
		.amdhsa_system_sgpr_workgroup_id_y 1
		.amdhsa_system_sgpr_workgroup_id_z 1
		.amdhsa_system_sgpr_workgroup_info 0
		.amdhsa_system_vgpr_workitem_id 1
		.amdhsa_next_free_vgpr 59
		.amdhsa_next_free_sgpr 24
		.amdhsa_reserve_vcc 1
		.amdhsa_reserve_flat_scratch 0
		.amdhsa_float_round_mode_32 0
		.amdhsa_float_round_mode_16_64 0
		.amdhsa_float_denorm_mode_32 3
		.amdhsa_float_denorm_mode_16_64 3
		.amdhsa_dx10_clamp 1
		.amdhsa_ieee_mode 1
		.amdhsa_fp16_overflow 0
		.amdhsa_workgroup_processor_mode 1
		.amdhsa_memory_ordered 1
		.amdhsa_forward_progress 1
		.amdhsa_shared_vgpr_count 0
		.amdhsa_exception_fp_ieee_invalid_op 0
		.amdhsa_exception_fp_denorm_src 0
		.amdhsa_exception_fp_ieee_div_zero 0
		.amdhsa_exception_fp_ieee_overflow 0
		.amdhsa_exception_fp_ieee_underflow 0
		.amdhsa_exception_fp_ieee_inexact 0
		.amdhsa_exception_int_div_zero 0
	.end_amdhsa_kernel
	.section	.text._ZL29rocblas_internal_gemmt_kernelIiLi16ELi32ELi8ELc67ELc78ELc85ELb1ELb0E19rocblas_complex_numIfES1_PKS1_PS1_EviT_T9_T10_S5_lS7_S5_lS6_T11_S5_li,"axG",@progbits,_ZL29rocblas_internal_gemmt_kernelIiLi16ELi32ELi8ELc67ELc78ELc85ELb1ELb0E19rocblas_complex_numIfES1_PKS1_PS1_EviT_T9_T10_S5_lS7_S5_lS6_T11_S5_li,comdat
.Lfunc_end96:
	.size	_ZL29rocblas_internal_gemmt_kernelIiLi16ELi32ELi8ELc67ELc78ELc85ELb1ELb0E19rocblas_complex_numIfES1_PKS1_PS1_EviT_T9_T10_S5_lS7_S5_lS6_T11_S5_li, .Lfunc_end96-_ZL29rocblas_internal_gemmt_kernelIiLi16ELi32ELi8ELc67ELc78ELc85ELb1ELb0E19rocblas_complex_numIfES1_PKS1_PS1_EviT_T9_T10_S5_lS7_S5_lS6_T11_S5_li
                                        ; -- End function
	.set _ZL29rocblas_internal_gemmt_kernelIiLi16ELi32ELi8ELc67ELc78ELc85ELb1ELb0E19rocblas_complex_numIfES1_PKS1_PS1_EviT_T9_T10_S5_lS7_S5_lS6_T11_S5_li.num_vgpr, 59
	.set _ZL29rocblas_internal_gemmt_kernelIiLi16ELi32ELi8ELc67ELc78ELc85ELb1ELb0E19rocblas_complex_numIfES1_PKS1_PS1_EviT_T9_T10_S5_lS7_S5_lS6_T11_S5_li.num_agpr, 0
	.set _ZL29rocblas_internal_gemmt_kernelIiLi16ELi32ELi8ELc67ELc78ELc85ELb1ELb0E19rocblas_complex_numIfES1_PKS1_PS1_EviT_T9_T10_S5_lS7_S5_lS6_T11_S5_li.numbered_sgpr, 24
	.set _ZL29rocblas_internal_gemmt_kernelIiLi16ELi32ELi8ELc67ELc78ELc85ELb1ELb0E19rocblas_complex_numIfES1_PKS1_PS1_EviT_T9_T10_S5_lS7_S5_lS6_T11_S5_li.num_named_barrier, 0
	.set _ZL29rocblas_internal_gemmt_kernelIiLi16ELi32ELi8ELc67ELc78ELc85ELb1ELb0E19rocblas_complex_numIfES1_PKS1_PS1_EviT_T9_T10_S5_lS7_S5_lS6_T11_S5_li.private_seg_size, 0
	.set _ZL29rocblas_internal_gemmt_kernelIiLi16ELi32ELi8ELc67ELc78ELc85ELb1ELb0E19rocblas_complex_numIfES1_PKS1_PS1_EviT_T9_T10_S5_lS7_S5_lS6_T11_S5_li.uses_vcc, 1
	.set _ZL29rocblas_internal_gemmt_kernelIiLi16ELi32ELi8ELc67ELc78ELc85ELb1ELb0E19rocblas_complex_numIfES1_PKS1_PS1_EviT_T9_T10_S5_lS7_S5_lS6_T11_S5_li.uses_flat_scratch, 0
	.set _ZL29rocblas_internal_gemmt_kernelIiLi16ELi32ELi8ELc67ELc78ELc85ELb1ELb0E19rocblas_complex_numIfES1_PKS1_PS1_EviT_T9_T10_S5_lS7_S5_lS6_T11_S5_li.has_dyn_sized_stack, 0
	.set _ZL29rocblas_internal_gemmt_kernelIiLi16ELi32ELi8ELc67ELc78ELc85ELb1ELb0E19rocblas_complex_numIfES1_PKS1_PS1_EviT_T9_T10_S5_lS7_S5_lS6_T11_S5_li.has_recursion, 0
	.set _ZL29rocblas_internal_gemmt_kernelIiLi16ELi32ELi8ELc67ELc78ELc85ELb1ELb0E19rocblas_complex_numIfES1_PKS1_PS1_EviT_T9_T10_S5_lS7_S5_lS6_T11_S5_li.has_indirect_call, 0
	.section	.AMDGPU.csdata,"",@progbits
; Kernel info:
; codeLenInByte = 2532
; TotalNumSgprs: 26
; NumVgprs: 59
; ScratchSize: 0
; MemoryBound: 1
; FloatMode: 240
; IeeeMode: 1
; LDSByteSize: 4096 bytes/workgroup (compile time only)
; SGPRBlocks: 0
; VGPRBlocks: 7
; NumSGPRsForWavesPerEU: 26
; NumVGPRsForWavesPerEU: 59
; Occupancy: 16
; WaveLimiterHint : 0
; COMPUTE_PGM_RSRC2:SCRATCH_EN: 0
; COMPUTE_PGM_RSRC2:USER_SGPR: 6
; COMPUTE_PGM_RSRC2:TRAP_HANDLER: 0
; COMPUTE_PGM_RSRC2:TGID_X_EN: 1
; COMPUTE_PGM_RSRC2:TGID_Y_EN: 1
; COMPUTE_PGM_RSRC2:TGID_Z_EN: 1
; COMPUTE_PGM_RSRC2:TIDIG_COMP_CNT: 1
	.section	.text._ZL29rocblas_internal_gemmt_kernelIiLi16ELi32ELi8ELc67ELc84ELc85ELb1ELb0E19rocblas_complex_numIfES1_PKS1_PS1_EviT_T9_T10_S5_lS7_S5_lS6_T11_S5_li,"axG",@progbits,_ZL29rocblas_internal_gemmt_kernelIiLi16ELi32ELi8ELc67ELc84ELc85ELb1ELb0E19rocblas_complex_numIfES1_PKS1_PS1_EviT_T9_T10_S5_lS7_S5_lS6_T11_S5_li,comdat
	.globl	_ZL29rocblas_internal_gemmt_kernelIiLi16ELi32ELi8ELc67ELc84ELc85ELb1ELb0E19rocblas_complex_numIfES1_PKS1_PS1_EviT_T9_T10_S5_lS7_S5_lS6_T11_S5_li ; -- Begin function _ZL29rocblas_internal_gemmt_kernelIiLi16ELi32ELi8ELc67ELc84ELc85ELb1ELb0E19rocblas_complex_numIfES1_PKS1_PS1_EviT_T9_T10_S5_lS7_S5_lS6_T11_S5_li
	.p2align	8
	.type	_ZL29rocblas_internal_gemmt_kernelIiLi16ELi32ELi8ELc67ELc84ELc85ELb1ELb0E19rocblas_complex_numIfES1_PKS1_PS1_EviT_T9_T10_S5_lS7_S5_lS6_T11_S5_li,@function
_ZL29rocblas_internal_gemmt_kernelIiLi16ELi32ELi8ELc67ELc84ELc85ELb1ELb0E19rocblas_complex_numIfES1_PKS1_PS1_EviT_T9_T10_S5_lS7_S5_lS6_T11_S5_li: ; @_ZL29rocblas_internal_gemmt_kernelIiLi16ELi32ELi8ELc67ELc84ELc85ELb1ELb0E19rocblas_complex_numIfES1_PKS1_PS1_EviT_T9_T10_S5_lS7_S5_lS6_T11_S5_li
; %bb.0:
	s_clause 0x1
	s_load_dwordx2 s[2:3], s[4:5], 0x40
	s_load_dwordx4 s[12:15], s[4:5], 0x0
	s_waitcnt lgkmcnt(0)
	s_and_b32 s0, s3, 0x7fffffff
	v_cmp_eq_f32_e64 s1, s2, 1.0
	s_cmp_eq_u32 s0, 0
	s_mov_b32 s0, 0
	s_cselect_b32 s9, -1, 0
	s_and_b32 s1, s1, s9
	s_andn2_b32 vcc_lo, exec_lo, s1
	s_mov_b32 s1, -1
	s_cbranch_vccnz .LBB97_4
; %bb.1:
	s_cmp_lg_u32 s13, 0
	s_cbranch_scc0 .LBB97_3
; %bb.2:
	v_cmp_neq_f32_e64 s0, s14, 0
	v_cmp_neq_f32_e64 s1, s15, 0
	s_or_b32 s0, s0, s1
.LBB97_3:
	s_mov_b32 s1, s0
.LBB97_4:
	s_and_b32 vcc_lo, exec_lo, s1
	s_cbranch_vccz .LBB97_32
; %bb.5:
	v_cmp_eq_f32_e64 s0, s14, 0
	v_cmp_eq_f32_e64 s1, s15, 0
	s_lshl_b32 s10, s6, 5
	s_lshl_b32 s11, s7, 5
	v_mov_b32_e32 v20, 0
	v_mov_b32_e32 v21, 0
	s_and_b32 s0, s0, s1
	s_cmp_lt_i32 s13, 1
	v_mov_b32_e32 v18, 0
	s_cselect_b32 s1, -1, 0
	v_mov_b32_e32 v19, 0
	v_mov_b32_e32 v16, 0
	;; [unrolled: 1-line block ×5, first 2 shown]
	s_or_b32 s0, s0, s1
	s_mov_b32 s20, 0
	s_and_b32 vcc_lo, exec_lo, s0
	s_cbranch_vccnz .LBB97_16
; %bb.6:
	s_clause 0x1
	s_load_dword s0, s[4:5], 0x18
	s_load_dwordx2 s[22:23], s[4:5], 0x10
	v_lshl_add_u32 v2, v1, 4, v0
	s_clause 0x2
	s_load_dwordx4 s[16:19], s[4:5], 0x20
	s_load_dword s6, s[4:5], 0x30
	s_load_dwordx2 s[24:25], s[4:5], 0x38
	v_and_b32_e32 v8, 7, v0
	v_lshlrev_b32_e32 v9, 3, v0
	v_lshl_add_u32 v13, v1, 6, 0x800
	v_and_b32_e32 v4, 31, v2
	v_lshrrev_b32_e32 v5, 3, v2
	v_lshrrev_b32_e32 v10, 5, v2
	v_lshlrev_b32_e32 v2, 3, v8
	v_mov_b32_e32 v19, 0
	v_or_b32_e32 v6, s10, v4
	v_lshlrev_b32_e32 v7, 3, v4
	v_add_nc_u32_e32 v4, s10, v4
	v_add_nc_u32_e32 v3, s11, v5
	v_lshl_or_b32 v2, v5, 6, v2
	v_cmp_gt_i32_e32 vcc_lo, s12, v6
	v_lshl_or_b32 v11, v10, 8, v7
	v_lshlrev_b32_e32 v17, 3, v10
	s_waitcnt lgkmcnt(0)
	v_mad_i64_i32 v[5:6], null, s0, v4, 0
	s_mul_i32 s1, s17, s8
	s_mul_hi_u32 s17, s16, s8
	v_mad_i64_i32 v[14:15], null, s6, v8, 0
	s_add_i32 s17, s17, s1
	s_mul_i32 s16, s16, s8
	v_lshlrev_b64 v[5:6], 3, v[5:6]
	s_lshl_b64 s[16:17], s[16:17], 3
	v_ashrrev_i32_e32 v4, 31, v3
	v_cmp_gt_i32_e64 s0, s12, v3
	v_add_nc_u32_e32 v12, 0x800, v2
	v_mov_b32_e32 v2, 0
	v_add_co_u32 v7, s1, v5, s16
	v_add_co_ci_u32_e64 v16, null, s17, v6, s1
	s_mul_i32 s1, s25, s8
	s_mul_hi_u32 s16, s24, s8
	v_lshlrev_b64 v[5:6], 3, v[14:15]
	s_add_i32 s17, s16, s1
	s_mul_i32 s16, s24, s8
	v_add_co_u32 v7, s1, v7, v17
	s_lshl_b64 s[16:17], s[16:17], 3
	v_lshlrev_b64 v[3:4], 3, v[3:4]
	v_add_co_ci_u32_e64 v14, null, 0, v16, s1
	v_add_co_u32 v5, s1, s16, v5
	v_add_co_ci_u32_e64 v6, null, s17, v6, s1
	v_add_co_u32 v7, s1, s22, v7
	;; [unrolled: 2-line block ×5, first 2 shown]
	v_add_co_ci_u32_e64 v7, null, s19, v15, s1
	v_mov_b32_e32 v15, 0
	v_mov_b32_e32 v14, 0
	;; [unrolled: 1-line block ×7, first 2 shown]
	s_ashr_i32 s7, s6, 31
	s_xor_b32 s1, vcc_lo, -1
	s_lshl_b64 s[6:7], s[6:7], 6
	s_xor_b32 s0, s0, -1
	s_branch .LBB97_8
.LBB97_7:                               ;   in Loop: Header=BB97_8 Depth=1
	s_or_b32 exec_lo, exec_lo, s16
	s_waitcnt lgkmcnt(0)
	s_barrier
	buffer_gl0_inv
	ds_read_b128 v[22:25], v13
	ds_read2_b64 v[26:29], v9 offset1:16
	ds_read_b128 v[30:33], v13 offset:1024
	ds_read_b128 v[34:37], v13 offset:16
	;; [unrolled: 1-line block ×4, first 2 shown]
	ds_read2_b64 v[46:49], v9 offset0:32 offset1:48
	ds_read_b128 v[50:53], v13 offset:1040
	v_add_co_u32 v4, vcc_lo, v4, 64
	v_add_co_ci_u32_e64 v5, null, 0, v5, vcc_lo
	v_add_co_u32 v6, vcc_lo, v6, s6
	v_add_co_ci_u32_e64 v7, null, s7, v7, vcc_lo
	s_add_i32 s20, s20, 8
	s_cmp_lt_i32 s20, s13
	s_waitcnt lgkmcnt(6)
	v_mul_f32_e32 v3, v23, v27
	v_mul_f32_e32 v54, v22, v27
	;; [unrolled: 1-line block ×4, first 2 shown]
	s_waitcnt lgkmcnt(5)
	v_mul_f32_e32 v57, v31, v27
	v_mul_f32_e32 v27, v30, v27
	;; [unrolled: 1-line block ×3, first 2 shown]
	v_fma_f32 v3, v22, v26, -v3
	v_fmac_f32_e32 v54, v23, v26
	v_fma_f32 v22, v22, v28, -v55
	v_fmac_f32_e32 v56, v23, v28
	;; [unrolled: 2-line block ×3, first 2 shown]
	v_mul_f32_e32 v29, v30, v29
	v_fma_f32 v26, v30, v28, -v58
	v_add_f32_e32 v3, v20, v3
	v_add_f32_e32 v20, v21, v54
	v_add_f32_e32 v21, v18, v22
	v_add_f32_e32 v22, v19, v56
	v_add_f32_e32 v23, v16, v23
	v_add_f32_e32 v27, v17, v27
	s_waitcnt lgkmcnt(1)
	v_mul_f32_e32 v30, v25, v47
	ds_read2_b64 v[16:19], v9 offset0:64 offset1:80
	v_fmac_f32_e32 v29, v31, v28
	v_add_f32_e32 v14, v14, v26
	v_mul_f32_e32 v26, v24, v47
	v_fma_f32 v28, v24, v46, -v30
	v_mul_f32_e32 v30, v25, v49
	v_add_f32_e32 v15, v15, v29
	v_mul_f32_e32 v29, v24, v49
	v_fmac_f32_e32 v26, v25, v46
	v_add_f32_e32 v3, v3, v28
	v_fma_f32 v24, v24, v48, -v30
	v_mul_f32_e32 v28, v33, v47
	v_fmac_f32_e32 v29, v25, v48
	v_add_f32_e32 v26, v20, v26
	v_mul_f32_e32 v20, v32, v47
	v_add_f32_e32 v24, v21, v24
	v_fma_f32 v21, v32, v46, -v28
	v_mul_f32_e32 v25, v33, v49
	v_add_f32_e32 v28, v22, v29
	v_fmac_f32_e32 v20, v33, v46
	v_mul_f32_e32 v29, v32, v49
	v_add_f32_e32 v30, v23, v21
	v_fma_f32 v21, v32, v48, -v25
	s_waitcnt lgkmcnt(0)
	v_mul_f32_e32 v22, v35, v17
	v_add_f32_e32 v25, v27, v20
	v_fmac_f32_e32 v29, v33, v48
	v_mul_f32_e32 v27, v34, v17
	v_add_f32_e32 v14, v14, v21
	v_fma_f32 v31, v34, v16, -v22
	v_mul_f32_e32 v32, v35, v19
	ds_read2_b64 v[20:23], v9 offset0:96 offset1:112
	v_fmac_f32_e32 v27, v35, v16
	v_add_f32_e32 v29, v15, v29
	v_add_f32_e32 v3, v3, v31
	v_mul_f32_e32 v15, v34, v19
	v_fma_f32 v31, v34, v18, -v32
	v_add_f32_e32 v26, v26, v27
	v_mul_f32_e32 v27, v51, v17
	v_mul_f32_e32 v17, v50, v17
	v_fmac_f32_e32 v15, v35, v18
	v_add_f32_e32 v24, v24, v31
	v_mul_f32_e32 v31, v51, v19
	v_mul_f32_e32 v19, v50, v19
	v_fmac_f32_e32 v17, v51, v16
	v_add_f32_e32 v28, v28, v15
	v_fma_f32 v27, v50, v16, -v27
	v_fma_f32 v15, v50, v18, -v31
	v_fmac_f32_e32 v19, v51, v18
	v_add_f32_e32 v31, v25, v17
	s_waitcnt lgkmcnt(0)
	v_mul_f32_e32 v18, v37, v21
	v_add_f32_e32 v32, v14, v15
	ds_read2_b64 v[14:17], v9 offset0:128 offset1:144
	v_add_f32_e32 v30, v30, v27
	v_mul_f32_e32 v25, v36, v21
	v_fma_f32 v18, v36, v20, -v18
	v_mul_f32_e32 v27, v37, v23
	v_add_f32_e32 v29, v29, v19
	v_mul_f32_e32 v19, v36, v23
	v_fmac_f32_e32 v25, v37, v20
	v_add_f32_e32 v3, v3, v18
	v_mul_f32_e32 v18, v53, v21
	v_fma_f32 v27, v36, v22, -v27
	v_fmac_f32_e32 v19, v37, v22
	v_mul_f32_e32 v21, v52, v21
	v_mul_f32_e32 v35, v53, v23
	v_fma_f32 v18, v52, v20, -v18
	v_add_f32_e32 v33, v26, v25
	v_add_f32_e32 v34, v24, v27
	ds_read_b128 v[24:27], v13 offset:1056
	v_add_f32_e32 v36, v28, v19
	v_fmac_f32_e32 v21, v53, v20
	v_mul_f32_e32 v23, v52, v23
	v_fma_f32 v19, v52, v22, -v35
	v_add_f32_e32 v35, v30, v18
	s_waitcnt lgkmcnt(1)
	v_mul_f32_e32 v18, v39, v15
	v_add_f32_e32 v37, v31, v21
	v_fmac_f32_e32 v23, v53, v22
	v_add_f32_e32 v22, v32, v19
	v_mul_f32_e32 v32, v38, v15
	v_fma_f32 v28, v38, v14, -v18
	ds_read2_b64 v[18:21], v9 offset0:160 offset1:176
	v_mul_f32_e32 v30, v39, v17
	v_mul_f32_e32 v46, v38, v17
	v_fmac_f32_e32 v32, v39, v14
	v_add_f32_e32 v23, v29, v23
	v_add_f32_e32 v3, v3, v28
	v_fma_f32 v38, v38, v16, -v30
	ds_read_b128 v[28:31], v13 offset:1072
	s_waitcnt lgkmcnt(2)
	v_mul_f32_e32 v47, v25, v15
	v_add_f32_e32 v32, v33, v32
	v_mul_f32_e32 v15, v24, v15
	v_add_f32_e32 v33, v34, v38
	v_mul_f32_e32 v38, v25, v17
	v_fmac_f32_e32 v46, v39, v16
	v_fma_f32 v34, v24, v14, -v47
	v_fmac_f32_e32 v15, v25, v14
	v_mul_f32_e32 v39, v24, v17
	v_fma_f32 v14, v24, v16, -v38
	v_add_f32_e32 v36, v36, v46
	v_add_f32_e32 v34, v35, v34
	s_waitcnt lgkmcnt(1)
	v_mul_f32_e32 v17, v41, v19
	v_add_f32_e32 v24, v37, v15
	v_fmac_f32_e32 v39, v25, v16
	v_mul_f32_e32 v25, v40, v19
	v_add_f32_e32 v22, v22, v14
	v_fma_f32 v35, v40, v18, -v17
	ds_read2_b64 v[14:17], v9 offset0:192 offset1:208
	v_mul_f32_e32 v37, v41, v21
	v_fmac_f32_e32 v25, v41, v18
	v_add_f32_e32 v38, v23, v39
	v_add_f32_e32 v3, v3, v35
	v_mul_f32_e32 v23, v40, v21
	v_fma_f32 v35, v40, v20, -v37
	v_add_f32_e32 v32, v32, v25
	v_mul_f32_e32 v25, v27, v19
	v_mul_f32_e32 v19, v26, v19
	v_fmac_f32_e32 v23, v41, v20
	v_add_f32_e32 v33, v33, v35
	v_mul_f32_e32 v35, v27, v21
	v_fma_f32 v25, v26, v18, -v25
	v_fmac_f32_e32 v19, v27, v18
	v_add_f32_e32 v18, v36, v23
	v_mul_f32_e32 v21, v26, v21
	v_fma_f32 v23, v26, v20, -v35
	v_add_f32_e32 v26, v34, v25
	v_add_f32_e32 v19, v24, v19
	s_waitcnt lgkmcnt(0)
	v_mul_f32_e32 v34, v43, v15
	v_fmac_f32_e32 v21, v27, v20
	v_add_f32_e32 v20, v22, v23
	ds_read2_b64 v[22:25], v9 offset0:224 offset1:240
	v_mul_f32_e32 v27, v42, v15
	v_fma_f32 v34, v42, v14, -v34
	v_mul_f32_e32 v35, v43, v17
	v_mul_f32_e32 v36, v42, v17
	v_add_f32_e32 v21, v38, v21
	v_fmac_f32_e32 v27, v43, v14
	v_add_f32_e32 v3, v3, v34
	v_mul_f32_e32 v34, v29, v15
	v_fma_f32 v35, v42, v16, -v35
	v_fmac_f32_e32 v36, v43, v16
	v_add_f32_e32 v27, v32, v27
	v_mul_f32_e32 v15, v28, v15
	v_fma_f32 v32, v28, v14, -v34
	v_mul_f32_e32 v34, v29, v17
	v_add_f32_e32 v33, v33, v35
	v_add_f32_e32 v35, v18, v36
	v_fmac_f32_e32 v15, v29, v14
	v_add_f32_e32 v14, v26, v32
	v_mul_f32_e32 v17, v28, v17
	v_fma_f32 v18, v28, v16, -v34
	s_waitcnt lgkmcnt(0)
	v_mul_f32_e32 v26, v45, v23
	v_mul_f32_e32 v28, v44, v23
	v_add_f32_e32 v15, v19, v15
	v_fmac_f32_e32 v17, v29, v16
	v_add_f32_e32 v29, v20, v18
	v_fma_f32 v16, v44, v22, -v26
	v_mul_f32_e32 v18, v45, v25
	v_mul_f32_e32 v19, v44, v25
	v_add_f32_e32 v26, v21, v17
	v_mul_f32_e32 v17, v30, v23
	v_add_f32_e32 v20, v3, v16
	v_fma_f32 v3, v44, v24, -v18
	v_mul_f32_e32 v16, v31, v23
	v_mul_f32_e32 v23, v31, v25
	;; [unrolled: 1-line block ×3, first 2 shown]
	v_fmac_f32_e32 v28, v45, v22
	v_fmac_f32_e32 v19, v45, v24
	v_add_f32_e32 v18, v33, v3
	v_fma_f32 v3, v30, v22, -v16
	v_fmac_f32_e32 v17, v31, v22
	v_fma_f32 v22, v30, v24, -v23
	v_fmac_f32_e32 v25, v31, v24
	v_add_f32_e32 v21, v27, v28
	v_add_f32_e32 v19, v35, v19
	v_add_f32_e32 v16, v14, v3
	v_add_f32_e32 v17, v15, v17
	v_add_f32_e32 v14, v29, v22
	v_add_f32_e32 v15, v26, v25
	s_barrier
	buffer_gl0_inv
	s_cbranch_scc0 .LBB97_16
.LBB97_8:                               ; =>This Inner Loop Header: Depth=1
	v_add_nc_u32_e32 v3, s20, v10
	v_cmp_le_i32_e32 vcc_lo, s13, v3
	s_or_b32 s16, s1, vcc_lo
	s_and_saveexec_b32 s17, s16
	s_xor_b32 s16, exec_lo, s17
; %bb.9:                                ;   in Loop: Header=BB97_8 Depth=1
	ds_write_b32 v11, v2
; %bb.10:                               ;   in Loop: Header=BB97_8 Depth=1
	s_or_saveexec_b32 s16, s16
	v_mov_b32_e32 v3, 0
	s_xor_b32 exec_lo, exec_lo, s16
	s_cbranch_execz .LBB97_12
; %bb.11:                               ;   in Loop: Header=BB97_8 Depth=1
	global_load_dwordx2 v[22:23], v[4:5], off offset:-4
	s_waitcnt vmcnt(0)
	v_xor_b32_e32 v3, 0x80000000, v23
	ds_write_b32 v11, v22
.LBB97_12:                              ;   in Loop: Header=BB97_8 Depth=1
	s_or_b32 exec_lo, exec_lo, s16
	v_add_nc_u32_e32 v22, s20, v8
	ds_write_b32 v11, v3 offset:4
	v_cmp_le_i32_e32 vcc_lo, s13, v22
	s_or_b32 s16, vcc_lo, s0
	s_and_saveexec_b32 s17, s16
	s_xor_b32 s16, exec_lo, s17
; %bb.13:                               ;   in Loop: Header=BB97_8 Depth=1
	v_mov_b32_e32 v3, v2
	ds_write_b64 v12, v[2:3]
; %bb.14:                               ;   in Loop: Header=BB97_8 Depth=1
	s_andn2_saveexec_b32 s16, s16
	s_cbranch_execz .LBB97_7
; %bb.15:                               ;   in Loop: Header=BB97_8 Depth=1
	global_load_dwordx2 v[22:23], v[6:7], off
	s_waitcnt vmcnt(0)
	ds_write_b64 v12, v[22:23]
	s_branch .LBB97_7
.LBB97_16:
	s_clause 0x2
	s_load_dword s6, s[4:5], 0x50
	s_load_dwordx2 s[16:17], s[4:5], 0x58
	s_load_dwordx2 s[4:5], s[4:5], 0x48
	v_add_nc_u32_e32 v9, s11, v1
	v_add_nc_u32_e32 v0, s10, v0
	v_cmp_neq_f32_e64 s7, s2, 0
	v_cmp_gt_i32_e64 s0, s12, v9
	v_cmp_le_i32_e32 vcc_lo, v0, v9
	s_waitcnt lgkmcnt(0)
	v_mad_i64_i32 v[1:2], null, v9, s6, 0
	s_mul_i32 s1, s17, s8
	s_mul_hi_u32 s11, s16, s8
	s_mul_i32 s10, s16, s8
	s_add_i32 s11, s11, s1
	s_lshl_b64 s[10:11], s[10:11], 3
	v_lshlrev_b64 v[2:3], 3, v[1:2]
	s_add_u32 s4, s4, s10
	s_addc_u32 s5, s5, s11
	s_xor_b32 s8, s9, -1
	v_ashrrev_i32_e32 v1, 31, v0
	s_or_b32 s7, s7, s8
	v_add_co_u32 v6, s1, s4, v2
	v_add_co_ci_u32_e64 v7, null, s5, v3, s1
	v_cndmask_b32_e64 v8, 0, 1, s7
	s_and_b32 s8, s0, vcc_lo
	s_and_saveexec_b32 s1, s8
	s_cbranch_execz .LBB97_20
; %bb.17:
	v_lshlrev_b64 v[4:5], 3, v[0:1]
	v_mul_f32_e32 v2, s15, v21
	v_mul_f32_e32 v3, s14, v21
	v_fma_f32 v2, v20, s14, -v2
	v_add_co_u32 v4, vcc_lo, v6, v4
	v_fmac_f32_e32 v3, s15, v20
	v_add_co_ci_u32_e64 v5, null, v7, v5, vcc_lo
	s_andn2_b32 vcc_lo, exec_lo, s7
	s_cbranch_vccnz .LBB97_19
; %bb.18:
	global_load_dwordx2 v[10:11], v[4:5], off
	s_waitcnt vmcnt(0)
	v_mul_f32_e32 v12, s3, v11
	v_mul_f32_e32 v11, s2, v11
	v_fma_f32 v12, v10, s2, -v12
	v_fmac_f32_e32 v11, s3, v10
	v_add_f32_e32 v2, v2, v12
	v_add_f32_e32 v3, v3, v11
.LBB97_19:
	global_store_dwordx2 v[4:5], v[2:3], off
.LBB97_20:
	s_or_b32 exec_lo, exec_lo, s1
	v_add_nc_u32_e32 v2, 16, v0
	v_cmp_le_i32_e32 vcc_lo, v2, v9
	v_ashrrev_i32_e32 v3, 31, v2
	s_and_b32 s0, s0, vcc_lo
	s_and_saveexec_b32 s1, s0
	s_cbranch_execz .LBB97_24
; %bb.21:
	v_lshlrev_b64 v[10:11], 3, v[2:3]
	v_mul_f32_e32 v4, s15, v19
	v_mul_f32_e32 v5, s14, v19
	v_cmp_ne_u32_e32 vcc_lo, 1, v8
	v_fma_f32 v4, v18, s14, -v4
	v_add_co_u32 v6, s0, v6, v10
	v_fmac_f32_e32 v5, s15, v18
	v_add_co_ci_u32_e64 v7, null, v7, v11, s0
	s_cbranch_vccnz .LBB97_23
; %bb.22:
	global_load_dwordx2 v[10:11], v[6:7], off
	s_waitcnt vmcnt(0)
	v_mul_f32_e32 v12, s3, v11
	v_mul_f32_e32 v11, s2, v11
	v_fma_f32 v12, v10, s2, -v12
	v_fmac_f32_e32 v11, s3, v10
	v_add_f32_e32 v4, v4, v12
	v_add_f32_e32 v5, v5, v11
.LBB97_23:
	global_store_dwordx2 v[6:7], v[4:5], off
.LBB97_24:
	s_or_b32 exec_lo, exec_lo, s1
	v_add_nc_u32_e32 v9, 16, v9
	v_mad_i64_i32 v[4:5], null, v9, s6, 0
	v_cmp_gt_i32_e64 s0, s12, v9
	v_cmp_le_i32_e32 vcc_lo, v0, v9
	v_lshlrev_b64 v[4:5], 3, v[4:5]
	v_add_co_u32 v6, s1, s4, v4
	v_add_co_ci_u32_e64 v7, null, s5, v5, s1
	s_and_b32 s1, s0, vcc_lo
	s_and_saveexec_b32 s4, s1
	s_cbranch_execz .LBB97_28
; %bb.25:
	v_lshlrev_b64 v[0:1], 3, v[0:1]
	v_mul_f32_e32 v4, s15, v17
	v_mul_f32_e32 v5, s14, v17
	v_cmp_ne_u32_e32 vcc_lo, 1, v8
	v_fma_f32 v4, v16, s14, -v4
	v_add_co_u32 v0, s1, v6, v0
	v_fmac_f32_e32 v5, s15, v16
	v_add_co_ci_u32_e64 v1, null, v7, v1, s1
	s_cbranch_vccnz .LBB97_27
; %bb.26:
	global_load_dwordx2 v[10:11], v[0:1], off
	s_waitcnt vmcnt(0)
	v_mul_f32_e32 v12, s3, v11
	v_mul_f32_e32 v11, s2, v11
	v_fma_f32 v12, v10, s2, -v12
	v_fmac_f32_e32 v11, s3, v10
	v_add_f32_e32 v4, v4, v12
	v_add_f32_e32 v5, v5, v11
.LBB97_27:
	global_store_dwordx2 v[0:1], v[4:5], off
.LBB97_28:
	s_or_b32 exec_lo, exec_lo, s4
	v_cmp_le_i32_e32 vcc_lo, v2, v9
	s_and_b32 s0, s0, vcc_lo
	s_and_saveexec_b32 s1, s0
	s_cbranch_execz .LBB97_32
; %bb.29:
	v_lshlrev_b64 v[2:3], 3, v[2:3]
	v_mul_f32_e32 v0, s15, v15
	v_mul_f32_e32 v1, s14, v15
	v_cmp_ne_u32_e32 vcc_lo, 1, v8
	v_fma_f32 v0, v14, s14, -v0
	v_add_co_u32 v2, s0, v6, v2
	v_fmac_f32_e32 v1, s15, v14
	v_add_co_ci_u32_e64 v3, null, v7, v3, s0
	s_cbranch_vccnz .LBB97_31
; %bb.30:
	global_load_dwordx2 v[4:5], v[2:3], off
	s_waitcnt vmcnt(0)
	v_mul_f32_e32 v6, s3, v5
	v_mul_f32_e32 v5, s2, v5
	v_fma_f32 v6, v4, s2, -v6
	v_fmac_f32_e32 v5, s3, v4
	v_add_f32_e32 v0, v0, v6
	v_add_f32_e32 v1, v1, v5
.LBB97_31:
	global_store_dwordx2 v[2:3], v[0:1], off
.LBB97_32:
	s_endpgm
	.section	.rodata,"a",@progbits
	.p2align	6, 0x0
	.amdhsa_kernel _ZL29rocblas_internal_gemmt_kernelIiLi16ELi32ELi8ELc67ELc84ELc85ELb1ELb0E19rocblas_complex_numIfES1_PKS1_PS1_EviT_T9_T10_S5_lS7_S5_lS6_T11_S5_li
		.amdhsa_group_segment_fixed_size 4096
		.amdhsa_private_segment_fixed_size 0
		.amdhsa_kernarg_size 100
		.amdhsa_user_sgpr_count 6
		.amdhsa_user_sgpr_private_segment_buffer 1
		.amdhsa_user_sgpr_dispatch_ptr 0
		.amdhsa_user_sgpr_queue_ptr 0
		.amdhsa_user_sgpr_kernarg_segment_ptr 1
		.amdhsa_user_sgpr_dispatch_id 0
		.amdhsa_user_sgpr_flat_scratch_init 0
		.amdhsa_user_sgpr_private_segment_size 0
		.amdhsa_wavefront_size32 1
		.amdhsa_uses_dynamic_stack 0
		.amdhsa_system_sgpr_private_segment_wavefront_offset 0
		.amdhsa_system_sgpr_workgroup_id_x 1
		.amdhsa_system_sgpr_workgroup_id_y 1
		.amdhsa_system_sgpr_workgroup_id_z 1
		.amdhsa_system_sgpr_workgroup_info 0
		.amdhsa_system_vgpr_workitem_id 1
		.amdhsa_next_free_vgpr 59
		.amdhsa_next_free_sgpr 26
		.amdhsa_reserve_vcc 1
		.amdhsa_reserve_flat_scratch 0
		.amdhsa_float_round_mode_32 0
		.amdhsa_float_round_mode_16_64 0
		.amdhsa_float_denorm_mode_32 3
		.amdhsa_float_denorm_mode_16_64 3
		.amdhsa_dx10_clamp 1
		.amdhsa_ieee_mode 1
		.amdhsa_fp16_overflow 0
		.amdhsa_workgroup_processor_mode 1
		.amdhsa_memory_ordered 1
		.amdhsa_forward_progress 1
		.amdhsa_shared_vgpr_count 0
		.amdhsa_exception_fp_ieee_invalid_op 0
		.amdhsa_exception_fp_denorm_src 0
		.amdhsa_exception_fp_ieee_div_zero 0
		.amdhsa_exception_fp_ieee_overflow 0
		.amdhsa_exception_fp_ieee_underflow 0
		.amdhsa_exception_fp_ieee_inexact 0
		.amdhsa_exception_int_div_zero 0
	.end_amdhsa_kernel
	.section	.text._ZL29rocblas_internal_gemmt_kernelIiLi16ELi32ELi8ELc67ELc84ELc85ELb1ELb0E19rocblas_complex_numIfES1_PKS1_PS1_EviT_T9_T10_S5_lS7_S5_lS6_T11_S5_li,"axG",@progbits,_ZL29rocblas_internal_gemmt_kernelIiLi16ELi32ELi8ELc67ELc84ELc85ELb1ELb0E19rocblas_complex_numIfES1_PKS1_PS1_EviT_T9_T10_S5_lS7_S5_lS6_T11_S5_li,comdat
.Lfunc_end97:
	.size	_ZL29rocblas_internal_gemmt_kernelIiLi16ELi32ELi8ELc67ELc84ELc85ELb1ELb0E19rocblas_complex_numIfES1_PKS1_PS1_EviT_T9_T10_S5_lS7_S5_lS6_T11_S5_li, .Lfunc_end97-_ZL29rocblas_internal_gemmt_kernelIiLi16ELi32ELi8ELc67ELc84ELc85ELb1ELb0E19rocblas_complex_numIfES1_PKS1_PS1_EviT_T9_T10_S5_lS7_S5_lS6_T11_S5_li
                                        ; -- End function
	.set _ZL29rocblas_internal_gemmt_kernelIiLi16ELi32ELi8ELc67ELc84ELc85ELb1ELb0E19rocblas_complex_numIfES1_PKS1_PS1_EviT_T9_T10_S5_lS7_S5_lS6_T11_S5_li.num_vgpr, 59
	.set _ZL29rocblas_internal_gemmt_kernelIiLi16ELi32ELi8ELc67ELc84ELc85ELb1ELb0E19rocblas_complex_numIfES1_PKS1_PS1_EviT_T9_T10_S5_lS7_S5_lS6_T11_S5_li.num_agpr, 0
	.set _ZL29rocblas_internal_gemmt_kernelIiLi16ELi32ELi8ELc67ELc84ELc85ELb1ELb0E19rocblas_complex_numIfES1_PKS1_PS1_EviT_T9_T10_S5_lS7_S5_lS6_T11_S5_li.numbered_sgpr, 26
	.set _ZL29rocblas_internal_gemmt_kernelIiLi16ELi32ELi8ELc67ELc84ELc85ELb1ELb0E19rocblas_complex_numIfES1_PKS1_PS1_EviT_T9_T10_S5_lS7_S5_lS6_T11_S5_li.num_named_barrier, 0
	.set _ZL29rocblas_internal_gemmt_kernelIiLi16ELi32ELi8ELc67ELc84ELc85ELb1ELb0E19rocblas_complex_numIfES1_PKS1_PS1_EviT_T9_T10_S5_lS7_S5_lS6_T11_S5_li.private_seg_size, 0
	.set _ZL29rocblas_internal_gemmt_kernelIiLi16ELi32ELi8ELc67ELc84ELc85ELb1ELb0E19rocblas_complex_numIfES1_PKS1_PS1_EviT_T9_T10_S5_lS7_S5_lS6_T11_S5_li.uses_vcc, 1
	.set _ZL29rocblas_internal_gemmt_kernelIiLi16ELi32ELi8ELc67ELc84ELc85ELb1ELb0E19rocblas_complex_numIfES1_PKS1_PS1_EviT_T9_T10_S5_lS7_S5_lS6_T11_S5_li.uses_flat_scratch, 0
	.set _ZL29rocblas_internal_gemmt_kernelIiLi16ELi32ELi8ELc67ELc84ELc85ELb1ELb0E19rocblas_complex_numIfES1_PKS1_PS1_EviT_T9_T10_S5_lS7_S5_lS6_T11_S5_li.has_dyn_sized_stack, 0
	.set _ZL29rocblas_internal_gemmt_kernelIiLi16ELi32ELi8ELc67ELc84ELc85ELb1ELb0E19rocblas_complex_numIfES1_PKS1_PS1_EviT_T9_T10_S5_lS7_S5_lS6_T11_S5_li.has_recursion, 0
	.set _ZL29rocblas_internal_gemmt_kernelIiLi16ELi32ELi8ELc67ELc84ELc85ELb1ELb0E19rocblas_complex_numIfES1_PKS1_PS1_EviT_T9_T10_S5_lS7_S5_lS6_T11_S5_li.has_indirect_call, 0
	.section	.AMDGPU.csdata,"",@progbits
; Kernel info:
; codeLenInByte = 2552
; TotalNumSgprs: 28
; NumVgprs: 59
; ScratchSize: 0
; MemoryBound: 1
; FloatMode: 240
; IeeeMode: 1
; LDSByteSize: 4096 bytes/workgroup (compile time only)
; SGPRBlocks: 0
; VGPRBlocks: 7
; NumSGPRsForWavesPerEU: 28
; NumVGPRsForWavesPerEU: 59
; Occupancy: 16
; WaveLimiterHint : 0
; COMPUTE_PGM_RSRC2:SCRATCH_EN: 0
; COMPUTE_PGM_RSRC2:USER_SGPR: 6
; COMPUTE_PGM_RSRC2:TRAP_HANDLER: 0
; COMPUTE_PGM_RSRC2:TGID_X_EN: 1
; COMPUTE_PGM_RSRC2:TGID_Y_EN: 1
; COMPUTE_PGM_RSRC2:TGID_Z_EN: 1
; COMPUTE_PGM_RSRC2:TIDIG_COMP_CNT: 1
	.section	.text._ZL29rocblas_internal_gemmt_kernelIiLi16ELi32ELi8ELc67ELc67ELc85ELb1ELb1E19rocblas_complex_numIfES1_PKS1_PS1_EviT_T9_T10_S5_lS7_S5_lS6_T11_S5_li,"axG",@progbits,_ZL29rocblas_internal_gemmt_kernelIiLi16ELi32ELi8ELc67ELc67ELc85ELb1ELb1E19rocblas_complex_numIfES1_PKS1_PS1_EviT_T9_T10_S5_lS7_S5_lS6_T11_S5_li,comdat
	.globl	_ZL29rocblas_internal_gemmt_kernelIiLi16ELi32ELi8ELc67ELc67ELc85ELb1ELb1E19rocblas_complex_numIfES1_PKS1_PS1_EviT_T9_T10_S5_lS7_S5_lS6_T11_S5_li ; -- Begin function _ZL29rocblas_internal_gemmt_kernelIiLi16ELi32ELi8ELc67ELc67ELc85ELb1ELb1E19rocblas_complex_numIfES1_PKS1_PS1_EviT_T9_T10_S5_lS7_S5_lS6_T11_S5_li
	.p2align	8
	.type	_ZL29rocblas_internal_gemmt_kernelIiLi16ELi32ELi8ELc67ELc67ELc85ELb1ELb1E19rocblas_complex_numIfES1_PKS1_PS1_EviT_T9_T10_S5_lS7_S5_lS6_T11_S5_li,@function
_ZL29rocblas_internal_gemmt_kernelIiLi16ELi32ELi8ELc67ELc67ELc85ELb1ELb1E19rocblas_complex_numIfES1_PKS1_PS1_EviT_T9_T10_S5_lS7_S5_lS6_T11_S5_li: ; @_ZL29rocblas_internal_gemmt_kernelIiLi16ELi32ELi8ELc67ELc67ELc85ELb1ELb1E19rocblas_complex_numIfES1_PKS1_PS1_EviT_T9_T10_S5_lS7_S5_lS6_T11_S5_li
; %bb.0:
	s_clause 0x1
	s_load_dwordx2 s[2:3], s[4:5], 0x40
	s_load_dwordx4 s[12:15], s[4:5], 0x0
	s_waitcnt lgkmcnt(0)
	s_and_b32 s0, s3, 0x7fffffff
	v_cmp_eq_f32_e64 s1, s2, 1.0
	s_cmp_eq_u32 s0, 0
	s_mov_b32 s0, 0
	s_cselect_b32 s9, -1, 0
	s_and_b32 s1, s1, s9
	s_andn2_b32 vcc_lo, exec_lo, s1
	s_mov_b32 s1, -1
	s_cbranch_vccnz .LBB98_4
; %bb.1:
	s_cmp_lg_u32 s13, 0
	s_cbranch_scc0 .LBB98_3
; %bb.2:
	v_cmp_neq_f32_e64 s0, s14, 0
	v_cmp_neq_f32_e64 s1, s15, 0
	s_or_b32 s0, s0, s1
.LBB98_3:
	s_mov_b32 s1, s0
.LBB98_4:
	s_and_b32 vcc_lo, exec_lo, s1
	s_cbranch_vccz .LBB98_32
; %bb.5:
	v_cmp_eq_f32_e64 s0, s14, 0
	v_cmp_eq_f32_e64 s1, s15, 0
	s_lshl_b32 s10, s6, 5
	s_lshl_b32 s11, s7, 5
	v_mov_b32_e32 v19, 0
	v_mov_b32_e32 v20, 0
	s_and_b32 s0, s0, s1
	s_cmp_lt_i32 s13, 1
	v_mov_b32_e32 v17, 0
	s_cselect_b32 s1, -1, 0
	v_mov_b32_e32 v18, 0
	v_mov_b32_e32 v15, 0
	;; [unrolled: 1-line block ×5, first 2 shown]
	s_or_b32 s0, s0, s1
	s_mov_b32 s20, 0
	s_and_b32 vcc_lo, exec_lo, s0
	s_cbranch_vccnz .LBB98_16
; %bb.6:
	s_clause 0x1
	s_load_dword s1, s[4:5], 0x18
	s_load_dwordx2 s[22:23], s[4:5], 0x10
	v_lshl_add_u32 v2, v1, 4, v0
	v_and_b32_e32 v6, 7, v0
	s_clause 0x2
	s_load_dword s6, s[4:5], 0x30
	s_load_dwordx4 s[16:19], s[4:5], 0x20
	s_load_dwordx2 s[24:25], s[4:5], 0x38
	v_and_b32_e32 v3, 31, v2
	v_lshrrev_b32_e32 v4, 3, v2
	v_lshlrev_b32_e32 v5, 3, v6
	v_lshrrev_b32_e32 v7, 5, v2
	v_lshlrev_b32_e32 v10, 3, v0
	v_or_b32_e32 v8, s10, v3
	v_lshlrev_b32_e32 v9, 3, v3
	v_add_nc_u32_e32 v2, s11, v4
	v_lshl_or_b32 v4, v4, 6, v5
	v_add_nc_u32_e32 v3, s10, v3
	v_cmp_gt_i32_e32 vcc_lo, s12, v8
	v_lshl_or_b32 v8, v7, 8, v9
	v_cmp_gt_i32_e64 s0, s12, v2
	v_add_nc_u32_e32 v9, 0x800, v4
	s_waitcnt lgkmcnt(0)
	v_mad_i64_i32 v[4:5], null, s1, v3, 0
	v_ashrrev_i32_e32 v3, 31, v2
	v_mad_i64_i32 v[12:13], null, s6, v6, 0
	s_mul_i32 s1, s17, s8
	s_mul_hi_u32 s17, s16, s8
	s_mul_i32 s16, s16, s8
	v_lshlrev_b64 v[4:5], 3, v[4:5]
	s_add_i32 s17, s17, s1
	s_mul_i32 s21, s25, s8
	s_lshl_b64 s[16:17], s[16:17], 3
	s_mul_hi_u32 s25, s24, s8
	v_lshlrev_b64 v[2:3], 3, v[2:3]
	v_add_co_u32 v14, s1, v4, s16
	v_add_co_ci_u32_e64 v15, null, s17, v5, s1
	v_lshlrev_b64 v[4:5], 3, v[12:13]
	s_add_i32 s17, s25, s21
	s_mul_i32 s16, s24, s8
	v_lshlrev_b32_e32 v13, 3, v7
	s_lshl_b64 s[16:17], s[16:17], 3
	v_lshl_add_u32 v11, v1, 6, 0x800
	v_add_co_u32 v4, s1, s16, v4
	v_add_co_ci_u32_e64 v5, null, s17, v5, s1
	v_mov_b32_e32 v12, 0
	v_add_co_u32 v2, s1, v4, v2
	v_add_co_ci_u32_e64 v3, null, v5, v3, s1
	v_add_co_u32 v4, s1, v14, v13
	v_add_co_ci_u32_e64 v5, null, 0, v15, s1
	;; [unrolled: 2-line block ×5, first 2 shown]
	v_mov_b32_e32 v14, 0
	v_mov_b32_e32 v13, 0
	;; [unrolled: 1-line block ×8, first 2 shown]
	s_ashr_i32 s7, s6, 31
	s_xor_b32 s1, vcc_lo, -1
	s_lshl_b64 s[6:7], s[6:7], 6
	s_xor_b32 s0, s0, -1
	s_branch .LBB98_8
.LBB98_7:                               ;   in Loop: Header=BB98_8 Depth=1
	s_or_b32 exec_lo, exec_lo, s16
	ds_write_b32 v9, v21 offset:4
	s_waitcnt lgkmcnt(0)
	s_barrier
	buffer_gl0_inv
	ds_read_b128 v[21:24], v11
	ds_read2_b64 v[25:28], v10 offset1:16
	ds_read_b128 v[29:32], v11 offset:1024
	ds_read_b128 v[33:36], v11 offset:16
	;; [unrolled: 1-line block ×4, first 2 shown]
	ds_read2_b64 v[45:48], v10 offset0:32 offset1:48
	ds_read_b128 v[49:52], v11 offset:1040
	v_add_co_u32 v2, vcc_lo, v2, 64
	v_add_co_ci_u32_e64 v3, null, 0, v3, vcc_lo
	v_add_co_u32 v4, vcc_lo, v4, s6
	v_add_co_ci_u32_e64 v5, null, s7, v5, vcc_lo
	s_add_i32 s20, s20, 8
	s_cmp_lt_i32 s20, s13
	s_waitcnt lgkmcnt(6)
	v_mul_f32_e32 v53, v22, v26
	v_mul_f32_e32 v54, v21, v26
	;; [unrolled: 1-line block ×4, first 2 shown]
	s_waitcnt lgkmcnt(5)
	v_mul_f32_e32 v57, v30, v26
	v_mul_f32_e32 v26, v29, v26
	;; [unrolled: 1-line block ×3, first 2 shown]
	v_fma_f32 v53, v21, v25, -v53
	v_fmac_f32_e32 v54, v22, v25
	v_fma_f32 v21, v21, v27, -v55
	v_fmac_f32_e32 v56, v22, v27
	;; [unrolled: 2-line block ×3, first 2 shown]
	v_mul_f32_e32 v28, v29, v28
	v_fma_f32 v25, v29, v27, -v58
	v_add_f32_e32 v19, v19, v53
	v_add_f32_e32 v21, v17, v21
	;; [unrolled: 1-line block ×5, first 2 shown]
	s_waitcnt lgkmcnt(1)
	v_mul_f32_e32 v53, v24, v46
	ds_read2_b64 v[15:18], v10 offset0:64 offset1:80
	v_fmac_f32_e32 v28, v30, v27
	v_add_f32_e32 v13, v13, v25
	v_mul_f32_e32 v25, v23, v46
	v_fma_f32 v27, v23, v45, -v53
	v_mul_f32_e32 v30, v24, v48
	v_add_f32_e32 v20, v20, v54
	v_add_f32_e32 v14, v14, v28
	v_fmac_f32_e32 v25, v24, v45
	v_mul_f32_e32 v28, v23, v48
	v_add_f32_e32 v27, v19, v27
	v_fma_f32 v19, v23, v47, -v30
	v_mul_f32_e32 v23, v32, v46
	v_add_f32_e32 v25, v20, v25
	v_fmac_f32_e32 v28, v24, v47
	v_mul_f32_e32 v20, v31, v46
	v_add_f32_e32 v24, v21, v19
	v_fma_f32 v19, v31, v45, -v23
	v_mul_f32_e32 v21, v32, v48
	v_add_f32_e32 v23, v29, v28
	v_fmac_f32_e32 v20, v32, v45
	v_mul_f32_e32 v28, v31, v48
	v_add_f32_e32 v29, v22, v19
	v_fma_f32 v19, v31, v47, -v21
	s_waitcnt lgkmcnt(0)
	v_mul_f32_e32 v21, v34, v16
	v_add_f32_e32 v26, v26, v20
	v_fmac_f32_e32 v28, v32, v47
	v_mul_f32_e32 v30, v33, v16
	v_add_f32_e32 v13, v13, v19
	v_fma_f32 v31, v33, v15, -v21
	v_mul_f32_e32 v32, v34, v18
	ds_read2_b64 v[19:22], v10 offset0:96 offset1:112
	v_fmac_f32_e32 v30, v34, v15
	v_add_f32_e32 v28, v14, v28
	v_add_f32_e32 v27, v27, v31
	v_mul_f32_e32 v14, v33, v18
	v_fma_f32 v31, v33, v17, -v32
	v_add_f32_e32 v25, v25, v30
	v_mul_f32_e32 v30, v50, v16
	v_mul_f32_e32 v16, v49, v16
	v_fmac_f32_e32 v14, v34, v17
	v_add_f32_e32 v24, v24, v31
	v_mul_f32_e32 v31, v50, v18
	v_fma_f32 v30, v49, v15, -v30
	v_fmac_f32_e32 v16, v50, v15
	v_mul_f32_e32 v18, v49, v18
	v_add_f32_e32 v32, v23, v14
	v_fma_f32 v14, v49, v17, -v31
	v_add_f32_e32 v29, v29, v30
	v_add_f32_e32 v30, v26, v16
	v_fmac_f32_e32 v18, v50, v17
	s_waitcnt lgkmcnt(0)
	v_mul_f32_e32 v17, v36, v20
	v_add_f32_e32 v31, v13, v14
	ds_read2_b64 v[13:16], v10 offset0:128 offset1:144
	v_mul_f32_e32 v23, v35, v20
	v_mul_f32_e32 v26, v36, v22
	v_fma_f32 v17, v35, v19, -v17
	v_add_f32_e32 v28, v28, v18
	v_mul_f32_e32 v18, v35, v22
	v_fmac_f32_e32 v23, v36, v19
	v_fma_f32 v26, v35, v21, -v26
	v_add_f32_e32 v27, v27, v17
	v_mul_f32_e32 v17, v52, v20
	v_fmac_f32_e32 v18, v36, v21
	v_mul_f32_e32 v20, v51, v20
	v_mul_f32_e32 v35, v52, v22
	v_add_f32_e32 v33, v25, v23
	v_fma_f32 v17, v51, v19, -v17
	v_add_f32_e32 v34, v24, v26
	ds_read_b128 v[23:26], v11 offset:1056
	v_add_f32_e32 v32, v32, v18
	v_fmac_f32_e32 v20, v52, v19
	v_mul_f32_e32 v22, v51, v22
	v_fma_f32 v18, v51, v21, -v35
	v_add_f32_e32 v35, v29, v17
	s_waitcnt lgkmcnt(1)
	v_mul_f32_e32 v17, v38, v14
	v_add_f32_e32 v36, v30, v20
	v_fmac_f32_e32 v22, v52, v21
	v_add_f32_e32 v21, v31, v18
	v_mul_f32_e32 v31, v37, v14
	v_fma_f32 v29, v37, v13, -v17
	ds_read2_b64 v[17:20], v10 offset0:160 offset1:176
	v_mul_f32_e32 v30, v38, v16
	v_mul_f32_e32 v46, v37, v16
	v_fmac_f32_e32 v31, v38, v13
	v_add_f32_e32 v22, v28, v22
	v_add_f32_e32 v45, v27, v29
	v_fma_f32 v37, v37, v15, -v30
	ds_read_b128 v[27:30], v11 offset:1072
	s_waitcnt lgkmcnt(2)
	v_mul_f32_e32 v47, v24, v14
	v_add_f32_e32 v31, v33, v31
	v_mul_f32_e32 v14, v23, v14
	v_add_f32_e32 v33, v34, v37
	v_mul_f32_e32 v37, v24, v16
	v_fmac_f32_e32 v46, v38, v15
	v_fma_f32 v34, v23, v13, -v47
	v_fmac_f32_e32 v14, v24, v13
	v_mul_f32_e32 v38, v23, v16
	v_fma_f32 v13, v23, v15, -v37
	v_add_f32_e32 v32, v32, v46
	v_add_f32_e32 v34, v35, v34
	s_waitcnt lgkmcnt(1)
	v_mul_f32_e32 v16, v40, v18
	v_add_f32_e32 v23, v36, v14
	v_fmac_f32_e32 v38, v24, v15
	v_mul_f32_e32 v24, v39, v18
	v_add_f32_e32 v21, v21, v13
	v_fma_f32 v35, v39, v17, -v16
	ds_read2_b64 v[13:16], v10 offset0:192 offset1:208
	v_mul_f32_e32 v36, v40, v20
	v_fmac_f32_e32 v24, v40, v17
	v_add_f32_e32 v37, v22, v38
	v_mul_f32_e32 v22, v39, v20
	v_add_f32_e32 v35, v45, v35
	v_fma_f32 v36, v39, v19, -v36
	v_add_f32_e32 v31, v31, v24
	v_mul_f32_e32 v24, v26, v18
	v_mul_f32_e32 v18, v25, v18
	v_fmac_f32_e32 v22, v40, v19
	v_add_f32_e32 v33, v33, v36
	v_mul_f32_e32 v36, v26, v20
	v_fma_f32 v24, v25, v17, -v24
	v_fmac_f32_e32 v18, v26, v17
	v_add_f32_e32 v17, v32, v22
	v_mul_f32_e32 v20, v25, v20
	v_fma_f32 v22, v25, v19, -v36
	v_add_f32_e32 v25, v34, v24
	v_add_f32_e32 v18, v23, v18
	s_waitcnt lgkmcnt(0)
	v_mul_f32_e32 v32, v42, v14
	v_fmac_f32_e32 v20, v26, v19
	v_add_f32_e32 v19, v21, v22
	ds_read2_b64 v[21:24], v10 offset0:224 offset1:240
	v_mul_f32_e32 v26, v41, v14
	v_fma_f32 v32, v41, v13, -v32
	v_mul_f32_e32 v34, v42, v16
	v_mul_f32_e32 v36, v41, v16
	v_add_f32_e32 v20, v37, v20
	v_fmac_f32_e32 v26, v42, v13
	v_add_f32_e32 v32, v35, v32
	v_mul_f32_e32 v35, v28, v14
	v_fma_f32 v34, v41, v15, -v34
	v_fmac_f32_e32 v36, v42, v15
	v_add_f32_e32 v26, v31, v26
	v_mul_f32_e32 v14, v27, v14
	v_fma_f32 v31, v27, v13, -v35
	v_add_f32_e32 v33, v33, v34
	v_mul_f32_e32 v34, v28, v16
	v_add_f32_e32 v35, v17, v36
	v_fmac_f32_e32 v14, v28, v13
	v_add_f32_e32 v13, v25, v31
	v_mul_f32_e32 v16, v27, v16
	v_fma_f32 v17, v27, v15, -v34
	s_waitcnt lgkmcnt(0)
	v_mul_f32_e32 v25, v44, v22
	v_mul_f32_e32 v27, v43, v22
	v_add_f32_e32 v14, v18, v14
	v_fmac_f32_e32 v16, v28, v15
	v_add_f32_e32 v28, v19, v17
	v_fma_f32 v15, v43, v21, -v25
	v_fmac_f32_e32 v27, v44, v21
	v_mul_f32_e32 v17, v44, v24
	v_mul_f32_e32 v18, v43, v24
	v_add_f32_e32 v25, v20, v16
	v_add_f32_e32 v19, v32, v15
	;; [unrolled: 1-line block ×3, first 2 shown]
	v_fma_f32 v15, v43, v23, -v17
	v_mul_f32_e32 v16, v30, v22
	v_mul_f32_e32 v22, v29, v22
	;; [unrolled: 1-line block ×4, first 2 shown]
	v_fmac_f32_e32 v18, v44, v23
	v_add_f32_e32 v17, v33, v15
	v_fma_f32 v15, v29, v21, -v16
	v_fmac_f32_e32 v22, v30, v21
	v_fma_f32 v21, v29, v23, -v26
	v_fmac_f32_e32 v24, v30, v23
	v_add_f32_e32 v18, v35, v18
	v_add_f32_e32 v15, v13, v15
	;; [unrolled: 1-line block ×5, first 2 shown]
	s_barrier
	buffer_gl0_inv
	s_cbranch_scc0 .LBB98_16
.LBB98_8:                               ; =>This Inner Loop Header: Depth=1
	v_add_nc_u32_e32 v21, s20, v7
	v_cmp_le_i32_e32 vcc_lo, s13, v21
	s_or_b32 s16, s1, vcc_lo
	s_and_saveexec_b32 s17, s16
	s_xor_b32 s16, exec_lo, s17
; %bb.9:                                ;   in Loop: Header=BB98_8 Depth=1
	ds_write_b32 v8, v12
; %bb.10:                               ;   in Loop: Header=BB98_8 Depth=1
	s_or_saveexec_b32 s16, s16
	v_mov_b32_e32 v21, 0
	s_xor_b32 exec_lo, exec_lo, s16
	s_cbranch_execz .LBB98_12
; %bb.11:                               ;   in Loop: Header=BB98_8 Depth=1
	global_load_dwordx2 v[22:23], v[2:3], off
	s_waitcnt vmcnt(0)
	v_xor_b32_e32 v21, 0x80000000, v23
	ds_write_b32 v8, v22
.LBB98_12:                              ;   in Loop: Header=BB98_8 Depth=1
	s_or_b32 exec_lo, exec_lo, s16
	v_add_nc_u32_e32 v22, s20, v6
	ds_write_b32 v8, v21 offset:4
	v_cmp_le_i32_e32 vcc_lo, s13, v22
	s_or_b32 s16, vcc_lo, s0
	s_and_saveexec_b32 s17, s16
	s_xor_b32 s16, exec_lo, s17
; %bb.13:                               ;   in Loop: Header=BB98_8 Depth=1
	ds_write_b32 v9, v12
; %bb.14:                               ;   in Loop: Header=BB98_8 Depth=1
	s_or_saveexec_b32 s16, s16
	v_mov_b32_e32 v21, 0
	s_xor_b32 exec_lo, exec_lo, s16
	s_cbranch_execz .LBB98_7
; %bb.15:                               ;   in Loop: Header=BB98_8 Depth=1
	global_load_dwordx2 v[22:23], v[4:5], off offset:-4
	s_waitcnt vmcnt(0)
	v_xor_b32_e32 v21, 0x80000000, v23
	ds_write_b32 v9, v22
	s_branch .LBB98_7
.LBB98_16:
	s_clause 0x2
	s_load_dword s6, s[4:5], 0x50
	s_load_dwordx2 s[16:17], s[4:5], 0x58
	s_load_dwordx2 s[4:5], s[4:5], 0x48
	v_add_nc_u32_e32 v9, s11, v1
	v_add_nc_u32_e32 v0, s10, v0
	v_cmp_neq_f32_e64 s7, s2, 0
	v_cmp_gt_i32_e64 s0, s12, v9
	v_cmp_le_i32_e32 vcc_lo, v0, v9
	s_waitcnt lgkmcnt(0)
	v_mad_i64_i32 v[1:2], null, v9, s6, 0
	s_mul_i32 s1, s17, s8
	s_mul_hi_u32 s11, s16, s8
	s_mul_i32 s10, s16, s8
	s_add_i32 s11, s11, s1
	s_lshl_b64 s[10:11], s[10:11], 3
	v_lshlrev_b64 v[2:3], 3, v[1:2]
	s_add_u32 s4, s4, s10
	s_addc_u32 s5, s5, s11
	s_xor_b32 s8, s9, -1
	v_ashrrev_i32_e32 v1, 31, v0
	s_or_b32 s7, s7, s8
	v_add_co_u32 v6, s1, s4, v2
	v_add_co_ci_u32_e64 v7, null, s5, v3, s1
	v_cndmask_b32_e64 v8, 0, 1, s7
	s_and_b32 s8, s0, vcc_lo
	s_and_saveexec_b32 s1, s8
	s_cbranch_execz .LBB98_20
; %bb.17:
	v_lshlrev_b64 v[4:5], 3, v[0:1]
	v_mul_f32_e32 v2, s15, v20
	v_mul_f32_e32 v3, s14, v20
	v_fma_f32 v2, v19, s14, -v2
	v_add_co_u32 v4, vcc_lo, v6, v4
	v_fmac_f32_e32 v3, s15, v19
	v_add_co_ci_u32_e64 v5, null, v7, v5, vcc_lo
	s_andn2_b32 vcc_lo, exec_lo, s7
	s_cbranch_vccnz .LBB98_19
; %bb.18:
	global_load_dwordx2 v[10:11], v[4:5], off
	s_waitcnt vmcnt(0)
	v_mul_f32_e32 v12, s3, v11
	v_mul_f32_e32 v11, s2, v11
	v_fma_f32 v12, v10, s2, -v12
	v_fmac_f32_e32 v11, s3, v10
	v_add_f32_e32 v2, v2, v12
	v_add_f32_e32 v3, v3, v11
.LBB98_19:
	global_store_dwordx2 v[4:5], v[2:3], off
.LBB98_20:
	s_or_b32 exec_lo, exec_lo, s1
	v_add_nc_u32_e32 v2, 16, v0
	v_cmp_le_i32_e32 vcc_lo, v2, v9
	v_ashrrev_i32_e32 v3, 31, v2
	s_and_b32 s0, s0, vcc_lo
	s_and_saveexec_b32 s1, s0
	s_cbranch_execz .LBB98_24
; %bb.21:
	v_lshlrev_b64 v[10:11], 3, v[2:3]
	v_mul_f32_e32 v4, s15, v18
	v_mul_f32_e32 v5, s14, v18
	v_cmp_ne_u32_e32 vcc_lo, 1, v8
	v_fma_f32 v4, v17, s14, -v4
	v_add_co_u32 v6, s0, v6, v10
	v_fmac_f32_e32 v5, s15, v17
	v_add_co_ci_u32_e64 v7, null, v7, v11, s0
	s_cbranch_vccnz .LBB98_23
; %bb.22:
	global_load_dwordx2 v[10:11], v[6:7], off
	s_waitcnt vmcnt(0)
	v_mul_f32_e32 v12, s3, v11
	v_mul_f32_e32 v11, s2, v11
	v_fma_f32 v12, v10, s2, -v12
	v_fmac_f32_e32 v11, s3, v10
	v_add_f32_e32 v4, v4, v12
	v_add_f32_e32 v5, v5, v11
.LBB98_23:
	global_store_dwordx2 v[6:7], v[4:5], off
.LBB98_24:
	s_or_b32 exec_lo, exec_lo, s1
	v_add_nc_u32_e32 v9, 16, v9
	v_mad_i64_i32 v[4:5], null, v9, s6, 0
	v_cmp_gt_i32_e64 s0, s12, v9
	v_cmp_le_i32_e32 vcc_lo, v0, v9
	v_lshlrev_b64 v[4:5], 3, v[4:5]
	v_add_co_u32 v6, s1, s4, v4
	v_add_co_ci_u32_e64 v7, null, s5, v5, s1
	s_and_b32 s1, s0, vcc_lo
	s_and_saveexec_b32 s4, s1
	s_cbranch_execz .LBB98_28
; %bb.25:
	v_lshlrev_b64 v[0:1], 3, v[0:1]
	v_mul_f32_e32 v4, s15, v16
	v_mul_f32_e32 v5, s14, v16
	v_cmp_ne_u32_e32 vcc_lo, 1, v8
	v_fma_f32 v4, v15, s14, -v4
	v_add_co_u32 v0, s1, v6, v0
	v_fmac_f32_e32 v5, s15, v15
	v_add_co_ci_u32_e64 v1, null, v7, v1, s1
	s_cbranch_vccnz .LBB98_27
; %bb.26:
	global_load_dwordx2 v[10:11], v[0:1], off
	s_waitcnt vmcnt(0)
	v_mul_f32_e32 v12, s3, v11
	v_mul_f32_e32 v11, s2, v11
	v_fma_f32 v12, v10, s2, -v12
	v_fmac_f32_e32 v11, s3, v10
	v_add_f32_e32 v4, v4, v12
	v_add_f32_e32 v5, v5, v11
.LBB98_27:
	global_store_dwordx2 v[0:1], v[4:5], off
.LBB98_28:
	s_or_b32 exec_lo, exec_lo, s4
	v_cmp_le_i32_e32 vcc_lo, v2, v9
	s_and_b32 s0, s0, vcc_lo
	s_and_saveexec_b32 s1, s0
	s_cbranch_execz .LBB98_32
; %bb.29:
	v_lshlrev_b64 v[2:3], 3, v[2:3]
	v_mul_f32_e32 v0, s15, v14
	v_mul_f32_e32 v1, s14, v14
	v_cmp_ne_u32_e32 vcc_lo, 1, v8
	v_fma_f32 v0, v13, s14, -v0
	v_add_co_u32 v2, s0, v6, v2
	v_fmac_f32_e32 v1, s15, v13
	v_add_co_ci_u32_e64 v3, null, v7, v3, s0
	s_cbranch_vccnz .LBB98_31
; %bb.30:
	global_load_dwordx2 v[4:5], v[2:3], off
	s_waitcnt vmcnt(0)
	v_mul_f32_e32 v6, s3, v5
	v_mul_f32_e32 v5, s2, v5
	v_fma_f32 v6, v4, s2, -v6
	v_fmac_f32_e32 v5, s3, v4
	v_add_f32_e32 v0, v0, v6
	v_add_f32_e32 v1, v1, v5
.LBB98_31:
	global_store_dwordx2 v[2:3], v[0:1], off
.LBB98_32:
	s_endpgm
	.section	.rodata,"a",@progbits
	.p2align	6, 0x0
	.amdhsa_kernel _ZL29rocblas_internal_gemmt_kernelIiLi16ELi32ELi8ELc67ELc67ELc85ELb1ELb1E19rocblas_complex_numIfES1_PKS1_PS1_EviT_T9_T10_S5_lS7_S5_lS6_T11_S5_li
		.amdhsa_group_segment_fixed_size 4096
		.amdhsa_private_segment_fixed_size 0
		.amdhsa_kernarg_size 100
		.amdhsa_user_sgpr_count 6
		.amdhsa_user_sgpr_private_segment_buffer 1
		.amdhsa_user_sgpr_dispatch_ptr 0
		.amdhsa_user_sgpr_queue_ptr 0
		.amdhsa_user_sgpr_kernarg_segment_ptr 1
		.amdhsa_user_sgpr_dispatch_id 0
		.amdhsa_user_sgpr_flat_scratch_init 0
		.amdhsa_user_sgpr_private_segment_size 0
		.amdhsa_wavefront_size32 1
		.amdhsa_uses_dynamic_stack 0
		.amdhsa_system_sgpr_private_segment_wavefront_offset 0
		.amdhsa_system_sgpr_workgroup_id_x 1
		.amdhsa_system_sgpr_workgroup_id_y 1
		.amdhsa_system_sgpr_workgroup_id_z 1
		.amdhsa_system_sgpr_workgroup_info 0
		.amdhsa_system_vgpr_workitem_id 1
		.amdhsa_next_free_vgpr 59
		.amdhsa_next_free_sgpr 26
		.amdhsa_reserve_vcc 1
		.amdhsa_reserve_flat_scratch 0
		.amdhsa_float_round_mode_32 0
		.amdhsa_float_round_mode_16_64 0
		.amdhsa_float_denorm_mode_32 3
		.amdhsa_float_denorm_mode_16_64 3
		.amdhsa_dx10_clamp 1
		.amdhsa_ieee_mode 1
		.amdhsa_fp16_overflow 0
		.amdhsa_workgroup_processor_mode 1
		.amdhsa_memory_ordered 1
		.amdhsa_forward_progress 1
		.amdhsa_shared_vgpr_count 0
		.amdhsa_exception_fp_ieee_invalid_op 0
		.amdhsa_exception_fp_denorm_src 0
		.amdhsa_exception_fp_ieee_div_zero 0
		.amdhsa_exception_fp_ieee_overflow 0
		.amdhsa_exception_fp_ieee_underflow 0
		.amdhsa_exception_fp_ieee_inexact 0
		.amdhsa_exception_int_div_zero 0
	.end_amdhsa_kernel
	.section	.text._ZL29rocblas_internal_gemmt_kernelIiLi16ELi32ELi8ELc67ELc67ELc85ELb1ELb1E19rocblas_complex_numIfES1_PKS1_PS1_EviT_T9_T10_S5_lS7_S5_lS6_T11_S5_li,"axG",@progbits,_ZL29rocblas_internal_gemmt_kernelIiLi16ELi32ELi8ELc67ELc67ELc85ELb1ELb1E19rocblas_complex_numIfES1_PKS1_PS1_EviT_T9_T10_S5_lS7_S5_lS6_T11_S5_li,comdat
.Lfunc_end98:
	.size	_ZL29rocblas_internal_gemmt_kernelIiLi16ELi32ELi8ELc67ELc67ELc85ELb1ELb1E19rocblas_complex_numIfES1_PKS1_PS1_EviT_T9_T10_S5_lS7_S5_lS6_T11_S5_li, .Lfunc_end98-_ZL29rocblas_internal_gemmt_kernelIiLi16ELi32ELi8ELc67ELc67ELc85ELb1ELb1E19rocblas_complex_numIfES1_PKS1_PS1_EviT_T9_T10_S5_lS7_S5_lS6_T11_S5_li
                                        ; -- End function
	.set _ZL29rocblas_internal_gemmt_kernelIiLi16ELi32ELi8ELc67ELc67ELc85ELb1ELb1E19rocblas_complex_numIfES1_PKS1_PS1_EviT_T9_T10_S5_lS7_S5_lS6_T11_S5_li.num_vgpr, 59
	.set _ZL29rocblas_internal_gemmt_kernelIiLi16ELi32ELi8ELc67ELc67ELc85ELb1ELb1E19rocblas_complex_numIfES1_PKS1_PS1_EviT_T9_T10_S5_lS7_S5_lS6_T11_S5_li.num_agpr, 0
	.set _ZL29rocblas_internal_gemmt_kernelIiLi16ELi32ELi8ELc67ELc67ELc85ELb1ELb1E19rocblas_complex_numIfES1_PKS1_PS1_EviT_T9_T10_S5_lS7_S5_lS6_T11_S5_li.numbered_sgpr, 26
	.set _ZL29rocblas_internal_gemmt_kernelIiLi16ELi32ELi8ELc67ELc67ELc85ELb1ELb1E19rocblas_complex_numIfES1_PKS1_PS1_EviT_T9_T10_S5_lS7_S5_lS6_T11_S5_li.num_named_barrier, 0
	.set _ZL29rocblas_internal_gemmt_kernelIiLi16ELi32ELi8ELc67ELc67ELc85ELb1ELb1E19rocblas_complex_numIfES1_PKS1_PS1_EviT_T9_T10_S5_lS7_S5_lS6_T11_S5_li.private_seg_size, 0
	.set _ZL29rocblas_internal_gemmt_kernelIiLi16ELi32ELi8ELc67ELc67ELc85ELb1ELb1E19rocblas_complex_numIfES1_PKS1_PS1_EviT_T9_T10_S5_lS7_S5_lS6_T11_S5_li.uses_vcc, 1
	.set _ZL29rocblas_internal_gemmt_kernelIiLi16ELi32ELi8ELc67ELc67ELc85ELb1ELb1E19rocblas_complex_numIfES1_PKS1_PS1_EviT_T9_T10_S5_lS7_S5_lS6_T11_S5_li.uses_flat_scratch, 0
	.set _ZL29rocblas_internal_gemmt_kernelIiLi16ELi32ELi8ELc67ELc67ELc85ELb1ELb1E19rocblas_complex_numIfES1_PKS1_PS1_EviT_T9_T10_S5_lS7_S5_lS6_T11_S5_li.has_dyn_sized_stack, 0
	.set _ZL29rocblas_internal_gemmt_kernelIiLi16ELi32ELi8ELc67ELc67ELc85ELb1ELb1E19rocblas_complex_numIfES1_PKS1_PS1_EviT_T9_T10_S5_lS7_S5_lS6_T11_S5_li.has_recursion, 0
	.set _ZL29rocblas_internal_gemmt_kernelIiLi16ELi32ELi8ELc67ELc67ELc85ELb1ELb1E19rocblas_complex_numIfES1_PKS1_PS1_EviT_T9_T10_S5_lS7_S5_lS6_T11_S5_li.has_indirect_call, 0
	.section	.AMDGPU.csdata,"",@progbits
; Kernel info:
; codeLenInByte = 2572
; TotalNumSgprs: 28
; NumVgprs: 59
; ScratchSize: 0
; MemoryBound: 0
; FloatMode: 240
; IeeeMode: 1
; LDSByteSize: 4096 bytes/workgroup (compile time only)
; SGPRBlocks: 0
; VGPRBlocks: 7
; NumSGPRsForWavesPerEU: 28
; NumVGPRsForWavesPerEU: 59
; Occupancy: 16
; WaveLimiterHint : 0
; COMPUTE_PGM_RSRC2:SCRATCH_EN: 0
; COMPUTE_PGM_RSRC2:USER_SGPR: 6
; COMPUTE_PGM_RSRC2:TRAP_HANDLER: 0
; COMPUTE_PGM_RSRC2:TGID_X_EN: 1
; COMPUTE_PGM_RSRC2:TGID_Y_EN: 1
; COMPUTE_PGM_RSRC2:TGID_Z_EN: 1
; COMPUTE_PGM_RSRC2:TIDIG_COMP_CNT: 1
	.section	.text._ZL29rocblas_internal_gemmt_kernelIiLi16ELi32ELi8ELc78ELc78ELc76ELb0ELb0E19rocblas_complex_numIfES1_PKS1_PS1_EviT_T9_T10_S5_lS7_S5_lS6_T11_S5_li,"axG",@progbits,_ZL29rocblas_internal_gemmt_kernelIiLi16ELi32ELi8ELc78ELc78ELc76ELb0ELb0E19rocblas_complex_numIfES1_PKS1_PS1_EviT_T9_T10_S5_lS7_S5_lS6_T11_S5_li,comdat
	.globl	_ZL29rocblas_internal_gemmt_kernelIiLi16ELi32ELi8ELc78ELc78ELc76ELb0ELb0E19rocblas_complex_numIfES1_PKS1_PS1_EviT_T9_T10_S5_lS7_S5_lS6_T11_S5_li ; -- Begin function _ZL29rocblas_internal_gemmt_kernelIiLi16ELi32ELi8ELc78ELc78ELc76ELb0ELb0E19rocblas_complex_numIfES1_PKS1_PS1_EviT_T9_T10_S5_lS7_S5_lS6_T11_S5_li
	.p2align	8
	.type	_ZL29rocblas_internal_gemmt_kernelIiLi16ELi32ELi8ELc78ELc78ELc76ELb0ELb0E19rocblas_complex_numIfES1_PKS1_PS1_EviT_T9_T10_S5_lS7_S5_lS6_T11_S5_li,@function
_ZL29rocblas_internal_gemmt_kernelIiLi16ELi32ELi8ELc78ELc78ELc76ELb0ELb0E19rocblas_complex_numIfES1_PKS1_PS1_EviT_T9_T10_S5_lS7_S5_lS6_T11_S5_li: ; @_ZL29rocblas_internal_gemmt_kernelIiLi16ELi32ELi8ELc78ELc78ELc76ELb0ELb0E19rocblas_complex_numIfES1_PKS1_PS1_EviT_T9_T10_S5_lS7_S5_lS6_T11_S5_li
; %bb.0:
	s_clause 0x1
	s_load_dwordx2 s[10:11], s[4:5], 0x40
	s_load_dwordx4 s[12:15], s[4:5], 0x0
	s_waitcnt lgkmcnt(0)
	s_and_b32 s0, s11, 0x7fffffff
	v_cmp_eq_f32_e64 s1, s10, 1.0
	s_cmp_eq_u32 s0, 0
	s_mov_b32 s0, 0
	s_cselect_b32 s9, -1, 0
	s_and_b32 s1, s1, s9
	s_andn2_b32 vcc_lo, exec_lo, s1
	s_mov_b32 s1, -1
	s_cbranch_vccnz .LBB99_4
; %bb.1:
	s_cmp_lg_u32 s13, 0
	s_cbranch_scc0 .LBB99_3
; %bb.2:
	v_cmp_neq_f32_e64 s0, s14, 0
	v_cmp_neq_f32_e64 s1, s15, 0
	s_or_b32 s0, s0, s1
.LBB99_3:
	s_mov_b32 s1, s0
.LBB99_4:
	s_and_b32 vcc_lo, exec_lo, s1
	s_cbranch_vccz .LBB99_32
; %bb.5:
	v_cmp_eq_f32_e64 s0, s14, 0
	v_cmp_eq_f32_e64 s1, s15, 0
	s_lshl_b32 s6, s6, 5
	s_lshl_b32 s7, s7, 5
	v_mov_b32_e32 v20, 0
	v_mov_b32_e32 v21, 0
	s_and_b32 s0, s0, s1
	s_cmp_lt_i32 s13, 1
	v_mov_b32_e32 v18, 0
	s_cselect_b32 s1, -1, 0
	v_mov_b32_e32 v19, 0
	v_mov_b32_e32 v16, 0
	;; [unrolled: 1-line block ×5, first 2 shown]
	s_or_b32 s0, s0, s1
	s_mov_b32 s20, 0
	s_and_b32 vcc_lo, exec_lo, s0
	s_cbranch_vccnz .LBB99_16
; %bb.6:
	s_clause 0x1
	s_load_dword s2, s[4:5], 0x18
	s_load_dwordx2 s[22:23], s[4:5], 0x10
	v_lshl_add_u32 v2, v1, 4, v0
	v_and_b32_e32 v8, 7, v0
	s_clause 0x2
	s_load_dwordx4 s[16:19], s[4:5], 0x20
	s_load_dword s1, s[4:5], 0x30
	s_load_dwordx2 s[24:25], s[4:5], 0x38
	v_and_b32_e32 v4, 31, v2
	v_lshrrev_b32_e32 v3, 3, v2
	v_lshlrev_b32_e32 v14, 3, v8
	v_lshrrev_b32_e32 v9, 5, v2
	v_lshlrev_b32_e32 v12, 3, v0
	v_or_b32_e32 v2, s6, v4
	v_add_nc_u32_e32 v6, s7, v3
	v_lshl_or_b32 v3, v3, 6, v14
	v_lshlrev_b32_e32 v5, 3, v4
	v_add_nc_u32_e32 v4, s6, v4
	v_cmp_gt_i32_e32 vcc_lo, s12, v2
	v_cmp_gt_i32_e64 s0, s12, v6
	v_add_nc_u32_e32 v11, 0x800, v3
	s_waitcnt lgkmcnt(0)
	v_mad_i64_i32 v[2:3], null, v9, s2, 0
	v_lshl_or_b32 v10, v9, 8, v5
	v_ashrrev_i32_e32 v5, 31, v4
	s_mul_i32 s17, s17, s8
	s_mul_hi_u32 s21, s16, s8
	s_mul_i32 s16, s16, s8
	s_add_i32 s17, s21, s17
	v_lshlrev_b64 v[2:3], 3, v[2:3]
	v_mad_i64_i32 v[6:7], null, s1, v6, 0
	s_lshl_b64 s[16:17], s[16:17], 3
	v_lshl_add_u32 v13, v1, 6, 0x800
	v_mov_b32_e32 v17, 0
	v_add_co_u32 v15, s1, v2, s16
	v_add_co_ci_u32_e64 v16, null, s17, v3, s1
	v_lshlrev_b64 v[2:3], 3, v[4:5]
	s_mul_i32 s1, s25, s8
	s_mul_hi_u32 s16, s24, s8
	v_lshlrev_b64 v[4:5], 3, v[6:7]
	s_add_i32 s17, s16, s1
	s_mul_i32 s16, s24, s8
	v_add_co_u32 v2, s1, v15, v2
	s_lshl_b64 s[16:17], s[16:17], 3
	v_add_co_ci_u32_e64 v3, null, v16, v3, s1
	v_add_co_u32 v4, s1, v4, s16
	v_add_co_ci_u32_e64 v5, null, s17, v5, s1
	v_add_co_u32 v2, s1, s22, v2
	v_add_co_ci_u32_e64 v3, null, s23, v3, s1
	v_add_co_u32 v6, s1, v4, v14
	v_add_co_ci_u32_e64 v5, null, 0, v5, s1
	v_mov_b32_e32 v4, 0
	v_add_co_u32 v6, s1, s18, v6
	v_add_co_ci_u32_e64 v7, null, s19, v5, s1
	v_mov_b32_e32 v15, 0
	v_mov_b32_e32 v14, 0
	;; [unrolled: 1-line block ×7, first 2 shown]
	s_ashr_i32 s3, s2, 31
	s_xor_b32 s1, vcc_lo, -1
	s_lshl_b64 s[2:3], s[2:3], 6
	s_xor_b32 s0, s0, -1
	s_branch .LBB99_8
.LBB99_7:                               ;   in Loop: Header=BB99_8 Depth=1
	s_or_b32 exec_lo, exec_lo, s16
	s_waitcnt lgkmcnt(0)
	s_barrier
	buffer_gl0_inv
	ds_read_b128 v[22:25], v13
	ds_read2_b64 v[26:29], v12 offset1:16
	ds_read_b128 v[30:33], v13 offset:1024
	ds_read_b128 v[34:37], v13 offset:16
	ds_read_b128 v[38:41], v13 offset:32
	ds_read_b128 v[42:45], v13 offset:48
	ds_read2_b64 v[46:49], v12 offset0:32 offset1:48
	ds_read_b128 v[50:53], v13 offset:1040
	v_add_co_u32 v2, vcc_lo, v2, s2
	v_add_co_ci_u32_e64 v3, null, s3, v3, vcc_lo
	v_add_co_u32 v6, vcc_lo, v6, 64
	v_add_co_ci_u32_e64 v7, null, 0, v7, vcc_lo
	s_add_i32 s20, s20, 8
	s_cmp_lt_i32 s20, s13
	s_waitcnt lgkmcnt(6)
	v_mul_f32_e32 v5, v23, v27
	v_mul_f32_e32 v54, v22, v27
	;; [unrolled: 1-line block ×4, first 2 shown]
	s_waitcnt lgkmcnt(5)
	v_mul_f32_e32 v57, v31, v27
	v_mul_f32_e32 v27, v30, v27
	;; [unrolled: 1-line block ×3, first 2 shown]
	v_fma_f32 v5, v22, v26, -v5
	v_fmac_f32_e32 v54, v23, v26
	v_fma_f32 v22, v22, v28, -v55
	v_fmac_f32_e32 v56, v23, v28
	;; [unrolled: 2-line block ×3, first 2 shown]
	v_mul_f32_e32 v29, v30, v29
	v_fma_f32 v26, v30, v28, -v58
	v_add_f32_e32 v5, v20, v5
	v_add_f32_e32 v20, v21, v54
	;; [unrolled: 1-line block ×6, first 2 shown]
	s_waitcnt lgkmcnt(1)
	v_mul_f32_e32 v30, v25, v47
	ds_read2_b64 v[16:19], v12 offset0:64 offset1:80
	v_fmac_f32_e32 v29, v31, v28
	v_add_f32_e32 v14, v14, v26
	v_mul_f32_e32 v26, v24, v47
	v_fma_f32 v28, v24, v46, -v30
	v_mul_f32_e32 v30, v25, v49
	v_add_f32_e32 v15, v15, v29
	v_mul_f32_e32 v29, v24, v49
	v_fmac_f32_e32 v26, v25, v46
	v_add_f32_e32 v5, v5, v28
	v_fma_f32 v24, v24, v48, -v30
	v_mul_f32_e32 v28, v33, v47
	v_fmac_f32_e32 v29, v25, v48
	v_add_f32_e32 v26, v20, v26
	v_mul_f32_e32 v20, v32, v47
	v_add_f32_e32 v24, v21, v24
	v_fma_f32 v21, v32, v46, -v28
	v_mul_f32_e32 v25, v33, v49
	v_add_f32_e32 v28, v22, v29
	v_fmac_f32_e32 v20, v33, v46
	v_mul_f32_e32 v29, v32, v49
	v_add_f32_e32 v30, v23, v21
	v_fma_f32 v21, v32, v48, -v25
	s_waitcnt lgkmcnt(0)
	v_mul_f32_e32 v22, v35, v17
	v_add_f32_e32 v25, v27, v20
	v_fmac_f32_e32 v29, v33, v48
	v_mul_f32_e32 v27, v34, v17
	v_add_f32_e32 v14, v14, v21
	v_fma_f32 v31, v34, v16, -v22
	v_mul_f32_e32 v32, v35, v19
	ds_read2_b64 v[20:23], v12 offset0:96 offset1:112
	v_fmac_f32_e32 v27, v35, v16
	v_add_f32_e32 v29, v15, v29
	v_add_f32_e32 v5, v5, v31
	v_mul_f32_e32 v15, v34, v19
	v_fma_f32 v31, v34, v18, -v32
	v_add_f32_e32 v26, v26, v27
	v_mul_f32_e32 v27, v51, v17
	v_mul_f32_e32 v17, v50, v17
	v_fmac_f32_e32 v15, v35, v18
	v_add_f32_e32 v24, v24, v31
	v_mul_f32_e32 v31, v51, v19
	v_mul_f32_e32 v19, v50, v19
	v_fmac_f32_e32 v17, v51, v16
	v_add_f32_e32 v28, v28, v15
	v_fma_f32 v27, v50, v16, -v27
	v_fma_f32 v15, v50, v18, -v31
	v_fmac_f32_e32 v19, v51, v18
	v_add_f32_e32 v31, v25, v17
	s_waitcnt lgkmcnt(0)
	v_mul_f32_e32 v18, v37, v21
	v_add_f32_e32 v32, v14, v15
	ds_read2_b64 v[14:17], v12 offset0:128 offset1:144
	v_add_f32_e32 v30, v30, v27
	v_mul_f32_e32 v25, v36, v21
	v_fma_f32 v18, v36, v20, -v18
	v_mul_f32_e32 v27, v37, v23
	v_add_f32_e32 v29, v29, v19
	v_mul_f32_e32 v19, v36, v23
	v_fmac_f32_e32 v25, v37, v20
	v_add_f32_e32 v5, v5, v18
	v_mul_f32_e32 v18, v53, v21
	v_fma_f32 v27, v36, v22, -v27
	v_fmac_f32_e32 v19, v37, v22
	v_mul_f32_e32 v21, v52, v21
	v_mul_f32_e32 v35, v53, v23
	v_fma_f32 v18, v52, v20, -v18
	v_add_f32_e32 v33, v26, v25
	v_add_f32_e32 v34, v24, v27
	ds_read_b128 v[24:27], v13 offset:1056
	v_add_f32_e32 v36, v28, v19
	v_fmac_f32_e32 v21, v53, v20
	v_mul_f32_e32 v23, v52, v23
	v_fma_f32 v19, v52, v22, -v35
	v_add_f32_e32 v35, v30, v18
	s_waitcnt lgkmcnt(1)
	v_mul_f32_e32 v18, v39, v15
	v_add_f32_e32 v37, v31, v21
	v_fmac_f32_e32 v23, v53, v22
	v_add_f32_e32 v22, v32, v19
	v_mul_f32_e32 v32, v38, v15
	v_fma_f32 v28, v38, v14, -v18
	ds_read2_b64 v[18:21], v12 offset0:160 offset1:176
	v_mul_f32_e32 v30, v39, v17
	v_mul_f32_e32 v46, v38, v17
	v_fmac_f32_e32 v32, v39, v14
	v_add_f32_e32 v23, v29, v23
	v_add_f32_e32 v5, v5, v28
	v_fma_f32 v38, v38, v16, -v30
	ds_read_b128 v[28:31], v13 offset:1072
	s_waitcnt lgkmcnt(2)
	v_mul_f32_e32 v47, v25, v15
	v_add_f32_e32 v32, v33, v32
	v_mul_f32_e32 v15, v24, v15
	v_add_f32_e32 v33, v34, v38
	v_mul_f32_e32 v38, v25, v17
	v_fmac_f32_e32 v46, v39, v16
	v_fma_f32 v34, v24, v14, -v47
	v_fmac_f32_e32 v15, v25, v14
	v_mul_f32_e32 v39, v24, v17
	v_fma_f32 v14, v24, v16, -v38
	v_add_f32_e32 v36, v36, v46
	v_add_f32_e32 v34, v35, v34
	s_waitcnt lgkmcnt(1)
	v_mul_f32_e32 v17, v41, v19
	v_add_f32_e32 v24, v37, v15
	v_fmac_f32_e32 v39, v25, v16
	v_mul_f32_e32 v25, v40, v19
	v_add_f32_e32 v22, v22, v14
	v_fma_f32 v35, v40, v18, -v17
	ds_read2_b64 v[14:17], v12 offset0:192 offset1:208
	v_mul_f32_e32 v37, v41, v21
	v_fmac_f32_e32 v25, v41, v18
	v_add_f32_e32 v38, v23, v39
	v_add_f32_e32 v5, v5, v35
	v_mul_f32_e32 v23, v40, v21
	v_fma_f32 v35, v40, v20, -v37
	v_add_f32_e32 v32, v32, v25
	v_mul_f32_e32 v25, v27, v19
	v_mul_f32_e32 v19, v26, v19
	v_fmac_f32_e32 v23, v41, v20
	v_add_f32_e32 v33, v33, v35
	v_mul_f32_e32 v35, v27, v21
	v_fma_f32 v25, v26, v18, -v25
	v_fmac_f32_e32 v19, v27, v18
	v_add_f32_e32 v18, v36, v23
	v_mul_f32_e32 v21, v26, v21
	v_fma_f32 v23, v26, v20, -v35
	v_add_f32_e32 v26, v34, v25
	v_add_f32_e32 v19, v24, v19
	s_waitcnt lgkmcnt(0)
	v_mul_f32_e32 v34, v43, v15
	v_fmac_f32_e32 v21, v27, v20
	v_add_f32_e32 v20, v22, v23
	ds_read2_b64 v[22:25], v12 offset0:224 offset1:240
	v_mul_f32_e32 v27, v42, v15
	v_fma_f32 v34, v42, v14, -v34
	v_mul_f32_e32 v35, v43, v17
	v_mul_f32_e32 v36, v42, v17
	v_add_f32_e32 v21, v38, v21
	v_fmac_f32_e32 v27, v43, v14
	v_add_f32_e32 v5, v5, v34
	v_mul_f32_e32 v34, v29, v15
	v_fma_f32 v35, v42, v16, -v35
	v_fmac_f32_e32 v36, v43, v16
	v_add_f32_e32 v27, v32, v27
	v_mul_f32_e32 v15, v28, v15
	v_fma_f32 v32, v28, v14, -v34
	v_mul_f32_e32 v34, v29, v17
	v_add_f32_e32 v33, v33, v35
	v_add_f32_e32 v35, v18, v36
	v_fmac_f32_e32 v15, v29, v14
	v_add_f32_e32 v14, v26, v32
	v_mul_f32_e32 v17, v28, v17
	v_fma_f32 v18, v28, v16, -v34
	s_waitcnt lgkmcnt(0)
	v_mul_f32_e32 v26, v45, v23
	v_mul_f32_e32 v28, v44, v23
	v_add_f32_e32 v15, v19, v15
	v_fmac_f32_e32 v17, v29, v16
	v_add_f32_e32 v29, v20, v18
	v_fma_f32 v16, v44, v22, -v26
	v_mul_f32_e32 v18, v45, v25
	v_mul_f32_e32 v19, v44, v25
	v_add_f32_e32 v26, v21, v17
	v_mul_f32_e32 v17, v30, v23
	v_add_f32_e32 v20, v5, v16
	v_fma_f32 v5, v44, v24, -v18
	v_mul_f32_e32 v16, v31, v23
	v_mul_f32_e32 v23, v31, v25
	;; [unrolled: 1-line block ×3, first 2 shown]
	v_fmac_f32_e32 v28, v45, v22
	v_fmac_f32_e32 v19, v45, v24
	v_add_f32_e32 v18, v33, v5
	v_fma_f32 v5, v30, v22, -v16
	v_fmac_f32_e32 v17, v31, v22
	v_fma_f32 v22, v30, v24, -v23
	v_fmac_f32_e32 v25, v31, v24
	v_add_f32_e32 v21, v27, v28
	v_add_f32_e32 v19, v35, v19
	;; [unrolled: 1-line block ×6, first 2 shown]
	s_barrier
	buffer_gl0_inv
	s_cbranch_scc0 .LBB99_16
.LBB99_8:                               ; =>This Inner Loop Header: Depth=1
	v_add_nc_u32_e32 v5, s20, v9
	v_cmp_le_i32_e32 vcc_lo, s13, v5
	s_or_b32 s16, s1, vcc_lo
	s_and_saveexec_b32 s17, s16
	s_xor_b32 s16, exec_lo, s17
; %bb.9:                                ;   in Loop: Header=BB99_8 Depth=1
	v_mov_b32_e32 v5, v4
	ds_write_b64 v10, v[4:5]
; %bb.10:                               ;   in Loop: Header=BB99_8 Depth=1
	s_andn2_saveexec_b32 s16, s16
	s_cbranch_execz .LBB99_12
; %bb.11:                               ;   in Loop: Header=BB99_8 Depth=1
	global_load_dwordx2 v[22:23], v[2:3], off
	s_waitcnt vmcnt(0)
	ds_write_b64 v10, v[22:23]
.LBB99_12:                              ;   in Loop: Header=BB99_8 Depth=1
	s_or_b32 exec_lo, exec_lo, s16
	v_add_nc_u32_e32 v5, s20, v8
	v_cmp_le_i32_e32 vcc_lo, s13, v5
	s_or_b32 s16, vcc_lo, s0
	s_and_saveexec_b32 s17, s16
	s_xor_b32 s16, exec_lo, s17
; %bb.13:                               ;   in Loop: Header=BB99_8 Depth=1
	v_mov_b32_e32 v5, v4
	ds_write_b64 v11, v[4:5]
; %bb.14:                               ;   in Loop: Header=BB99_8 Depth=1
	s_andn2_saveexec_b32 s16, s16
	s_cbranch_execz .LBB99_7
; %bb.15:                               ;   in Loop: Header=BB99_8 Depth=1
	global_load_dwordx2 v[22:23], v[6:7], off
	s_waitcnt vmcnt(0)
	ds_write_b64 v11, v[22:23]
	s_branch .LBB99_7
.LBB99_16:
	s_clause 0x2
	s_load_dword s3, s[4:5], 0x50
	s_load_dwordx2 s[0:1], s[4:5], 0x58
	s_load_dwordx2 s[4:5], s[4:5], 0x48
	v_add_nc_u32_e32 v9, s7, v1
	v_add_nc_u32_e32 v0, s6, v0
	v_cmp_neq_f32_e64 s2, s10, 0
	v_cmp_le_i32_e32 vcc_lo, v9, v0
	s_waitcnt lgkmcnt(0)
	v_mad_i64_i32 v[1:2], null, v9, s3, 0
	s_mul_i32 s1, s1, s8
	s_mul_hi_u32 s7, s0, s8
	s_mul_i32 s6, s0, s8
	s_add_i32 s7, s7, s1
	v_cmp_gt_i32_e64 s0, s12, v0
	s_lshl_b64 s[6:7], s[6:7], 3
	v_lshlrev_b64 v[2:3], 3, v[1:2]
	s_add_u32 s4, s4, s6
	s_addc_u32 s5, s5, s7
	s_xor_b32 s6, s9, -1
	v_ashrrev_i32_e32 v1, 31, v0
	s_or_b32 s2, s2, s6
	v_add_co_u32 v6, s1, s4, v2
	v_add_co_ci_u32_e64 v7, null, s5, v3, s1
	v_cndmask_b32_e64 v8, 0, 1, s2
	s_and_b32 s6, vcc_lo, s0
	s_and_saveexec_b32 s1, s6
	s_cbranch_execz .LBB99_20
; %bb.17:
	v_lshlrev_b64 v[4:5], 3, v[0:1]
	v_mul_f32_e32 v2, s15, v21
	v_mul_f32_e32 v3, s14, v21
	v_fma_f32 v2, v20, s14, -v2
	v_add_co_u32 v4, vcc_lo, v6, v4
	v_fmac_f32_e32 v3, s15, v20
	v_add_co_ci_u32_e64 v5, null, v7, v5, vcc_lo
	s_andn2_b32 vcc_lo, exec_lo, s2
	s_cbranch_vccnz .LBB99_19
; %bb.18:
	global_load_dwordx2 v[10:11], v[4:5], off
	s_waitcnt vmcnt(0)
	v_mul_f32_e32 v12, s11, v11
	v_mul_f32_e32 v11, s10, v11
	v_fma_f32 v12, v10, s10, -v12
	v_fmac_f32_e32 v11, s11, v10
	v_add_f32_e32 v2, v2, v12
	v_add_f32_e32 v3, v3, v11
.LBB99_19:
	global_store_dwordx2 v[4:5], v[2:3], off
.LBB99_20:
	s_or_b32 exec_lo, exec_lo, s1
	v_add_nc_u32_e32 v2, 16, v0
	v_cmp_le_i32_e32 vcc_lo, v9, v2
	v_cmp_gt_i32_e64 s1, s12, v2
	v_ashrrev_i32_e32 v3, 31, v2
	s_and_b32 s2, vcc_lo, s1
	s_and_saveexec_b32 s6, s2
	s_cbranch_execz .LBB99_24
; %bb.21:
	v_lshlrev_b64 v[10:11], 3, v[2:3]
	v_mul_f32_e32 v4, s15, v19
	v_mul_f32_e32 v5, s14, v19
	v_cmp_ne_u32_e32 vcc_lo, 1, v8
	v_fma_f32 v4, v18, s14, -v4
	v_add_co_u32 v6, s2, v6, v10
	v_fmac_f32_e32 v5, s15, v18
	v_add_co_ci_u32_e64 v7, null, v7, v11, s2
	s_cbranch_vccnz .LBB99_23
; %bb.22:
	global_load_dwordx2 v[10:11], v[6:7], off
	s_waitcnt vmcnt(0)
	v_mul_f32_e32 v12, s11, v11
	v_mul_f32_e32 v11, s10, v11
	v_fma_f32 v12, v10, s10, -v12
	v_fmac_f32_e32 v11, s11, v10
	v_add_f32_e32 v4, v4, v12
	v_add_f32_e32 v5, v5, v11
.LBB99_23:
	global_store_dwordx2 v[6:7], v[4:5], off
.LBB99_24:
	s_or_b32 exec_lo, exec_lo, s6
	v_add_nc_u32_e32 v9, 16, v9
	v_mad_i64_i32 v[4:5], null, v9, s3, 0
	v_cmp_le_i32_e32 vcc_lo, v9, v0
	s_and_b32 s0, vcc_lo, s0
	v_lshlrev_b64 v[4:5], 3, v[4:5]
	v_add_co_u32 v6, s2, s4, v4
	v_add_co_ci_u32_e64 v7, null, s5, v5, s2
	s_and_saveexec_b32 s2, s0
	s_cbranch_execz .LBB99_28
; %bb.25:
	v_lshlrev_b64 v[0:1], 3, v[0:1]
	v_mul_f32_e32 v4, s15, v17
	v_mul_f32_e32 v5, s14, v17
	v_cmp_ne_u32_e32 vcc_lo, 1, v8
	v_fma_f32 v4, v16, s14, -v4
	v_add_co_u32 v0, s0, v6, v0
	v_fmac_f32_e32 v5, s15, v16
	v_add_co_ci_u32_e64 v1, null, v7, v1, s0
	s_cbranch_vccnz .LBB99_27
; %bb.26:
	global_load_dwordx2 v[10:11], v[0:1], off
	s_waitcnt vmcnt(0)
	v_mul_f32_e32 v12, s11, v11
	v_mul_f32_e32 v11, s10, v11
	v_fma_f32 v12, v10, s10, -v12
	v_fmac_f32_e32 v11, s11, v10
	v_add_f32_e32 v4, v4, v12
	v_add_f32_e32 v5, v5, v11
.LBB99_27:
	global_store_dwordx2 v[0:1], v[4:5], off
.LBB99_28:
	s_or_b32 exec_lo, exec_lo, s2
	v_cmp_le_i32_e32 vcc_lo, v9, v2
	s_and_b32 s0, vcc_lo, s1
	s_and_saveexec_b32 s1, s0
	s_cbranch_execz .LBB99_32
; %bb.29:
	v_lshlrev_b64 v[2:3], 3, v[2:3]
	v_mul_f32_e32 v0, s15, v15
	v_mul_f32_e32 v1, s14, v15
	v_cmp_ne_u32_e32 vcc_lo, 1, v8
	v_fma_f32 v0, v14, s14, -v0
	v_add_co_u32 v2, s0, v6, v2
	v_fmac_f32_e32 v1, s15, v14
	v_add_co_ci_u32_e64 v3, null, v7, v3, s0
	s_cbranch_vccnz .LBB99_31
; %bb.30:
	global_load_dwordx2 v[4:5], v[2:3], off
	s_waitcnt vmcnt(0)
	v_mul_f32_e32 v6, s11, v5
	v_mul_f32_e32 v5, s10, v5
	v_fma_f32 v6, v4, s10, -v6
	v_fmac_f32_e32 v5, s11, v4
	v_add_f32_e32 v0, v0, v6
	v_add_f32_e32 v1, v1, v5
.LBB99_31:
	global_store_dwordx2 v[2:3], v[0:1], off
.LBB99_32:
	s_endpgm
	.section	.rodata,"a",@progbits
	.p2align	6, 0x0
	.amdhsa_kernel _ZL29rocblas_internal_gemmt_kernelIiLi16ELi32ELi8ELc78ELc78ELc76ELb0ELb0E19rocblas_complex_numIfES1_PKS1_PS1_EviT_T9_T10_S5_lS7_S5_lS6_T11_S5_li
		.amdhsa_group_segment_fixed_size 4096
		.amdhsa_private_segment_fixed_size 0
		.amdhsa_kernarg_size 100
		.amdhsa_user_sgpr_count 6
		.amdhsa_user_sgpr_private_segment_buffer 1
		.amdhsa_user_sgpr_dispatch_ptr 0
		.amdhsa_user_sgpr_queue_ptr 0
		.amdhsa_user_sgpr_kernarg_segment_ptr 1
		.amdhsa_user_sgpr_dispatch_id 0
		.amdhsa_user_sgpr_flat_scratch_init 0
		.amdhsa_user_sgpr_private_segment_size 0
		.amdhsa_wavefront_size32 1
		.amdhsa_uses_dynamic_stack 0
		.amdhsa_system_sgpr_private_segment_wavefront_offset 0
		.amdhsa_system_sgpr_workgroup_id_x 1
		.amdhsa_system_sgpr_workgroup_id_y 1
		.amdhsa_system_sgpr_workgroup_id_z 1
		.amdhsa_system_sgpr_workgroup_info 0
		.amdhsa_system_vgpr_workitem_id 1
		.amdhsa_next_free_vgpr 59
		.amdhsa_next_free_sgpr 26
		.amdhsa_reserve_vcc 1
		.amdhsa_reserve_flat_scratch 0
		.amdhsa_float_round_mode_32 0
		.amdhsa_float_round_mode_16_64 0
		.amdhsa_float_denorm_mode_32 3
		.amdhsa_float_denorm_mode_16_64 3
		.amdhsa_dx10_clamp 1
		.amdhsa_ieee_mode 1
		.amdhsa_fp16_overflow 0
		.amdhsa_workgroup_processor_mode 1
		.amdhsa_memory_ordered 1
		.amdhsa_forward_progress 1
		.amdhsa_shared_vgpr_count 0
		.amdhsa_exception_fp_ieee_invalid_op 0
		.amdhsa_exception_fp_denorm_src 0
		.amdhsa_exception_fp_ieee_div_zero 0
		.amdhsa_exception_fp_ieee_overflow 0
		.amdhsa_exception_fp_ieee_underflow 0
		.amdhsa_exception_fp_ieee_inexact 0
		.amdhsa_exception_int_div_zero 0
	.end_amdhsa_kernel
	.section	.text._ZL29rocblas_internal_gemmt_kernelIiLi16ELi32ELi8ELc78ELc78ELc76ELb0ELb0E19rocblas_complex_numIfES1_PKS1_PS1_EviT_T9_T10_S5_lS7_S5_lS6_T11_S5_li,"axG",@progbits,_ZL29rocblas_internal_gemmt_kernelIiLi16ELi32ELi8ELc78ELc78ELc76ELb0ELb0E19rocblas_complex_numIfES1_PKS1_PS1_EviT_T9_T10_S5_lS7_S5_lS6_T11_S5_li,comdat
.Lfunc_end99:
	.size	_ZL29rocblas_internal_gemmt_kernelIiLi16ELi32ELi8ELc78ELc78ELc76ELb0ELb0E19rocblas_complex_numIfES1_PKS1_PS1_EviT_T9_T10_S5_lS7_S5_lS6_T11_S5_li, .Lfunc_end99-_ZL29rocblas_internal_gemmt_kernelIiLi16ELi32ELi8ELc78ELc78ELc76ELb0ELb0E19rocblas_complex_numIfES1_PKS1_PS1_EviT_T9_T10_S5_lS7_S5_lS6_T11_S5_li
                                        ; -- End function
	.set _ZL29rocblas_internal_gemmt_kernelIiLi16ELi32ELi8ELc78ELc78ELc76ELb0ELb0E19rocblas_complex_numIfES1_PKS1_PS1_EviT_T9_T10_S5_lS7_S5_lS6_T11_S5_li.num_vgpr, 59
	.set _ZL29rocblas_internal_gemmt_kernelIiLi16ELi32ELi8ELc78ELc78ELc76ELb0ELb0E19rocblas_complex_numIfES1_PKS1_PS1_EviT_T9_T10_S5_lS7_S5_lS6_T11_S5_li.num_agpr, 0
	.set _ZL29rocblas_internal_gemmt_kernelIiLi16ELi32ELi8ELc78ELc78ELc76ELb0ELb0E19rocblas_complex_numIfES1_PKS1_PS1_EviT_T9_T10_S5_lS7_S5_lS6_T11_S5_li.numbered_sgpr, 26
	.set _ZL29rocblas_internal_gemmt_kernelIiLi16ELi32ELi8ELc78ELc78ELc76ELb0ELb0E19rocblas_complex_numIfES1_PKS1_PS1_EviT_T9_T10_S5_lS7_S5_lS6_T11_S5_li.num_named_barrier, 0
	.set _ZL29rocblas_internal_gemmt_kernelIiLi16ELi32ELi8ELc78ELc78ELc76ELb0ELb0E19rocblas_complex_numIfES1_PKS1_PS1_EviT_T9_T10_S5_lS7_S5_lS6_T11_S5_li.private_seg_size, 0
	.set _ZL29rocblas_internal_gemmt_kernelIiLi16ELi32ELi8ELc78ELc78ELc76ELb0ELb0E19rocblas_complex_numIfES1_PKS1_PS1_EviT_T9_T10_S5_lS7_S5_lS6_T11_S5_li.uses_vcc, 1
	.set _ZL29rocblas_internal_gemmt_kernelIiLi16ELi32ELi8ELc78ELc78ELc76ELb0ELb0E19rocblas_complex_numIfES1_PKS1_PS1_EviT_T9_T10_S5_lS7_S5_lS6_T11_S5_li.uses_flat_scratch, 0
	.set _ZL29rocblas_internal_gemmt_kernelIiLi16ELi32ELi8ELc78ELc78ELc76ELb0ELb0E19rocblas_complex_numIfES1_PKS1_PS1_EviT_T9_T10_S5_lS7_S5_lS6_T11_S5_li.has_dyn_sized_stack, 0
	.set _ZL29rocblas_internal_gemmt_kernelIiLi16ELi32ELi8ELc78ELc78ELc76ELb0ELb0E19rocblas_complex_numIfES1_PKS1_PS1_EviT_T9_T10_S5_lS7_S5_lS6_T11_S5_li.has_recursion, 0
	.set _ZL29rocblas_internal_gemmt_kernelIiLi16ELi32ELi8ELc78ELc78ELc76ELb0ELb0E19rocblas_complex_numIfES1_PKS1_PS1_EviT_T9_T10_S5_lS7_S5_lS6_T11_S5_li.has_indirect_call, 0
	.section	.AMDGPU.csdata,"",@progbits
; Kernel info:
; codeLenInByte = 2512
; TotalNumSgprs: 28
; NumVgprs: 59
; ScratchSize: 0
; MemoryBound: 1
; FloatMode: 240
; IeeeMode: 1
; LDSByteSize: 4096 bytes/workgroup (compile time only)
; SGPRBlocks: 0
; VGPRBlocks: 7
; NumSGPRsForWavesPerEU: 28
; NumVGPRsForWavesPerEU: 59
; Occupancy: 16
; WaveLimiterHint : 0
; COMPUTE_PGM_RSRC2:SCRATCH_EN: 0
; COMPUTE_PGM_RSRC2:USER_SGPR: 6
; COMPUTE_PGM_RSRC2:TRAP_HANDLER: 0
; COMPUTE_PGM_RSRC2:TGID_X_EN: 1
; COMPUTE_PGM_RSRC2:TGID_Y_EN: 1
; COMPUTE_PGM_RSRC2:TGID_Z_EN: 1
; COMPUTE_PGM_RSRC2:TIDIG_COMP_CNT: 1
	.section	.text._ZL29rocblas_internal_gemmt_kernelIiLi16ELi32ELi8ELc78ELc84ELc76ELb0ELb0E19rocblas_complex_numIfES1_PKS1_PS1_EviT_T9_T10_S5_lS7_S5_lS6_T11_S5_li,"axG",@progbits,_ZL29rocblas_internal_gemmt_kernelIiLi16ELi32ELi8ELc78ELc84ELc76ELb0ELb0E19rocblas_complex_numIfES1_PKS1_PS1_EviT_T9_T10_S5_lS7_S5_lS6_T11_S5_li,comdat
	.globl	_ZL29rocblas_internal_gemmt_kernelIiLi16ELi32ELi8ELc78ELc84ELc76ELb0ELb0E19rocblas_complex_numIfES1_PKS1_PS1_EviT_T9_T10_S5_lS7_S5_lS6_T11_S5_li ; -- Begin function _ZL29rocblas_internal_gemmt_kernelIiLi16ELi32ELi8ELc78ELc84ELc76ELb0ELb0E19rocblas_complex_numIfES1_PKS1_PS1_EviT_T9_T10_S5_lS7_S5_lS6_T11_S5_li
	.p2align	8
	.type	_ZL29rocblas_internal_gemmt_kernelIiLi16ELi32ELi8ELc78ELc84ELc76ELb0ELb0E19rocblas_complex_numIfES1_PKS1_PS1_EviT_T9_T10_S5_lS7_S5_lS6_T11_S5_li,@function
_ZL29rocblas_internal_gemmt_kernelIiLi16ELi32ELi8ELc78ELc84ELc76ELb0ELb0E19rocblas_complex_numIfES1_PKS1_PS1_EviT_T9_T10_S5_lS7_S5_lS6_T11_S5_li: ; @_ZL29rocblas_internal_gemmt_kernelIiLi16ELi32ELi8ELc78ELc84ELc76ELb0ELb0E19rocblas_complex_numIfES1_PKS1_PS1_EviT_T9_T10_S5_lS7_S5_lS6_T11_S5_li
; %bb.0:
	s_clause 0x1
	s_load_dwordx2 s[10:11], s[4:5], 0x40
	s_load_dwordx4 s[12:15], s[4:5], 0x0
	s_waitcnt lgkmcnt(0)
	s_and_b32 s0, s11, 0x7fffffff
	v_cmp_eq_f32_e64 s1, s10, 1.0
	s_cmp_eq_u32 s0, 0
	s_mov_b32 s0, 0
	s_cselect_b32 s9, -1, 0
	s_and_b32 s1, s1, s9
	s_andn2_b32 vcc_lo, exec_lo, s1
	s_mov_b32 s1, -1
	s_cbranch_vccnz .LBB100_4
; %bb.1:
	s_cmp_lg_u32 s13, 0
	s_cbranch_scc0 .LBB100_3
; %bb.2:
	v_cmp_neq_f32_e64 s0, s14, 0
	v_cmp_neq_f32_e64 s1, s15, 0
	s_or_b32 s0, s0, s1
.LBB100_3:
	s_mov_b32 s1, s0
.LBB100_4:
	s_and_b32 vcc_lo, exec_lo, s1
	s_cbranch_vccz .LBB100_32
; %bb.5:
	v_cmp_eq_f32_e64 s0, s14, 0
	v_cmp_eq_f32_e64 s1, s15, 0
	s_lshl_b32 s20, s6, 5
	s_lshl_b32 s21, s7, 5
	v_mov_b32_e32 v20, 0
	v_mov_b32_e32 v21, 0
	s_and_b32 s0, s0, s1
	s_cmp_lt_i32 s13, 1
	v_mov_b32_e32 v18, 0
	s_cselect_b32 s1, -1, 0
	v_mov_b32_e32 v19, 0
	v_mov_b32_e32 v16, 0
	v_mov_b32_e32 v17, 0
	v_mov_b32_e32 v14, 0
	v_mov_b32_e32 v15, 0
	s_or_b32 s0, s0, s1
	s_mov_b32 s22, 0
	s_and_b32 vcc_lo, exec_lo, s0
	s_cbranch_vccnz .LBB100_16
; %bb.6:
	s_clause 0x1
	s_load_dword s2, s[4:5], 0x18
	s_load_dword s6, s[4:5], 0x30
	v_lshl_add_u32 v2, v1, 4, v0
	s_clause 0x1
	s_load_dwordx2 s[24:25], s[4:5], 0x10
	s_load_dwordx4 s[16:19], s[4:5], 0x20
	v_and_b32_e32 v8, 7, v0
	s_load_dwordx2 s[26:27], s[4:5], 0x38
	v_and_b32_e32 v6, 31, v2
	v_lshrrev_b32_e32 v3, 3, v2
	v_lshrrev_b32_e32 v9, 5, v2
	v_lshlrev_b32_e32 v4, 3, v8
	v_lshlrev_b32_e32 v12, 3, v0
	v_or_b32_e32 v5, s20, v6
	v_add_nc_u32_e32 v2, s21, v3
	v_lshlrev_b32_e32 v7, 3, v6
	v_lshl_or_b32 v3, v3, 6, v4
	v_add_nc_u32_e32 v6, s20, v6
	v_cmp_gt_i32_e32 vcc_lo, s12, v5
	v_cmp_gt_i32_e64 s0, s12, v2
	v_lshl_or_b32 v10, v9, 8, v7
	s_waitcnt lgkmcnt(0)
	v_mad_i64_i32 v[4:5], null, v9, s2, 0
	v_mad_i64_i32 v[14:15], null, s6, v8, 0
	s_mul_i32 s1, s17, s8
	s_mul_hi_u32 s17, s16, s8
	v_ashrrev_i32_e32 v7, 31, v6
	s_add_i32 s17, s17, s1
	v_lshlrev_b64 v[4:5], 3, v[4:5]
	s_mul_i32 s16, s16, s8
	s_mul_i32 s23, s27, s8
	s_lshl_b64 s[16:17], s[16:17], 3
	v_lshlrev_b64 v[6:7], 3, v[6:7]
	s_mul_hi_u32 s27, s26, s8
	v_add_co_u32 v16, s1, v4, s16
	v_add_co_ci_u32_e64 v17, null, s17, v5, s1
	v_lshlrev_b64 v[4:5], 3, v[14:15]
	s_add_i32 s17, s27, s23
	s_mul_i32 s16, s26, s8
	v_add_nc_u32_e32 v11, 0x800, v3
	v_ashrrev_i32_e32 v3, 31, v2
	v_add_co_u32 v6, s1, v16, v6
	s_lshl_b64 s[16:17], s[16:17], 3
	v_add_co_ci_u32_e64 v7, null, v17, v7, s1
	v_add_co_u32 v14, s1, s16, v4
	v_add_co_ci_u32_e64 v15, null, s17, v5, s1
	v_lshlrev_b64 v[4:5], 3, v[2:3]
	v_add_co_u32 v2, s1, s24, v6
	v_add_co_ci_u32_e64 v3, null, s25, v7, s1
	v_lshl_add_u32 v13, v1, 6, 0x800
	v_add_co_u32 v4, s1, v14, v4
	v_add_co_ci_u32_e64 v5, null, v15, v5, s1
	v_mov_b32_e32 v6, 0
	v_add_co_u32 v4, s1, s18, v4
	v_add_co_ci_u32_e64 v5, null, s19, v5, s1
	v_mov_b32_e32 v15, 0
	v_mov_b32_e32 v14, 0
	;; [unrolled: 1-line block ×8, first 2 shown]
	s_ashr_i32 s3, s2, 31
	s_ashr_i32 s7, s6, 31
	s_lshl_b64 s[2:3], s[2:3], 6
	s_lshl_b64 s[6:7], s[6:7], 6
	s_xor_b32 s1, vcc_lo, -1
	s_xor_b32 s0, s0, -1
	s_branch .LBB100_8
.LBB100_7:                              ;   in Loop: Header=BB100_8 Depth=1
	s_or_b32 exec_lo, exec_lo, s16
	s_waitcnt lgkmcnt(0)
	s_barrier
	buffer_gl0_inv
	ds_read_b128 v[22:25], v13
	ds_read2_b64 v[26:29], v12 offset1:16
	ds_read_b128 v[30:33], v13 offset:1024
	ds_read_b128 v[34:37], v13 offset:16
	;; [unrolled: 1-line block ×4, first 2 shown]
	ds_read2_b64 v[46:49], v12 offset0:32 offset1:48
	ds_read_b128 v[50:53], v13 offset:1040
	v_add_co_u32 v2, vcc_lo, v2, s2
	v_add_co_ci_u32_e64 v3, null, s3, v3, vcc_lo
	v_add_co_u32 v4, vcc_lo, v4, s6
	v_add_co_ci_u32_e64 v5, null, s7, v5, vcc_lo
	s_add_i32 s22, s22, 8
	s_cmp_lt_i32 s22, s13
	s_waitcnt lgkmcnt(6)
	v_mul_f32_e32 v7, v23, v27
	v_mul_f32_e32 v54, v22, v27
	v_mul_f32_e32 v55, v23, v29
	v_mul_f32_e32 v56, v22, v29
	s_waitcnt lgkmcnt(5)
	v_mul_f32_e32 v57, v31, v27
	v_mul_f32_e32 v27, v30, v27
	v_mul_f32_e32 v58, v31, v29
	v_fma_f32 v7, v22, v26, -v7
	v_fmac_f32_e32 v54, v23, v26
	v_fma_f32 v22, v22, v28, -v55
	v_fmac_f32_e32 v56, v23, v28
	;; [unrolled: 2-line block ×3, first 2 shown]
	v_mul_f32_e32 v29, v30, v29
	v_fma_f32 v26, v30, v28, -v58
	v_add_f32_e32 v7, v20, v7
	v_add_f32_e32 v20, v21, v54
	v_add_f32_e32 v21, v18, v22
	v_add_f32_e32 v22, v19, v56
	v_add_f32_e32 v23, v16, v23
	v_add_f32_e32 v27, v17, v27
	s_waitcnt lgkmcnt(1)
	v_mul_f32_e32 v30, v25, v47
	ds_read2_b64 v[16:19], v12 offset0:64 offset1:80
	v_fmac_f32_e32 v29, v31, v28
	v_add_f32_e32 v14, v14, v26
	v_mul_f32_e32 v26, v24, v47
	v_fma_f32 v28, v24, v46, -v30
	v_mul_f32_e32 v30, v25, v49
	v_add_f32_e32 v15, v15, v29
	v_mul_f32_e32 v29, v24, v49
	v_fmac_f32_e32 v26, v25, v46
	v_add_f32_e32 v7, v7, v28
	v_fma_f32 v24, v24, v48, -v30
	v_mul_f32_e32 v28, v33, v47
	v_fmac_f32_e32 v29, v25, v48
	v_add_f32_e32 v26, v20, v26
	v_mul_f32_e32 v20, v32, v47
	v_add_f32_e32 v24, v21, v24
	v_fma_f32 v21, v32, v46, -v28
	v_mul_f32_e32 v25, v33, v49
	v_add_f32_e32 v28, v22, v29
	v_fmac_f32_e32 v20, v33, v46
	v_mul_f32_e32 v29, v32, v49
	v_add_f32_e32 v30, v23, v21
	v_fma_f32 v21, v32, v48, -v25
	s_waitcnt lgkmcnt(0)
	v_mul_f32_e32 v22, v35, v17
	v_add_f32_e32 v25, v27, v20
	v_fmac_f32_e32 v29, v33, v48
	v_mul_f32_e32 v27, v34, v17
	v_add_f32_e32 v14, v14, v21
	v_fma_f32 v31, v34, v16, -v22
	v_mul_f32_e32 v32, v35, v19
	ds_read2_b64 v[20:23], v12 offset0:96 offset1:112
	v_fmac_f32_e32 v27, v35, v16
	v_add_f32_e32 v29, v15, v29
	v_add_f32_e32 v7, v7, v31
	v_mul_f32_e32 v15, v34, v19
	v_fma_f32 v31, v34, v18, -v32
	v_add_f32_e32 v26, v26, v27
	v_mul_f32_e32 v27, v51, v17
	v_mul_f32_e32 v17, v50, v17
	v_fmac_f32_e32 v15, v35, v18
	v_add_f32_e32 v24, v24, v31
	v_mul_f32_e32 v31, v51, v19
	v_mul_f32_e32 v19, v50, v19
	v_fmac_f32_e32 v17, v51, v16
	v_add_f32_e32 v28, v28, v15
	v_fma_f32 v27, v50, v16, -v27
	v_fma_f32 v15, v50, v18, -v31
	v_fmac_f32_e32 v19, v51, v18
	v_add_f32_e32 v31, v25, v17
	s_waitcnt lgkmcnt(0)
	v_mul_f32_e32 v18, v37, v21
	v_add_f32_e32 v32, v14, v15
	ds_read2_b64 v[14:17], v12 offset0:128 offset1:144
	v_add_f32_e32 v30, v30, v27
	v_mul_f32_e32 v25, v36, v21
	v_fma_f32 v18, v36, v20, -v18
	v_mul_f32_e32 v27, v37, v23
	v_add_f32_e32 v29, v29, v19
	v_mul_f32_e32 v19, v36, v23
	v_fmac_f32_e32 v25, v37, v20
	v_add_f32_e32 v7, v7, v18
	v_mul_f32_e32 v18, v53, v21
	v_fma_f32 v27, v36, v22, -v27
	v_fmac_f32_e32 v19, v37, v22
	v_mul_f32_e32 v21, v52, v21
	v_mul_f32_e32 v35, v53, v23
	v_fma_f32 v18, v52, v20, -v18
	v_add_f32_e32 v33, v26, v25
	v_add_f32_e32 v34, v24, v27
	ds_read_b128 v[24:27], v13 offset:1056
	v_add_f32_e32 v36, v28, v19
	v_fmac_f32_e32 v21, v53, v20
	v_mul_f32_e32 v23, v52, v23
	v_fma_f32 v19, v52, v22, -v35
	v_add_f32_e32 v35, v30, v18
	s_waitcnt lgkmcnt(1)
	v_mul_f32_e32 v18, v39, v15
	v_add_f32_e32 v37, v31, v21
	v_fmac_f32_e32 v23, v53, v22
	v_add_f32_e32 v22, v32, v19
	v_mul_f32_e32 v32, v38, v15
	v_fma_f32 v28, v38, v14, -v18
	ds_read2_b64 v[18:21], v12 offset0:160 offset1:176
	v_mul_f32_e32 v30, v39, v17
	v_mul_f32_e32 v46, v38, v17
	v_fmac_f32_e32 v32, v39, v14
	v_add_f32_e32 v23, v29, v23
	v_add_f32_e32 v7, v7, v28
	v_fma_f32 v38, v38, v16, -v30
	ds_read_b128 v[28:31], v13 offset:1072
	s_waitcnt lgkmcnt(2)
	v_mul_f32_e32 v47, v25, v15
	v_add_f32_e32 v32, v33, v32
	v_mul_f32_e32 v15, v24, v15
	v_add_f32_e32 v33, v34, v38
	v_mul_f32_e32 v38, v25, v17
	v_fmac_f32_e32 v46, v39, v16
	v_fma_f32 v34, v24, v14, -v47
	v_fmac_f32_e32 v15, v25, v14
	v_mul_f32_e32 v39, v24, v17
	v_fma_f32 v14, v24, v16, -v38
	v_add_f32_e32 v36, v36, v46
	v_add_f32_e32 v34, v35, v34
	s_waitcnt lgkmcnt(1)
	v_mul_f32_e32 v17, v41, v19
	v_add_f32_e32 v24, v37, v15
	v_fmac_f32_e32 v39, v25, v16
	v_mul_f32_e32 v25, v40, v19
	v_add_f32_e32 v22, v22, v14
	v_fma_f32 v35, v40, v18, -v17
	ds_read2_b64 v[14:17], v12 offset0:192 offset1:208
	v_mul_f32_e32 v37, v41, v21
	v_fmac_f32_e32 v25, v41, v18
	v_add_f32_e32 v38, v23, v39
	v_add_f32_e32 v7, v7, v35
	v_mul_f32_e32 v23, v40, v21
	v_fma_f32 v35, v40, v20, -v37
	v_add_f32_e32 v32, v32, v25
	v_mul_f32_e32 v25, v27, v19
	v_mul_f32_e32 v19, v26, v19
	v_fmac_f32_e32 v23, v41, v20
	v_add_f32_e32 v33, v33, v35
	v_mul_f32_e32 v35, v27, v21
	v_fma_f32 v25, v26, v18, -v25
	v_fmac_f32_e32 v19, v27, v18
	v_add_f32_e32 v18, v36, v23
	v_mul_f32_e32 v21, v26, v21
	v_fma_f32 v23, v26, v20, -v35
	v_add_f32_e32 v26, v34, v25
	v_add_f32_e32 v19, v24, v19
	s_waitcnt lgkmcnt(0)
	v_mul_f32_e32 v34, v43, v15
	v_fmac_f32_e32 v21, v27, v20
	v_add_f32_e32 v20, v22, v23
	ds_read2_b64 v[22:25], v12 offset0:224 offset1:240
	v_mul_f32_e32 v27, v42, v15
	v_fma_f32 v34, v42, v14, -v34
	v_mul_f32_e32 v35, v43, v17
	v_mul_f32_e32 v36, v42, v17
	v_add_f32_e32 v21, v38, v21
	v_fmac_f32_e32 v27, v43, v14
	v_add_f32_e32 v7, v7, v34
	v_mul_f32_e32 v34, v29, v15
	v_fma_f32 v35, v42, v16, -v35
	v_fmac_f32_e32 v36, v43, v16
	v_add_f32_e32 v27, v32, v27
	v_mul_f32_e32 v15, v28, v15
	v_fma_f32 v32, v28, v14, -v34
	v_mul_f32_e32 v34, v29, v17
	v_add_f32_e32 v33, v33, v35
	v_add_f32_e32 v35, v18, v36
	v_fmac_f32_e32 v15, v29, v14
	v_add_f32_e32 v14, v26, v32
	v_mul_f32_e32 v17, v28, v17
	v_fma_f32 v18, v28, v16, -v34
	s_waitcnt lgkmcnt(0)
	v_mul_f32_e32 v26, v45, v23
	v_mul_f32_e32 v28, v44, v23
	v_add_f32_e32 v15, v19, v15
	v_fmac_f32_e32 v17, v29, v16
	v_add_f32_e32 v29, v20, v18
	v_fma_f32 v16, v44, v22, -v26
	v_mul_f32_e32 v18, v45, v25
	v_mul_f32_e32 v19, v44, v25
	v_add_f32_e32 v26, v21, v17
	v_mul_f32_e32 v17, v30, v23
	v_add_f32_e32 v20, v7, v16
	v_fma_f32 v7, v44, v24, -v18
	v_mul_f32_e32 v16, v31, v23
	v_mul_f32_e32 v23, v31, v25
	;; [unrolled: 1-line block ×3, first 2 shown]
	v_fmac_f32_e32 v28, v45, v22
	v_fmac_f32_e32 v19, v45, v24
	v_add_f32_e32 v18, v33, v7
	v_fma_f32 v7, v30, v22, -v16
	v_fmac_f32_e32 v17, v31, v22
	v_fma_f32 v22, v30, v24, -v23
	v_fmac_f32_e32 v25, v31, v24
	v_add_f32_e32 v21, v27, v28
	v_add_f32_e32 v19, v35, v19
	;; [unrolled: 1-line block ×6, first 2 shown]
	s_barrier
	buffer_gl0_inv
	s_cbranch_scc0 .LBB100_16
.LBB100_8:                              ; =>This Inner Loop Header: Depth=1
	v_add_nc_u32_e32 v7, s22, v9
	v_cmp_le_i32_e32 vcc_lo, s13, v7
	s_or_b32 s16, s1, vcc_lo
	s_and_saveexec_b32 s17, s16
	s_xor_b32 s16, exec_lo, s17
; %bb.9:                                ;   in Loop: Header=BB100_8 Depth=1
	v_mov_b32_e32 v7, v6
	ds_write_b64 v10, v[6:7]
; %bb.10:                               ;   in Loop: Header=BB100_8 Depth=1
	s_andn2_saveexec_b32 s16, s16
	s_cbranch_execz .LBB100_12
; %bb.11:                               ;   in Loop: Header=BB100_8 Depth=1
	global_load_dwordx2 v[22:23], v[2:3], off
	s_waitcnt vmcnt(0)
	ds_write_b64 v10, v[22:23]
.LBB100_12:                             ;   in Loop: Header=BB100_8 Depth=1
	s_or_b32 exec_lo, exec_lo, s16
	v_add_nc_u32_e32 v7, s22, v8
	v_cmp_le_i32_e32 vcc_lo, s13, v7
	s_or_b32 s16, vcc_lo, s0
	s_and_saveexec_b32 s17, s16
	s_xor_b32 s16, exec_lo, s17
; %bb.13:                               ;   in Loop: Header=BB100_8 Depth=1
	v_mov_b32_e32 v7, v6
	ds_write_b64 v11, v[6:7]
; %bb.14:                               ;   in Loop: Header=BB100_8 Depth=1
	s_andn2_saveexec_b32 s16, s16
	s_cbranch_execz .LBB100_7
; %bb.15:                               ;   in Loop: Header=BB100_8 Depth=1
	global_load_dwordx2 v[22:23], v[4:5], off
	s_waitcnt vmcnt(0)
	ds_write_b64 v11, v[22:23]
	s_branch .LBB100_7
.LBB100_16:
	s_clause 0x2
	s_load_dword s3, s[4:5], 0x50
	s_load_dwordx2 s[0:1], s[4:5], 0x58
	s_load_dwordx2 s[4:5], s[4:5], 0x48
	v_add_nc_u32_e32 v9, s21, v1
	v_add_nc_u32_e32 v0, s20, v0
	v_cmp_neq_f32_e64 s2, s10, 0
	v_cmp_le_i32_e32 vcc_lo, v9, v0
	s_waitcnt lgkmcnt(0)
	v_mad_i64_i32 v[1:2], null, v9, s3, 0
	s_mul_i32 s1, s1, s8
	s_mul_hi_u32 s7, s0, s8
	s_mul_i32 s6, s0, s8
	s_add_i32 s7, s7, s1
	v_cmp_gt_i32_e64 s0, s12, v0
	s_lshl_b64 s[6:7], s[6:7], 3
	v_lshlrev_b64 v[2:3], 3, v[1:2]
	s_add_u32 s4, s4, s6
	s_addc_u32 s5, s5, s7
	s_xor_b32 s6, s9, -1
	v_ashrrev_i32_e32 v1, 31, v0
	s_or_b32 s2, s2, s6
	v_add_co_u32 v6, s1, s4, v2
	v_add_co_ci_u32_e64 v7, null, s5, v3, s1
	v_cndmask_b32_e64 v8, 0, 1, s2
	s_and_b32 s6, vcc_lo, s0
	s_and_saveexec_b32 s1, s6
	s_cbranch_execz .LBB100_20
; %bb.17:
	v_lshlrev_b64 v[4:5], 3, v[0:1]
	v_mul_f32_e32 v2, s15, v21
	v_mul_f32_e32 v3, s14, v21
	v_fma_f32 v2, v20, s14, -v2
	v_add_co_u32 v4, vcc_lo, v6, v4
	v_fmac_f32_e32 v3, s15, v20
	v_add_co_ci_u32_e64 v5, null, v7, v5, vcc_lo
	s_andn2_b32 vcc_lo, exec_lo, s2
	s_cbranch_vccnz .LBB100_19
; %bb.18:
	global_load_dwordx2 v[10:11], v[4:5], off
	s_waitcnt vmcnt(0)
	v_mul_f32_e32 v12, s11, v11
	v_mul_f32_e32 v11, s10, v11
	v_fma_f32 v12, v10, s10, -v12
	v_fmac_f32_e32 v11, s11, v10
	v_add_f32_e32 v2, v2, v12
	v_add_f32_e32 v3, v3, v11
.LBB100_19:
	global_store_dwordx2 v[4:5], v[2:3], off
.LBB100_20:
	s_or_b32 exec_lo, exec_lo, s1
	v_add_nc_u32_e32 v2, 16, v0
	v_cmp_le_i32_e32 vcc_lo, v9, v2
	v_cmp_gt_i32_e64 s1, s12, v2
	v_ashrrev_i32_e32 v3, 31, v2
	s_and_b32 s2, vcc_lo, s1
	s_and_saveexec_b32 s6, s2
	s_cbranch_execz .LBB100_24
; %bb.21:
	v_lshlrev_b64 v[10:11], 3, v[2:3]
	v_mul_f32_e32 v4, s15, v19
	v_mul_f32_e32 v5, s14, v19
	v_cmp_ne_u32_e32 vcc_lo, 1, v8
	v_fma_f32 v4, v18, s14, -v4
	v_add_co_u32 v6, s2, v6, v10
	v_fmac_f32_e32 v5, s15, v18
	v_add_co_ci_u32_e64 v7, null, v7, v11, s2
	s_cbranch_vccnz .LBB100_23
; %bb.22:
	global_load_dwordx2 v[10:11], v[6:7], off
	s_waitcnt vmcnt(0)
	v_mul_f32_e32 v12, s11, v11
	v_mul_f32_e32 v11, s10, v11
	v_fma_f32 v12, v10, s10, -v12
	v_fmac_f32_e32 v11, s11, v10
	v_add_f32_e32 v4, v4, v12
	v_add_f32_e32 v5, v5, v11
.LBB100_23:
	global_store_dwordx2 v[6:7], v[4:5], off
.LBB100_24:
	s_or_b32 exec_lo, exec_lo, s6
	v_add_nc_u32_e32 v9, 16, v9
	v_mad_i64_i32 v[4:5], null, v9, s3, 0
	v_cmp_le_i32_e32 vcc_lo, v9, v0
	s_and_b32 s0, vcc_lo, s0
	v_lshlrev_b64 v[4:5], 3, v[4:5]
	v_add_co_u32 v6, s2, s4, v4
	v_add_co_ci_u32_e64 v7, null, s5, v5, s2
	s_and_saveexec_b32 s2, s0
	s_cbranch_execz .LBB100_28
; %bb.25:
	v_lshlrev_b64 v[0:1], 3, v[0:1]
	v_mul_f32_e32 v4, s15, v17
	v_mul_f32_e32 v5, s14, v17
	v_cmp_ne_u32_e32 vcc_lo, 1, v8
	v_fma_f32 v4, v16, s14, -v4
	v_add_co_u32 v0, s0, v6, v0
	v_fmac_f32_e32 v5, s15, v16
	v_add_co_ci_u32_e64 v1, null, v7, v1, s0
	s_cbranch_vccnz .LBB100_27
; %bb.26:
	global_load_dwordx2 v[10:11], v[0:1], off
	s_waitcnt vmcnt(0)
	v_mul_f32_e32 v12, s11, v11
	v_mul_f32_e32 v11, s10, v11
	v_fma_f32 v12, v10, s10, -v12
	v_fmac_f32_e32 v11, s11, v10
	v_add_f32_e32 v4, v4, v12
	v_add_f32_e32 v5, v5, v11
.LBB100_27:
	global_store_dwordx2 v[0:1], v[4:5], off
.LBB100_28:
	s_or_b32 exec_lo, exec_lo, s2
	v_cmp_le_i32_e32 vcc_lo, v9, v2
	s_and_b32 s0, vcc_lo, s1
	s_and_saveexec_b32 s1, s0
	s_cbranch_execz .LBB100_32
; %bb.29:
	v_lshlrev_b64 v[2:3], 3, v[2:3]
	v_mul_f32_e32 v0, s15, v15
	v_mul_f32_e32 v1, s14, v15
	v_cmp_ne_u32_e32 vcc_lo, 1, v8
	v_fma_f32 v0, v14, s14, -v0
	v_add_co_u32 v2, s0, v6, v2
	v_fmac_f32_e32 v1, s15, v14
	v_add_co_ci_u32_e64 v3, null, v7, v3, s0
	s_cbranch_vccnz .LBB100_31
; %bb.30:
	global_load_dwordx2 v[4:5], v[2:3], off
	s_waitcnt vmcnt(0)
	v_mul_f32_e32 v6, s11, v5
	v_mul_f32_e32 v5, s10, v5
	v_fma_f32 v6, v4, s10, -v6
	v_fmac_f32_e32 v5, s11, v4
	v_add_f32_e32 v0, v0, v6
	v_add_f32_e32 v1, v1, v5
.LBB100_31:
	global_store_dwordx2 v[2:3], v[0:1], off
.LBB100_32:
	s_endpgm
	.section	.rodata,"a",@progbits
	.p2align	6, 0x0
	.amdhsa_kernel _ZL29rocblas_internal_gemmt_kernelIiLi16ELi32ELi8ELc78ELc84ELc76ELb0ELb0E19rocblas_complex_numIfES1_PKS1_PS1_EviT_T9_T10_S5_lS7_S5_lS6_T11_S5_li
		.amdhsa_group_segment_fixed_size 4096
		.amdhsa_private_segment_fixed_size 0
		.amdhsa_kernarg_size 100
		.amdhsa_user_sgpr_count 6
		.amdhsa_user_sgpr_private_segment_buffer 1
		.amdhsa_user_sgpr_dispatch_ptr 0
		.amdhsa_user_sgpr_queue_ptr 0
		.amdhsa_user_sgpr_kernarg_segment_ptr 1
		.amdhsa_user_sgpr_dispatch_id 0
		.amdhsa_user_sgpr_flat_scratch_init 0
		.amdhsa_user_sgpr_private_segment_size 0
		.amdhsa_wavefront_size32 1
		.amdhsa_uses_dynamic_stack 0
		.amdhsa_system_sgpr_private_segment_wavefront_offset 0
		.amdhsa_system_sgpr_workgroup_id_x 1
		.amdhsa_system_sgpr_workgroup_id_y 1
		.amdhsa_system_sgpr_workgroup_id_z 1
		.amdhsa_system_sgpr_workgroup_info 0
		.amdhsa_system_vgpr_workitem_id 1
		.amdhsa_next_free_vgpr 59
		.amdhsa_next_free_sgpr 28
		.amdhsa_reserve_vcc 1
		.amdhsa_reserve_flat_scratch 0
		.amdhsa_float_round_mode_32 0
		.amdhsa_float_round_mode_16_64 0
		.amdhsa_float_denorm_mode_32 3
		.amdhsa_float_denorm_mode_16_64 3
		.amdhsa_dx10_clamp 1
		.amdhsa_ieee_mode 1
		.amdhsa_fp16_overflow 0
		.amdhsa_workgroup_processor_mode 1
		.amdhsa_memory_ordered 1
		.amdhsa_forward_progress 1
		.amdhsa_shared_vgpr_count 0
		.amdhsa_exception_fp_ieee_invalid_op 0
		.amdhsa_exception_fp_denorm_src 0
		.amdhsa_exception_fp_ieee_div_zero 0
		.amdhsa_exception_fp_ieee_overflow 0
		.amdhsa_exception_fp_ieee_underflow 0
		.amdhsa_exception_fp_ieee_inexact 0
		.amdhsa_exception_int_div_zero 0
	.end_amdhsa_kernel
	.section	.text._ZL29rocblas_internal_gemmt_kernelIiLi16ELi32ELi8ELc78ELc84ELc76ELb0ELb0E19rocblas_complex_numIfES1_PKS1_PS1_EviT_T9_T10_S5_lS7_S5_lS6_T11_S5_li,"axG",@progbits,_ZL29rocblas_internal_gemmt_kernelIiLi16ELi32ELi8ELc78ELc84ELc76ELb0ELb0E19rocblas_complex_numIfES1_PKS1_PS1_EviT_T9_T10_S5_lS7_S5_lS6_T11_S5_li,comdat
.Lfunc_end100:
	.size	_ZL29rocblas_internal_gemmt_kernelIiLi16ELi32ELi8ELc78ELc84ELc76ELb0ELb0E19rocblas_complex_numIfES1_PKS1_PS1_EviT_T9_T10_S5_lS7_S5_lS6_T11_S5_li, .Lfunc_end100-_ZL29rocblas_internal_gemmt_kernelIiLi16ELi32ELi8ELc78ELc84ELc76ELb0ELb0E19rocblas_complex_numIfES1_PKS1_PS1_EviT_T9_T10_S5_lS7_S5_lS6_T11_S5_li
                                        ; -- End function
	.set _ZL29rocblas_internal_gemmt_kernelIiLi16ELi32ELi8ELc78ELc84ELc76ELb0ELb0E19rocblas_complex_numIfES1_PKS1_PS1_EviT_T9_T10_S5_lS7_S5_lS6_T11_S5_li.num_vgpr, 59
	.set _ZL29rocblas_internal_gemmt_kernelIiLi16ELi32ELi8ELc78ELc84ELc76ELb0ELb0E19rocblas_complex_numIfES1_PKS1_PS1_EviT_T9_T10_S5_lS7_S5_lS6_T11_S5_li.num_agpr, 0
	.set _ZL29rocblas_internal_gemmt_kernelIiLi16ELi32ELi8ELc78ELc84ELc76ELb0ELb0E19rocblas_complex_numIfES1_PKS1_PS1_EviT_T9_T10_S5_lS7_S5_lS6_T11_S5_li.numbered_sgpr, 28
	.set _ZL29rocblas_internal_gemmt_kernelIiLi16ELi32ELi8ELc78ELc84ELc76ELb0ELb0E19rocblas_complex_numIfES1_PKS1_PS1_EviT_T9_T10_S5_lS7_S5_lS6_T11_S5_li.num_named_barrier, 0
	.set _ZL29rocblas_internal_gemmt_kernelIiLi16ELi32ELi8ELc78ELc84ELc76ELb0ELb0E19rocblas_complex_numIfES1_PKS1_PS1_EviT_T9_T10_S5_lS7_S5_lS6_T11_S5_li.private_seg_size, 0
	.set _ZL29rocblas_internal_gemmt_kernelIiLi16ELi32ELi8ELc78ELc84ELc76ELb0ELb0E19rocblas_complex_numIfES1_PKS1_PS1_EviT_T9_T10_S5_lS7_S5_lS6_T11_S5_li.uses_vcc, 1
	.set _ZL29rocblas_internal_gemmt_kernelIiLi16ELi32ELi8ELc78ELc84ELc76ELb0ELb0E19rocblas_complex_numIfES1_PKS1_PS1_EviT_T9_T10_S5_lS7_S5_lS6_T11_S5_li.uses_flat_scratch, 0
	.set _ZL29rocblas_internal_gemmt_kernelIiLi16ELi32ELi8ELc78ELc84ELc76ELb0ELb0E19rocblas_complex_numIfES1_PKS1_PS1_EviT_T9_T10_S5_lS7_S5_lS6_T11_S5_li.has_dyn_sized_stack, 0
	.set _ZL29rocblas_internal_gemmt_kernelIiLi16ELi32ELi8ELc78ELc84ELc76ELb0ELb0E19rocblas_complex_numIfES1_PKS1_PS1_EviT_T9_T10_S5_lS7_S5_lS6_T11_S5_li.has_recursion, 0
	.set _ZL29rocblas_internal_gemmt_kernelIiLi16ELi32ELi8ELc78ELc84ELc76ELb0ELb0E19rocblas_complex_numIfES1_PKS1_PS1_EviT_T9_T10_S5_lS7_S5_lS6_T11_S5_li.has_indirect_call, 0
	.section	.AMDGPU.csdata,"",@progbits
; Kernel info:
; codeLenInByte = 2532
; TotalNumSgprs: 30
; NumVgprs: 59
; ScratchSize: 0
; MemoryBound: 1
; FloatMode: 240
; IeeeMode: 1
; LDSByteSize: 4096 bytes/workgroup (compile time only)
; SGPRBlocks: 0
; VGPRBlocks: 7
; NumSGPRsForWavesPerEU: 30
; NumVGPRsForWavesPerEU: 59
; Occupancy: 16
; WaveLimiterHint : 0
; COMPUTE_PGM_RSRC2:SCRATCH_EN: 0
; COMPUTE_PGM_RSRC2:USER_SGPR: 6
; COMPUTE_PGM_RSRC2:TRAP_HANDLER: 0
; COMPUTE_PGM_RSRC2:TGID_X_EN: 1
; COMPUTE_PGM_RSRC2:TGID_Y_EN: 1
; COMPUTE_PGM_RSRC2:TGID_Z_EN: 1
; COMPUTE_PGM_RSRC2:TIDIG_COMP_CNT: 1
	.section	.text._ZL29rocblas_internal_gemmt_kernelIiLi16ELi32ELi8ELc78ELc67ELc76ELb0ELb1E19rocblas_complex_numIfES1_PKS1_PS1_EviT_T9_T10_S5_lS7_S5_lS6_T11_S5_li,"axG",@progbits,_ZL29rocblas_internal_gemmt_kernelIiLi16ELi32ELi8ELc78ELc67ELc76ELb0ELb1E19rocblas_complex_numIfES1_PKS1_PS1_EviT_T9_T10_S5_lS7_S5_lS6_T11_S5_li,comdat
	.globl	_ZL29rocblas_internal_gemmt_kernelIiLi16ELi32ELi8ELc78ELc67ELc76ELb0ELb1E19rocblas_complex_numIfES1_PKS1_PS1_EviT_T9_T10_S5_lS7_S5_lS6_T11_S5_li ; -- Begin function _ZL29rocblas_internal_gemmt_kernelIiLi16ELi32ELi8ELc78ELc67ELc76ELb0ELb1E19rocblas_complex_numIfES1_PKS1_PS1_EviT_T9_T10_S5_lS7_S5_lS6_T11_S5_li
	.p2align	8
	.type	_ZL29rocblas_internal_gemmt_kernelIiLi16ELi32ELi8ELc78ELc67ELc76ELb0ELb1E19rocblas_complex_numIfES1_PKS1_PS1_EviT_T9_T10_S5_lS7_S5_lS6_T11_S5_li,@function
_ZL29rocblas_internal_gemmt_kernelIiLi16ELi32ELi8ELc78ELc67ELc76ELb0ELb1E19rocblas_complex_numIfES1_PKS1_PS1_EviT_T9_T10_S5_lS7_S5_lS6_T11_S5_li: ; @_ZL29rocblas_internal_gemmt_kernelIiLi16ELi32ELi8ELc78ELc67ELc76ELb0ELb1E19rocblas_complex_numIfES1_PKS1_PS1_EviT_T9_T10_S5_lS7_S5_lS6_T11_S5_li
; %bb.0:
	s_clause 0x1
	s_load_dwordx2 s[10:11], s[4:5], 0x40
	s_load_dwordx4 s[12:15], s[4:5], 0x0
	s_waitcnt lgkmcnt(0)
	s_and_b32 s0, s11, 0x7fffffff
	v_cmp_eq_f32_e64 s1, s10, 1.0
	s_cmp_eq_u32 s0, 0
	s_mov_b32 s0, 0
	s_cselect_b32 s9, -1, 0
	s_and_b32 s1, s1, s9
	s_andn2_b32 vcc_lo, exec_lo, s1
	s_mov_b32 s1, -1
	s_cbranch_vccnz .LBB101_4
; %bb.1:
	s_cmp_lg_u32 s13, 0
	s_cbranch_scc0 .LBB101_3
; %bb.2:
	v_cmp_neq_f32_e64 s0, s14, 0
	v_cmp_neq_f32_e64 s1, s15, 0
	s_or_b32 s0, s0, s1
.LBB101_3:
	s_mov_b32 s1, s0
.LBB101_4:
	s_and_b32 vcc_lo, exec_lo, s1
	s_cbranch_vccz .LBB101_32
; %bb.5:
	v_cmp_eq_f32_e64 s0, s14, 0
	v_cmp_eq_f32_e64 s1, s15, 0
	s_lshl_b32 s20, s6, 5
	s_lshl_b32 s21, s7, 5
	v_mov_b32_e32 v20, 0
	v_mov_b32_e32 v21, 0
	s_and_b32 s0, s0, s1
	s_cmp_lt_i32 s13, 1
	v_mov_b32_e32 v18, 0
	s_cselect_b32 s1, -1, 0
	v_mov_b32_e32 v19, 0
	v_mov_b32_e32 v16, 0
	;; [unrolled: 1-line block ×5, first 2 shown]
	s_or_b32 s0, s0, s1
	s_mov_b32 s22, 0
	s_and_b32 vcc_lo, exec_lo, s0
	s_cbranch_vccnz .LBB101_16
; %bb.6:
	s_clause 0x1
	s_load_dword s2, s[4:5], 0x18
	s_load_dword s6, s[4:5], 0x30
	v_lshl_add_u32 v2, v1, 4, v0
	s_clause 0x1
	s_load_dwordx4 s[16:19], s[4:5], 0x20
	s_load_dwordx2 s[24:25], s[4:5], 0x10
	v_and_b32_e32 v8, 7, v0
	s_load_dwordx2 s[26:27], s[4:5], 0x38
	v_and_b32_e32 v6, 31, v2
	v_lshrrev_b32_e32 v3, 3, v2
	v_lshrrev_b32_e32 v9, 5, v2
	v_lshlrev_b32_e32 v4, 3, v8
	v_lshlrev_b32_e32 v12, 3, v0
	v_or_b32_e32 v5, s20, v6
	v_add_nc_u32_e32 v2, s21, v3
	v_lshlrev_b32_e32 v7, 3, v6
	v_lshl_or_b32 v3, v3, 6, v4
	v_add_nc_u32_e32 v6, s20, v6
	v_cmp_gt_i32_e32 vcc_lo, s12, v5
	v_cmp_gt_i32_e64 s0, s12, v2
	v_lshl_or_b32 v10, v9, 8, v7
	s_waitcnt lgkmcnt(0)
	v_mad_i64_i32 v[4:5], null, v9, s2, 0
	v_mad_i64_i32 v[14:15], null, s6, v8, 0
	s_mul_i32 s1, s17, s8
	s_mul_hi_u32 s17, s16, s8
	s_mul_i32 s16, s16, s8
	s_add_i32 s17, s17, s1
	v_lshlrev_b64 v[4:5], 3, v[4:5]
	s_lshl_b64 s[16:17], s[16:17], 3
	v_ashrrev_i32_e32 v7, 31, v6
	v_add_nc_u32_e32 v11, 0x800, v3
	v_ashrrev_i32_e32 v3, 31, v2
	v_lshl_add_u32 v13, v1, 6, 0x800
	v_add_co_u32 v16, s1, v4, s16
	v_add_co_ci_u32_e64 v17, null, s17, v5, s1
	s_mul_i32 s1, s27, s8
	s_mul_hi_u32 s16, s26, s8
	v_lshlrev_b64 v[4:5], 3, v[14:15]
	s_add_i32 s17, s16, s1
	s_mul_i32 s16, s26, s8
	v_lshlrev_b64 v[6:7], 3, v[6:7]
	s_lshl_b64 s[16:17], s[16:17], 3
	v_lshlrev_b64 v[2:3], 3, v[2:3]
	v_add_co_u32 v4, s1, s16, v4
	v_add_co_ci_u32_e64 v5, null, s17, v5, s1
	v_add_co_u32 v6, s1, v16, v6
	v_add_co_ci_u32_e64 v7, null, v17, v7, s1
	;; [unrolled: 2-line block ×5, first 2 shown]
	v_mov_b32_e32 v6, 0
	v_add_co_u32 v4, s1, v4, 4
	v_add_co_ci_u32_e64 v5, null, 0, v5, s1
	v_mov_b32_e32 v15, 0
	v_mov_b32_e32 v14, 0
	;; [unrolled: 1-line block ×8, first 2 shown]
	s_ashr_i32 s3, s2, 31
	s_ashr_i32 s7, s6, 31
	s_lshl_b64 s[2:3], s[2:3], 6
	s_lshl_b64 s[6:7], s[6:7], 6
	s_xor_b32 s1, vcc_lo, -1
	s_xor_b32 s0, s0, -1
	s_branch .LBB101_8
.LBB101_7:                              ;   in Loop: Header=BB101_8 Depth=1
	s_or_b32 exec_lo, exec_lo, s16
	ds_write_b32 v11, v7 offset:4
	s_waitcnt lgkmcnt(0)
	s_barrier
	buffer_gl0_inv
	ds_read_b128 v[22:25], v13
	ds_read2_b64 v[26:29], v12 offset1:16
	ds_read_b128 v[30:33], v13 offset:1024
	ds_read_b128 v[34:37], v13 offset:16
	;; [unrolled: 1-line block ×4, first 2 shown]
	ds_read2_b64 v[46:49], v12 offset0:32 offset1:48
	ds_read_b128 v[50:53], v13 offset:1040
	v_add_co_u32 v2, vcc_lo, v2, s2
	v_add_co_ci_u32_e64 v3, null, s3, v3, vcc_lo
	v_add_co_u32 v4, vcc_lo, v4, s6
	v_add_co_ci_u32_e64 v5, null, s7, v5, vcc_lo
	s_add_i32 s22, s22, 8
	s_cmp_lt_i32 s22, s13
	s_waitcnt lgkmcnt(6)
	v_mul_f32_e32 v7, v23, v27
	v_mul_f32_e32 v54, v22, v27
	;; [unrolled: 1-line block ×4, first 2 shown]
	s_waitcnt lgkmcnt(5)
	v_mul_f32_e32 v57, v31, v27
	v_mul_f32_e32 v27, v30, v27
	;; [unrolled: 1-line block ×3, first 2 shown]
	v_fma_f32 v7, v22, v26, -v7
	v_fmac_f32_e32 v54, v23, v26
	v_fma_f32 v22, v22, v28, -v55
	v_fmac_f32_e32 v56, v23, v28
	;; [unrolled: 2-line block ×3, first 2 shown]
	v_mul_f32_e32 v29, v30, v29
	v_fma_f32 v26, v30, v28, -v58
	v_add_f32_e32 v7, v20, v7
	v_add_f32_e32 v20, v21, v54
	;; [unrolled: 1-line block ×6, first 2 shown]
	s_waitcnt lgkmcnt(1)
	v_mul_f32_e32 v30, v25, v47
	ds_read2_b64 v[16:19], v12 offset0:64 offset1:80
	v_fmac_f32_e32 v29, v31, v28
	v_add_f32_e32 v14, v14, v26
	v_mul_f32_e32 v26, v24, v47
	v_fma_f32 v28, v24, v46, -v30
	v_mul_f32_e32 v30, v25, v49
	v_add_f32_e32 v15, v15, v29
	v_mul_f32_e32 v29, v24, v49
	v_fmac_f32_e32 v26, v25, v46
	v_add_f32_e32 v7, v7, v28
	v_fma_f32 v24, v24, v48, -v30
	v_mul_f32_e32 v28, v33, v47
	v_fmac_f32_e32 v29, v25, v48
	v_add_f32_e32 v26, v20, v26
	v_mul_f32_e32 v20, v32, v47
	v_add_f32_e32 v24, v21, v24
	v_fma_f32 v21, v32, v46, -v28
	v_mul_f32_e32 v25, v33, v49
	v_add_f32_e32 v28, v22, v29
	v_fmac_f32_e32 v20, v33, v46
	v_mul_f32_e32 v29, v32, v49
	v_add_f32_e32 v30, v23, v21
	v_fma_f32 v21, v32, v48, -v25
	s_waitcnt lgkmcnt(0)
	v_mul_f32_e32 v22, v35, v17
	v_add_f32_e32 v25, v27, v20
	v_fmac_f32_e32 v29, v33, v48
	v_mul_f32_e32 v27, v34, v17
	v_add_f32_e32 v14, v14, v21
	v_fma_f32 v31, v34, v16, -v22
	v_mul_f32_e32 v32, v35, v19
	ds_read2_b64 v[20:23], v12 offset0:96 offset1:112
	v_fmac_f32_e32 v27, v35, v16
	v_add_f32_e32 v29, v15, v29
	v_add_f32_e32 v7, v7, v31
	v_mul_f32_e32 v15, v34, v19
	v_fma_f32 v31, v34, v18, -v32
	v_add_f32_e32 v26, v26, v27
	v_mul_f32_e32 v27, v51, v17
	v_mul_f32_e32 v17, v50, v17
	v_fmac_f32_e32 v15, v35, v18
	v_add_f32_e32 v24, v24, v31
	v_mul_f32_e32 v31, v51, v19
	v_mul_f32_e32 v19, v50, v19
	v_fmac_f32_e32 v17, v51, v16
	v_add_f32_e32 v28, v28, v15
	v_fma_f32 v27, v50, v16, -v27
	v_fma_f32 v15, v50, v18, -v31
	v_fmac_f32_e32 v19, v51, v18
	v_add_f32_e32 v31, v25, v17
	s_waitcnt lgkmcnt(0)
	v_mul_f32_e32 v18, v37, v21
	v_add_f32_e32 v32, v14, v15
	ds_read2_b64 v[14:17], v12 offset0:128 offset1:144
	v_add_f32_e32 v30, v30, v27
	v_mul_f32_e32 v25, v36, v21
	v_fma_f32 v18, v36, v20, -v18
	v_mul_f32_e32 v27, v37, v23
	v_add_f32_e32 v29, v29, v19
	v_mul_f32_e32 v19, v36, v23
	v_fmac_f32_e32 v25, v37, v20
	v_add_f32_e32 v7, v7, v18
	v_mul_f32_e32 v18, v53, v21
	v_fma_f32 v27, v36, v22, -v27
	v_fmac_f32_e32 v19, v37, v22
	v_mul_f32_e32 v21, v52, v21
	v_mul_f32_e32 v35, v53, v23
	v_fma_f32 v18, v52, v20, -v18
	v_add_f32_e32 v33, v26, v25
	v_add_f32_e32 v34, v24, v27
	ds_read_b128 v[24:27], v13 offset:1056
	v_add_f32_e32 v36, v28, v19
	v_fmac_f32_e32 v21, v53, v20
	v_mul_f32_e32 v23, v52, v23
	v_fma_f32 v19, v52, v22, -v35
	v_add_f32_e32 v35, v30, v18
	s_waitcnt lgkmcnt(1)
	v_mul_f32_e32 v18, v39, v15
	v_add_f32_e32 v37, v31, v21
	v_fmac_f32_e32 v23, v53, v22
	v_add_f32_e32 v22, v32, v19
	v_mul_f32_e32 v32, v38, v15
	v_fma_f32 v28, v38, v14, -v18
	ds_read2_b64 v[18:21], v12 offset0:160 offset1:176
	v_mul_f32_e32 v30, v39, v17
	v_mul_f32_e32 v46, v38, v17
	v_fmac_f32_e32 v32, v39, v14
	v_add_f32_e32 v23, v29, v23
	v_add_f32_e32 v7, v7, v28
	v_fma_f32 v38, v38, v16, -v30
	ds_read_b128 v[28:31], v13 offset:1072
	s_waitcnt lgkmcnt(2)
	v_mul_f32_e32 v47, v25, v15
	v_add_f32_e32 v32, v33, v32
	v_mul_f32_e32 v15, v24, v15
	v_add_f32_e32 v33, v34, v38
	v_mul_f32_e32 v38, v25, v17
	v_fmac_f32_e32 v46, v39, v16
	v_fma_f32 v34, v24, v14, -v47
	v_fmac_f32_e32 v15, v25, v14
	v_mul_f32_e32 v39, v24, v17
	v_fma_f32 v14, v24, v16, -v38
	v_add_f32_e32 v36, v36, v46
	v_add_f32_e32 v34, v35, v34
	s_waitcnt lgkmcnt(1)
	v_mul_f32_e32 v17, v41, v19
	v_add_f32_e32 v24, v37, v15
	v_fmac_f32_e32 v39, v25, v16
	v_mul_f32_e32 v25, v40, v19
	v_add_f32_e32 v22, v22, v14
	v_fma_f32 v35, v40, v18, -v17
	ds_read2_b64 v[14:17], v12 offset0:192 offset1:208
	v_mul_f32_e32 v37, v41, v21
	v_fmac_f32_e32 v25, v41, v18
	v_add_f32_e32 v38, v23, v39
	v_add_f32_e32 v7, v7, v35
	v_mul_f32_e32 v23, v40, v21
	v_fma_f32 v35, v40, v20, -v37
	v_add_f32_e32 v32, v32, v25
	v_mul_f32_e32 v25, v27, v19
	v_mul_f32_e32 v19, v26, v19
	v_fmac_f32_e32 v23, v41, v20
	v_add_f32_e32 v33, v33, v35
	v_mul_f32_e32 v35, v27, v21
	v_fma_f32 v25, v26, v18, -v25
	v_fmac_f32_e32 v19, v27, v18
	v_add_f32_e32 v18, v36, v23
	v_mul_f32_e32 v21, v26, v21
	v_fma_f32 v23, v26, v20, -v35
	v_add_f32_e32 v26, v34, v25
	v_add_f32_e32 v19, v24, v19
	s_waitcnt lgkmcnt(0)
	v_mul_f32_e32 v34, v43, v15
	v_fmac_f32_e32 v21, v27, v20
	v_add_f32_e32 v20, v22, v23
	ds_read2_b64 v[22:25], v12 offset0:224 offset1:240
	v_mul_f32_e32 v27, v42, v15
	v_fma_f32 v34, v42, v14, -v34
	v_mul_f32_e32 v35, v43, v17
	v_mul_f32_e32 v36, v42, v17
	v_add_f32_e32 v21, v38, v21
	v_fmac_f32_e32 v27, v43, v14
	v_add_f32_e32 v7, v7, v34
	v_mul_f32_e32 v34, v29, v15
	v_fma_f32 v35, v42, v16, -v35
	v_fmac_f32_e32 v36, v43, v16
	v_add_f32_e32 v27, v32, v27
	v_mul_f32_e32 v15, v28, v15
	v_fma_f32 v32, v28, v14, -v34
	v_mul_f32_e32 v34, v29, v17
	v_add_f32_e32 v33, v33, v35
	v_add_f32_e32 v35, v18, v36
	v_fmac_f32_e32 v15, v29, v14
	v_add_f32_e32 v14, v26, v32
	v_mul_f32_e32 v17, v28, v17
	v_fma_f32 v18, v28, v16, -v34
	s_waitcnt lgkmcnt(0)
	v_mul_f32_e32 v26, v45, v23
	v_mul_f32_e32 v28, v44, v23
	v_add_f32_e32 v15, v19, v15
	v_fmac_f32_e32 v17, v29, v16
	v_add_f32_e32 v29, v20, v18
	v_fma_f32 v16, v44, v22, -v26
	v_mul_f32_e32 v18, v45, v25
	v_mul_f32_e32 v19, v44, v25
	v_add_f32_e32 v26, v21, v17
	v_mul_f32_e32 v17, v30, v23
	v_add_f32_e32 v20, v7, v16
	v_fma_f32 v7, v44, v24, -v18
	v_mul_f32_e32 v16, v31, v23
	v_mul_f32_e32 v23, v31, v25
	;; [unrolled: 1-line block ×3, first 2 shown]
	v_fmac_f32_e32 v28, v45, v22
	v_fmac_f32_e32 v19, v45, v24
	v_add_f32_e32 v18, v33, v7
	v_fma_f32 v7, v30, v22, -v16
	v_fmac_f32_e32 v17, v31, v22
	v_fma_f32 v22, v30, v24, -v23
	v_fmac_f32_e32 v25, v31, v24
	v_add_f32_e32 v21, v27, v28
	v_add_f32_e32 v19, v35, v19
	;; [unrolled: 1-line block ×6, first 2 shown]
	s_barrier
	buffer_gl0_inv
	s_cbranch_scc0 .LBB101_16
.LBB101_8:                              ; =>This Inner Loop Header: Depth=1
	v_add_nc_u32_e32 v7, s22, v9
	v_cmp_le_i32_e32 vcc_lo, s13, v7
	s_or_b32 s16, s1, vcc_lo
	s_and_saveexec_b32 s17, s16
	s_xor_b32 s16, exec_lo, s17
; %bb.9:                                ;   in Loop: Header=BB101_8 Depth=1
	v_mov_b32_e32 v7, v6
	ds_write_b64 v10, v[6:7]
; %bb.10:                               ;   in Loop: Header=BB101_8 Depth=1
	s_andn2_saveexec_b32 s16, s16
	s_cbranch_execz .LBB101_12
; %bb.11:                               ;   in Loop: Header=BB101_8 Depth=1
	global_load_dwordx2 v[22:23], v[2:3], off
	s_waitcnt vmcnt(0)
	ds_write_b64 v10, v[22:23]
.LBB101_12:                             ;   in Loop: Header=BB101_8 Depth=1
	s_or_b32 exec_lo, exec_lo, s16
	v_add_nc_u32_e32 v7, s22, v8
	v_cmp_le_i32_e32 vcc_lo, s13, v7
	s_or_b32 s16, vcc_lo, s0
	s_and_saveexec_b32 s17, s16
	s_xor_b32 s16, exec_lo, s17
; %bb.13:                               ;   in Loop: Header=BB101_8 Depth=1
	ds_write_b32 v11, v6
; %bb.14:                               ;   in Loop: Header=BB101_8 Depth=1
	s_or_saveexec_b32 s16, s16
	v_mov_b32_e32 v7, 0
	s_xor_b32 exec_lo, exec_lo, s16
	s_cbranch_execz .LBB101_7
; %bb.15:                               ;   in Loop: Header=BB101_8 Depth=1
	global_load_dwordx2 v[22:23], v[4:5], off offset:-4
	s_waitcnt vmcnt(0)
	v_xor_b32_e32 v7, 0x80000000, v23
	ds_write_b32 v11, v22
	s_branch .LBB101_7
.LBB101_16:
	s_clause 0x2
	s_load_dword s3, s[4:5], 0x50
	s_load_dwordx2 s[0:1], s[4:5], 0x58
	s_load_dwordx2 s[4:5], s[4:5], 0x48
	v_add_nc_u32_e32 v9, s21, v1
	v_add_nc_u32_e32 v0, s20, v0
	v_cmp_neq_f32_e64 s2, s10, 0
	v_cmp_le_i32_e32 vcc_lo, v9, v0
	s_waitcnt lgkmcnt(0)
	v_mad_i64_i32 v[1:2], null, v9, s3, 0
	s_mul_i32 s1, s1, s8
	s_mul_hi_u32 s7, s0, s8
	s_mul_i32 s6, s0, s8
	s_add_i32 s7, s7, s1
	v_cmp_gt_i32_e64 s0, s12, v0
	s_lshl_b64 s[6:7], s[6:7], 3
	v_lshlrev_b64 v[2:3], 3, v[1:2]
	s_add_u32 s4, s4, s6
	s_addc_u32 s5, s5, s7
	s_xor_b32 s6, s9, -1
	v_ashrrev_i32_e32 v1, 31, v0
	s_or_b32 s2, s2, s6
	v_add_co_u32 v6, s1, s4, v2
	v_add_co_ci_u32_e64 v7, null, s5, v3, s1
	v_cndmask_b32_e64 v8, 0, 1, s2
	s_and_b32 s6, vcc_lo, s0
	s_and_saveexec_b32 s1, s6
	s_cbranch_execz .LBB101_20
; %bb.17:
	v_lshlrev_b64 v[4:5], 3, v[0:1]
	v_mul_f32_e32 v2, s15, v21
	v_mul_f32_e32 v3, s14, v21
	v_fma_f32 v2, v20, s14, -v2
	v_add_co_u32 v4, vcc_lo, v6, v4
	v_fmac_f32_e32 v3, s15, v20
	v_add_co_ci_u32_e64 v5, null, v7, v5, vcc_lo
	s_andn2_b32 vcc_lo, exec_lo, s2
	s_cbranch_vccnz .LBB101_19
; %bb.18:
	global_load_dwordx2 v[10:11], v[4:5], off
	s_waitcnt vmcnt(0)
	v_mul_f32_e32 v12, s11, v11
	v_mul_f32_e32 v11, s10, v11
	v_fma_f32 v12, v10, s10, -v12
	v_fmac_f32_e32 v11, s11, v10
	v_add_f32_e32 v2, v2, v12
	v_add_f32_e32 v3, v3, v11
.LBB101_19:
	global_store_dwordx2 v[4:5], v[2:3], off
.LBB101_20:
	s_or_b32 exec_lo, exec_lo, s1
	v_add_nc_u32_e32 v2, 16, v0
	v_cmp_le_i32_e32 vcc_lo, v9, v2
	v_cmp_gt_i32_e64 s1, s12, v2
	v_ashrrev_i32_e32 v3, 31, v2
	s_and_b32 s2, vcc_lo, s1
	s_and_saveexec_b32 s6, s2
	s_cbranch_execz .LBB101_24
; %bb.21:
	v_lshlrev_b64 v[10:11], 3, v[2:3]
	v_mul_f32_e32 v4, s15, v19
	v_mul_f32_e32 v5, s14, v19
	v_cmp_ne_u32_e32 vcc_lo, 1, v8
	v_fma_f32 v4, v18, s14, -v4
	v_add_co_u32 v6, s2, v6, v10
	v_fmac_f32_e32 v5, s15, v18
	v_add_co_ci_u32_e64 v7, null, v7, v11, s2
	s_cbranch_vccnz .LBB101_23
; %bb.22:
	global_load_dwordx2 v[10:11], v[6:7], off
	s_waitcnt vmcnt(0)
	v_mul_f32_e32 v12, s11, v11
	v_mul_f32_e32 v11, s10, v11
	v_fma_f32 v12, v10, s10, -v12
	v_fmac_f32_e32 v11, s11, v10
	v_add_f32_e32 v4, v4, v12
	v_add_f32_e32 v5, v5, v11
.LBB101_23:
	global_store_dwordx2 v[6:7], v[4:5], off
.LBB101_24:
	s_or_b32 exec_lo, exec_lo, s6
	v_add_nc_u32_e32 v9, 16, v9
	v_mad_i64_i32 v[4:5], null, v9, s3, 0
	v_cmp_le_i32_e32 vcc_lo, v9, v0
	s_and_b32 s0, vcc_lo, s0
	v_lshlrev_b64 v[4:5], 3, v[4:5]
	v_add_co_u32 v6, s2, s4, v4
	v_add_co_ci_u32_e64 v7, null, s5, v5, s2
	s_and_saveexec_b32 s2, s0
	s_cbranch_execz .LBB101_28
; %bb.25:
	v_lshlrev_b64 v[0:1], 3, v[0:1]
	v_mul_f32_e32 v4, s15, v17
	v_mul_f32_e32 v5, s14, v17
	v_cmp_ne_u32_e32 vcc_lo, 1, v8
	v_fma_f32 v4, v16, s14, -v4
	v_add_co_u32 v0, s0, v6, v0
	v_fmac_f32_e32 v5, s15, v16
	v_add_co_ci_u32_e64 v1, null, v7, v1, s0
	s_cbranch_vccnz .LBB101_27
; %bb.26:
	global_load_dwordx2 v[10:11], v[0:1], off
	s_waitcnt vmcnt(0)
	v_mul_f32_e32 v12, s11, v11
	v_mul_f32_e32 v11, s10, v11
	v_fma_f32 v12, v10, s10, -v12
	v_fmac_f32_e32 v11, s11, v10
	v_add_f32_e32 v4, v4, v12
	v_add_f32_e32 v5, v5, v11
.LBB101_27:
	global_store_dwordx2 v[0:1], v[4:5], off
.LBB101_28:
	s_or_b32 exec_lo, exec_lo, s2
	v_cmp_le_i32_e32 vcc_lo, v9, v2
	s_and_b32 s0, vcc_lo, s1
	s_and_saveexec_b32 s1, s0
	s_cbranch_execz .LBB101_32
; %bb.29:
	v_lshlrev_b64 v[2:3], 3, v[2:3]
	v_mul_f32_e32 v0, s15, v15
	v_mul_f32_e32 v1, s14, v15
	v_cmp_ne_u32_e32 vcc_lo, 1, v8
	v_fma_f32 v0, v14, s14, -v0
	v_add_co_u32 v2, s0, v6, v2
	v_fmac_f32_e32 v1, s15, v14
	v_add_co_ci_u32_e64 v3, null, v7, v3, s0
	s_cbranch_vccnz .LBB101_31
; %bb.30:
	global_load_dwordx2 v[4:5], v[2:3], off
	s_waitcnt vmcnt(0)
	v_mul_f32_e32 v6, s11, v5
	v_mul_f32_e32 v5, s10, v5
	v_fma_f32 v6, v4, s10, -v6
	v_fmac_f32_e32 v5, s11, v4
	v_add_f32_e32 v0, v0, v6
	v_add_f32_e32 v1, v1, v5
.LBB101_31:
	global_store_dwordx2 v[2:3], v[0:1], off
.LBB101_32:
	s_endpgm
	.section	.rodata,"a",@progbits
	.p2align	6, 0x0
	.amdhsa_kernel _ZL29rocblas_internal_gemmt_kernelIiLi16ELi32ELi8ELc78ELc67ELc76ELb0ELb1E19rocblas_complex_numIfES1_PKS1_PS1_EviT_T9_T10_S5_lS7_S5_lS6_T11_S5_li
		.amdhsa_group_segment_fixed_size 4096
		.amdhsa_private_segment_fixed_size 0
		.amdhsa_kernarg_size 100
		.amdhsa_user_sgpr_count 6
		.amdhsa_user_sgpr_private_segment_buffer 1
		.amdhsa_user_sgpr_dispatch_ptr 0
		.amdhsa_user_sgpr_queue_ptr 0
		.amdhsa_user_sgpr_kernarg_segment_ptr 1
		.amdhsa_user_sgpr_dispatch_id 0
		.amdhsa_user_sgpr_flat_scratch_init 0
		.amdhsa_user_sgpr_private_segment_size 0
		.amdhsa_wavefront_size32 1
		.amdhsa_uses_dynamic_stack 0
		.amdhsa_system_sgpr_private_segment_wavefront_offset 0
		.amdhsa_system_sgpr_workgroup_id_x 1
		.amdhsa_system_sgpr_workgroup_id_y 1
		.amdhsa_system_sgpr_workgroup_id_z 1
		.amdhsa_system_sgpr_workgroup_info 0
		.amdhsa_system_vgpr_workitem_id 1
		.amdhsa_next_free_vgpr 59
		.amdhsa_next_free_sgpr 28
		.amdhsa_reserve_vcc 1
		.amdhsa_reserve_flat_scratch 0
		.amdhsa_float_round_mode_32 0
		.amdhsa_float_round_mode_16_64 0
		.amdhsa_float_denorm_mode_32 3
		.amdhsa_float_denorm_mode_16_64 3
		.amdhsa_dx10_clamp 1
		.amdhsa_ieee_mode 1
		.amdhsa_fp16_overflow 0
		.amdhsa_workgroup_processor_mode 1
		.amdhsa_memory_ordered 1
		.amdhsa_forward_progress 1
		.amdhsa_shared_vgpr_count 0
		.amdhsa_exception_fp_ieee_invalid_op 0
		.amdhsa_exception_fp_denorm_src 0
		.amdhsa_exception_fp_ieee_div_zero 0
		.amdhsa_exception_fp_ieee_overflow 0
		.amdhsa_exception_fp_ieee_underflow 0
		.amdhsa_exception_fp_ieee_inexact 0
		.amdhsa_exception_int_div_zero 0
	.end_amdhsa_kernel
	.section	.text._ZL29rocblas_internal_gemmt_kernelIiLi16ELi32ELi8ELc78ELc67ELc76ELb0ELb1E19rocblas_complex_numIfES1_PKS1_PS1_EviT_T9_T10_S5_lS7_S5_lS6_T11_S5_li,"axG",@progbits,_ZL29rocblas_internal_gemmt_kernelIiLi16ELi32ELi8ELc78ELc67ELc76ELb0ELb1E19rocblas_complex_numIfES1_PKS1_PS1_EviT_T9_T10_S5_lS7_S5_lS6_T11_S5_li,comdat
.Lfunc_end101:
	.size	_ZL29rocblas_internal_gemmt_kernelIiLi16ELi32ELi8ELc78ELc67ELc76ELb0ELb1E19rocblas_complex_numIfES1_PKS1_PS1_EviT_T9_T10_S5_lS7_S5_lS6_T11_S5_li, .Lfunc_end101-_ZL29rocblas_internal_gemmt_kernelIiLi16ELi32ELi8ELc78ELc67ELc76ELb0ELb1E19rocblas_complex_numIfES1_PKS1_PS1_EviT_T9_T10_S5_lS7_S5_lS6_T11_S5_li
                                        ; -- End function
	.set _ZL29rocblas_internal_gemmt_kernelIiLi16ELi32ELi8ELc78ELc67ELc76ELb0ELb1E19rocblas_complex_numIfES1_PKS1_PS1_EviT_T9_T10_S5_lS7_S5_lS6_T11_S5_li.num_vgpr, 59
	.set _ZL29rocblas_internal_gemmt_kernelIiLi16ELi32ELi8ELc78ELc67ELc76ELb0ELb1E19rocblas_complex_numIfES1_PKS1_PS1_EviT_T9_T10_S5_lS7_S5_lS6_T11_S5_li.num_agpr, 0
	.set _ZL29rocblas_internal_gemmt_kernelIiLi16ELi32ELi8ELc78ELc67ELc76ELb0ELb1E19rocblas_complex_numIfES1_PKS1_PS1_EviT_T9_T10_S5_lS7_S5_lS6_T11_S5_li.numbered_sgpr, 28
	.set _ZL29rocblas_internal_gemmt_kernelIiLi16ELi32ELi8ELc78ELc67ELc76ELb0ELb1E19rocblas_complex_numIfES1_PKS1_PS1_EviT_T9_T10_S5_lS7_S5_lS6_T11_S5_li.num_named_barrier, 0
	.set _ZL29rocblas_internal_gemmt_kernelIiLi16ELi32ELi8ELc78ELc67ELc76ELb0ELb1E19rocblas_complex_numIfES1_PKS1_PS1_EviT_T9_T10_S5_lS7_S5_lS6_T11_S5_li.private_seg_size, 0
	.set _ZL29rocblas_internal_gemmt_kernelIiLi16ELi32ELi8ELc78ELc67ELc76ELb0ELb1E19rocblas_complex_numIfES1_PKS1_PS1_EviT_T9_T10_S5_lS7_S5_lS6_T11_S5_li.uses_vcc, 1
	.set _ZL29rocblas_internal_gemmt_kernelIiLi16ELi32ELi8ELc78ELc67ELc76ELb0ELb1E19rocblas_complex_numIfES1_PKS1_PS1_EviT_T9_T10_S5_lS7_S5_lS6_T11_S5_li.uses_flat_scratch, 0
	.set _ZL29rocblas_internal_gemmt_kernelIiLi16ELi32ELi8ELc78ELc67ELc76ELb0ELb1E19rocblas_complex_numIfES1_PKS1_PS1_EviT_T9_T10_S5_lS7_S5_lS6_T11_S5_li.has_dyn_sized_stack, 0
	.set _ZL29rocblas_internal_gemmt_kernelIiLi16ELi32ELi8ELc78ELc67ELc76ELb0ELb1E19rocblas_complex_numIfES1_PKS1_PS1_EviT_T9_T10_S5_lS7_S5_lS6_T11_S5_li.has_recursion, 0
	.set _ZL29rocblas_internal_gemmt_kernelIiLi16ELi32ELi8ELc78ELc67ELc76ELb0ELb1E19rocblas_complex_numIfES1_PKS1_PS1_EviT_T9_T10_S5_lS7_S5_lS6_T11_S5_li.has_indirect_call, 0
	.section	.AMDGPU.csdata,"",@progbits
; Kernel info:
; codeLenInByte = 2568
; TotalNumSgprs: 30
; NumVgprs: 59
; ScratchSize: 0
; MemoryBound: 1
; FloatMode: 240
; IeeeMode: 1
; LDSByteSize: 4096 bytes/workgroup (compile time only)
; SGPRBlocks: 0
; VGPRBlocks: 7
; NumSGPRsForWavesPerEU: 30
; NumVGPRsForWavesPerEU: 59
; Occupancy: 16
; WaveLimiterHint : 0
; COMPUTE_PGM_RSRC2:SCRATCH_EN: 0
; COMPUTE_PGM_RSRC2:USER_SGPR: 6
; COMPUTE_PGM_RSRC2:TRAP_HANDLER: 0
; COMPUTE_PGM_RSRC2:TGID_X_EN: 1
; COMPUTE_PGM_RSRC2:TGID_Y_EN: 1
; COMPUTE_PGM_RSRC2:TGID_Z_EN: 1
; COMPUTE_PGM_RSRC2:TIDIG_COMP_CNT: 1
	.section	.text._ZL29rocblas_internal_gemmt_kernelIiLi16ELi32ELi8ELc84ELc78ELc76ELb0ELb0E19rocblas_complex_numIfES1_PKS1_PS1_EviT_T9_T10_S5_lS7_S5_lS6_T11_S5_li,"axG",@progbits,_ZL29rocblas_internal_gemmt_kernelIiLi16ELi32ELi8ELc84ELc78ELc76ELb0ELb0E19rocblas_complex_numIfES1_PKS1_PS1_EviT_T9_T10_S5_lS7_S5_lS6_T11_S5_li,comdat
	.globl	_ZL29rocblas_internal_gemmt_kernelIiLi16ELi32ELi8ELc84ELc78ELc76ELb0ELb0E19rocblas_complex_numIfES1_PKS1_PS1_EviT_T9_T10_S5_lS7_S5_lS6_T11_S5_li ; -- Begin function _ZL29rocblas_internal_gemmt_kernelIiLi16ELi32ELi8ELc84ELc78ELc76ELb0ELb0E19rocblas_complex_numIfES1_PKS1_PS1_EviT_T9_T10_S5_lS7_S5_lS6_T11_S5_li
	.p2align	8
	.type	_ZL29rocblas_internal_gemmt_kernelIiLi16ELi32ELi8ELc84ELc78ELc76ELb0ELb0E19rocblas_complex_numIfES1_PKS1_PS1_EviT_T9_T10_S5_lS7_S5_lS6_T11_S5_li,@function
_ZL29rocblas_internal_gemmt_kernelIiLi16ELi32ELi8ELc84ELc78ELc76ELb0ELb0E19rocblas_complex_numIfES1_PKS1_PS1_EviT_T9_T10_S5_lS7_S5_lS6_T11_S5_li: ; @_ZL29rocblas_internal_gemmt_kernelIiLi16ELi32ELi8ELc84ELc78ELc76ELb0ELb0E19rocblas_complex_numIfES1_PKS1_PS1_EviT_T9_T10_S5_lS7_S5_lS6_T11_S5_li
; %bb.0:
	s_clause 0x1
	s_load_dwordx2 s[10:11], s[4:5], 0x40
	s_load_dwordx4 s[12:15], s[4:5], 0x0
	s_waitcnt lgkmcnt(0)
	s_and_b32 s0, s11, 0x7fffffff
	v_cmp_eq_f32_e64 s1, s10, 1.0
	s_cmp_eq_u32 s0, 0
	s_mov_b32 s0, 0
	s_cselect_b32 s2, -1, 0
	s_and_b32 s1, s1, s2
	s_andn2_b32 vcc_lo, exec_lo, s1
	s_mov_b32 s1, -1
	s_cbranch_vccnz .LBB102_4
; %bb.1:
	s_cmp_lg_u32 s13, 0
	s_cbranch_scc0 .LBB102_3
; %bb.2:
	v_cmp_neq_f32_e64 s0, s14, 0
	v_cmp_neq_f32_e64 s1, s15, 0
	s_or_b32 s0, s0, s1
.LBB102_3:
	s_mov_b32 s1, s0
.LBB102_4:
	s_and_b32 vcc_lo, exec_lo, s1
	s_cbranch_vccz .LBB102_32
; %bb.5:
	v_cmp_eq_f32_e64 s0, s14, 0
	v_cmp_eq_f32_e64 s1, s15, 0
	s_lshl_b32 s3, s6, 5
	s_lshl_b32 s6, s7, 5
	v_mov_b32_e32 v20, 0
	v_mov_b32_e32 v21, 0
	s_and_b32 s0, s0, s1
	s_cmp_lt_i32 s13, 1
	v_mov_b32_e32 v18, 0
	s_cselect_b32 s1, -1, 0
	v_mov_b32_e32 v19, 0
	v_mov_b32_e32 v16, 0
	;; [unrolled: 1-line block ×5, first 2 shown]
	s_or_b32 s0, s0, s1
	s_mov_b32 s7, 0
	s_and_b32 vcc_lo, exec_lo, s0
	s_cbranch_vccnz .LBB102_16
; %bb.6:
	s_clause 0x1
	s_load_dword s0, s[4:5], 0x18
	s_load_dwordx2 s[20:21], s[4:5], 0x10
	v_lshl_add_u32 v2, v1, 4, v0
	s_clause 0x2
	s_load_dwordx4 s[16:19], s[4:5], 0x20
	s_load_dword s1, s[4:5], 0x30
	s_load_dwordx2 s[22:23], s[4:5], 0x38
	v_and_b32_e32 v8, 7, v0
	v_lshlrev_b32_e32 v9, 3, v0
	v_lshl_add_u32 v10, v1, 6, 0x800
	v_and_b32_e32 v4, 31, v2
	v_lshrrev_b32_e32 v3, 3, v2
	v_lshrrev_b32_e32 v11, 5, v2
	v_lshlrev_b32_e32 v6, 3, v8
	v_mov_b32_e32 v17, 0
	v_add_nc_u32_e32 v2, s3, v4
	v_add_nc_u32_e32 v5, s6, v3
	v_or_b32_e32 v7, s3, v4
	v_lshl_or_b32 v13, v3, 6, v6
	v_lshlrev_b32_e32 v4, 3, v4
	v_lshlrev_b32_e32 v15, 3, v11
	v_mov_b32_e32 v16, 0
	v_cmp_gt_i32_e32 vcc_lo, s12, v7
	s_waitcnt lgkmcnt(0)
	v_mad_i64_i32 v[2:3], null, s0, v2, 0
	v_lshl_or_b32 v12, v11, 8, v4
	v_cmp_gt_i32_e64 s0, s12, v5
	s_mul_i32 s9, s17, s8
	s_mul_hi_u32 s17, s16, s8
	v_mad_i64_i32 v[4:5], null, s1, v5, 0
	v_lshlrev_b64 v[2:3], 3, v[2:3]
	s_mul_i32 s16, s16, s8
	s_add_i32 s17, s17, s9
	s_mul_hi_u32 s9, s22, s8
	s_lshl_b64 s[16:17], s[16:17], 3
	v_add_nc_u32_e32 v13, 0x800, v13
	v_add_co_u32 v7, s1, v2, s16
	v_add_co_ci_u32_e64 v14, null, s17, v3, s1
	s_mul_i32 s1, s23, s8
	v_lshlrev_b64 v[3:4], 3, v[4:5]
	s_add_i32 s17, s9, s1
	s_mul_i32 s16, s22, s8
	v_mov_b32_e32 v2, 0
	s_lshl_b64 s[16:17], s[16:17], 3
	v_mov_b32_e32 v19, 0
	v_add_co_u32 v3, s1, v3, s16
	v_add_co_ci_u32_e64 v4, null, s17, v4, s1
	v_add_co_u32 v5, s1, v7, v15
	v_add_co_ci_u32_e64 v7, null, 0, v14, s1
	;; [unrolled: 2-line block ×5, first 2 shown]
	v_mov_b32_e32 v15, 0
	v_mov_b32_e32 v14, 0
	;; [unrolled: 1-line block ×5, first 2 shown]
	s_xor_b32 s1, vcc_lo, -1
	s_xor_b32 s0, s0, -1
	s_branch .LBB102_8
.LBB102_7:                              ;   in Loop: Header=BB102_8 Depth=1
	s_or_b32 exec_lo, exec_lo, s9
	s_waitcnt lgkmcnt(0)
	s_barrier
	buffer_gl0_inv
	ds_read_b128 v[22:25], v10
	ds_read2_b64 v[26:29], v9 offset1:16
	ds_read_b128 v[30:33], v10 offset:1024
	ds_read_b128 v[34:37], v10 offset:16
	ds_read_b128 v[38:41], v10 offset:32
	ds_read_b128 v[42:45], v10 offset:48
	ds_read2_b64 v[46:49], v9 offset0:32 offset1:48
	ds_read_b128 v[50:53], v10 offset:1040
	v_add_co_u32 v4, vcc_lo, v4, 64
	v_add_co_ci_u32_e64 v5, null, 0, v5, vcc_lo
	v_add_co_u32 v6, vcc_lo, v6, 64
	v_add_co_ci_u32_e64 v7, null, 0, v7, vcc_lo
	s_add_i32 s7, s7, 8
	s_cmp_lt_i32 s7, s13
	s_waitcnt lgkmcnt(6)
	v_mul_f32_e32 v3, v23, v27
	v_mul_f32_e32 v54, v22, v27
	v_mul_f32_e32 v55, v23, v29
	v_mul_f32_e32 v56, v22, v29
	s_waitcnt lgkmcnt(5)
	v_mul_f32_e32 v57, v31, v27
	v_mul_f32_e32 v27, v30, v27
	;; [unrolled: 1-line block ×3, first 2 shown]
	v_fma_f32 v3, v22, v26, -v3
	v_fmac_f32_e32 v54, v23, v26
	v_fma_f32 v22, v22, v28, -v55
	v_fmac_f32_e32 v56, v23, v28
	;; [unrolled: 2-line block ×3, first 2 shown]
	v_mul_f32_e32 v29, v30, v29
	v_fma_f32 v26, v30, v28, -v58
	v_add_f32_e32 v3, v20, v3
	v_add_f32_e32 v20, v21, v54
	v_add_f32_e32 v21, v18, v22
	v_add_f32_e32 v22, v19, v56
	v_add_f32_e32 v23, v16, v23
	v_add_f32_e32 v27, v17, v27
	s_waitcnt lgkmcnt(1)
	v_mul_f32_e32 v30, v25, v47
	ds_read2_b64 v[16:19], v9 offset0:64 offset1:80
	v_fmac_f32_e32 v29, v31, v28
	v_add_f32_e32 v14, v14, v26
	v_mul_f32_e32 v26, v24, v47
	v_fma_f32 v28, v24, v46, -v30
	v_mul_f32_e32 v30, v25, v49
	v_add_f32_e32 v15, v15, v29
	v_mul_f32_e32 v29, v24, v49
	v_fmac_f32_e32 v26, v25, v46
	v_add_f32_e32 v3, v3, v28
	v_fma_f32 v24, v24, v48, -v30
	v_mul_f32_e32 v28, v33, v47
	v_fmac_f32_e32 v29, v25, v48
	v_add_f32_e32 v26, v20, v26
	v_mul_f32_e32 v20, v32, v47
	v_add_f32_e32 v24, v21, v24
	v_fma_f32 v21, v32, v46, -v28
	v_mul_f32_e32 v25, v33, v49
	v_add_f32_e32 v28, v22, v29
	v_fmac_f32_e32 v20, v33, v46
	v_mul_f32_e32 v29, v32, v49
	v_add_f32_e32 v30, v23, v21
	v_fma_f32 v21, v32, v48, -v25
	s_waitcnt lgkmcnt(0)
	v_mul_f32_e32 v22, v35, v17
	v_add_f32_e32 v25, v27, v20
	v_fmac_f32_e32 v29, v33, v48
	v_mul_f32_e32 v27, v34, v17
	v_add_f32_e32 v14, v14, v21
	v_fma_f32 v31, v34, v16, -v22
	v_mul_f32_e32 v32, v35, v19
	ds_read2_b64 v[20:23], v9 offset0:96 offset1:112
	v_fmac_f32_e32 v27, v35, v16
	v_add_f32_e32 v29, v15, v29
	v_add_f32_e32 v3, v3, v31
	v_mul_f32_e32 v15, v34, v19
	v_fma_f32 v31, v34, v18, -v32
	v_add_f32_e32 v26, v26, v27
	v_mul_f32_e32 v27, v51, v17
	v_mul_f32_e32 v17, v50, v17
	v_fmac_f32_e32 v15, v35, v18
	v_add_f32_e32 v24, v24, v31
	v_mul_f32_e32 v31, v51, v19
	v_mul_f32_e32 v19, v50, v19
	v_fmac_f32_e32 v17, v51, v16
	v_add_f32_e32 v28, v28, v15
	v_fma_f32 v27, v50, v16, -v27
	v_fma_f32 v15, v50, v18, -v31
	v_fmac_f32_e32 v19, v51, v18
	v_add_f32_e32 v31, v25, v17
	s_waitcnt lgkmcnt(0)
	v_mul_f32_e32 v18, v37, v21
	v_add_f32_e32 v32, v14, v15
	ds_read2_b64 v[14:17], v9 offset0:128 offset1:144
	v_add_f32_e32 v30, v30, v27
	v_mul_f32_e32 v25, v36, v21
	v_fma_f32 v18, v36, v20, -v18
	v_mul_f32_e32 v27, v37, v23
	v_add_f32_e32 v29, v29, v19
	v_mul_f32_e32 v19, v36, v23
	v_fmac_f32_e32 v25, v37, v20
	v_add_f32_e32 v3, v3, v18
	v_mul_f32_e32 v18, v53, v21
	v_fma_f32 v27, v36, v22, -v27
	v_fmac_f32_e32 v19, v37, v22
	v_mul_f32_e32 v21, v52, v21
	v_mul_f32_e32 v35, v53, v23
	v_fma_f32 v18, v52, v20, -v18
	v_add_f32_e32 v33, v26, v25
	v_add_f32_e32 v34, v24, v27
	ds_read_b128 v[24:27], v10 offset:1056
	v_add_f32_e32 v36, v28, v19
	v_fmac_f32_e32 v21, v53, v20
	v_mul_f32_e32 v23, v52, v23
	v_fma_f32 v19, v52, v22, -v35
	v_add_f32_e32 v35, v30, v18
	s_waitcnt lgkmcnt(1)
	v_mul_f32_e32 v18, v39, v15
	v_add_f32_e32 v37, v31, v21
	v_fmac_f32_e32 v23, v53, v22
	v_add_f32_e32 v22, v32, v19
	v_mul_f32_e32 v32, v38, v15
	v_fma_f32 v28, v38, v14, -v18
	ds_read2_b64 v[18:21], v9 offset0:160 offset1:176
	v_mul_f32_e32 v30, v39, v17
	v_mul_f32_e32 v46, v38, v17
	v_fmac_f32_e32 v32, v39, v14
	v_add_f32_e32 v23, v29, v23
	v_add_f32_e32 v3, v3, v28
	v_fma_f32 v38, v38, v16, -v30
	ds_read_b128 v[28:31], v10 offset:1072
	s_waitcnt lgkmcnt(2)
	v_mul_f32_e32 v47, v25, v15
	v_add_f32_e32 v32, v33, v32
	v_mul_f32_e32 v15, v24, v15
	v_add_f32_e32 v33, v34, v38
	v_mul_f32_e32 v38, v25, v17
	v_fmac_f32_e32 v46, v39, v16
	v_fma_f32 v34, v24, v14, -v47
	v_fmac_f32_e32 v15, v25, v14
	v_mul_f32_e32 v39, v24, v17
	v_fma_f32 v14, v24, v16, -v38
	v_add_f32_e32 v36, v36, v46
	v_add_f32_e32 v34, v35, v34
	s_waitcnt lgkmcnt(1)
	v_mul_f32_e32 v17, v41, v19
	v_add_f32_e32 v24, v37, v15
	v_fmac_f32_e32 v39, v25, v16
	v_mul_f32_e32 v25, v40, v19
	v_add_f32_e32 v22, v22, v14
	v_fma_f32 v35, v40, v18, -v17
	ds_read2_b64 v[14:17], v9 offset0:192 offset1:208
	v_mul_f32_e32 v37, v41, v21
	v_fmac_f32_e32 v25, v41, v18
	v_add_f32_e32 v38, v23, v39
	v_add_f32_e32 v3, v3, v35
	v_mul_f32_e32 v23, v40, v21
	v_fma_f32 v35, v40, v20, -v37
	v_add_f32_e32 v32, v32, v25
	v_mul_f32_e32 v25, v27, v19
	v_mul_f32_e32 v19, v26, v19
	v_fmac_f32_e32 v23, v41, v20
	v_add_f32_e32 v33, v33, v35
	v_mul_f32_e32 v35, v27, v21
	v_fma_f32 v25, v26, v18, -v25
	v_fmac_f32_e32 v19, v27, v18
	v_add_f32_e32 v18, v36, v23
	v_mul_f32_e32 v21, v26, v21
	v_fma_f32 v23, v26, v20, -v35
	v_add_f32_e32 v26, v34, v25
	v_add_f32_e32 v19, v24, v19
	s_waitcnt lgkmcnt(0)
	v_mul_f32_e32 v34, v43, v15
	v_fmac_f32_e32 v21, v27, v20
	v_add_f32_e32 v20, v22, v23
	ds_read2_b64 v[22:25], v9 offset0:224 offset1:240
	v_mul_f32_e32 v27, v42, v15
	v_fma_f32 v34, v42, v14, -v34
	v_mul_f32_e32 v35, v43, v17
	v_mul_f32_e32 v36, v42, v17
	v_add_f32_e32 v21, v38, v21
	v_fmac_f32_e32 v27, v43, v14
	v_add_f32_e32 v3, v3, v34
	v_mul_f32_e32 v34, v29, v15
	v_fma_f32 v35, v42, v16, -v35
	v_fmac_f32_e32 v36, v43, v16
	v_add_f32_e32 v27, v32, v27
	v_mul_f32_e32 v15, v28, v15
	v_fma_f32 v32, v28, v14, -v34
	v_mul_f32_e32 v34, v29, v17
	v_add_f32_e32 v33, v33, v35
	v_add_f32_e32 v35, v18, v36
	v_fmac_f32_e32 v15, v29, v14
	v_add_f32_e32 v14, v26, v32
	v_mul_f32_e32 v17, v28, v17
	v_fma_f32 v18, v28, v16, -v34
	s_waitcnt lgkmcnt(0)
	v_mul_f32_e32 v26, v45, v23
	v_mul_f32_e32 v28, v44, v23
	v_add_f32_e32 v15, v19, v15
	v_fmac_f32_e32 v17, v29, v16
	v_add_f32_e32 v29, v20, v18
	v_fma_f32 v16, v44, v22, -v26
	v_mul_f32_e32 v18, v45, v25
	v_mul_f32_e32 v19, v44, v25
	v_add_f32_e32 v26, v21, v17
	v_mul_f32_e32 v17, v30, v23
	v_add_f32_e32 v20, v3, v16
	v_fma_f32 v3, v44, v24, -v18
	v_mul_f32_e32 v16, v31, v23
	v_mul_f32_e32 v23, v31, v25
	;; [unrolled: 1-line block ×3, first 2 shown]
	v_fmac_f32_e32 v28, v45, v22
	v_fmac_f32_e32 v19, v45, v24
	v_add_f32_e32 v18, v33, v3
	v_fma_f32 v3, v30, v22, -v16
	v_fmac_f32_e32 v17, v31, v22
	v_fma_f32 v22, v30, v24, -v23
	v_fmac_f32_e32 v25, v31, v24
	v_add_f32_e32 v21, v27, v28
	v_add_f32_e32 v19, v35, v19
	;; [unrolled: 1-line block ×6, first 2 shown]
	s_barrier
	buffer_gl0_inv
	s_cbranch_scc0 .LBB102_16
.LBB102_8:                              ; =>This Inner Loop Header: Depth=1
	v_add_nc_u32_e32 v3, s7, v11
	v_cmp_le_i32_e32 vcc_lo, s13, v3
	s_or_b32 s9, s1, vcc_lo
	s_and_saveexec_b32 s16, s9
	s_xor_b32 s9, exec_lo, s16
; %bb.9:                                ;   in Loop: Header=BB102_8 Depth=1
	v_mov_b32_e32 v3, v2
	ds_write_b64 v12, v[2:3]
; %bb.10:                               ;   in Loop: Header=BB102_8 Depth=1
	s_andn2_saveexec_b32 s9, s9
	s_cbranch_execz .LBB102_12
; %bb.11:                               ;   in Loop: Header=BB102_8 Depth=1
	global_load_dwordx2 v[22:23], v[4:5], off
	s_waitcnt vmcnt(0)
	ds_write_b64 v12, v[22:23]
.LBB102_12:                             ;   in Loop: Header=BB102_8 Depth=1
	s_or_b32 exec_lo, exec_lo, s9
	v_add_nc_u32_e32 v3, s7, v8
	v_cmp_le_i32_e32 vcc_lo, s13, v3
	s_or_b32 s9, vcc_lo, s0
	s_and_saveexec_b32 s16, s9
	s_xor_b32 s9, exec_lo, s16
; %bb.13:                               ;   in Loop: Header=BB102_8 Depth=1
	v_mov_b32_e32 v3, v2
	ds_write_b64 v13, v[2:3]
; %bb.14:                               ;   in Loop: Header=BB102_8 Depth=1
	s_andn2_saveexec_b32 s9, s9
	s_cbranch_execz .LBB102_7
; %bb.15:                               ;   in Loop: Header=BB102_8 Depth=1
	global_load_dwordx2 v[22:23], v[6:7], off
	s_waitcnt vmcnt(0)
	ds_write_b64 v13, v[22:23]
	s_branch .LBB102_7
.LBB102_16:
	s_clause 0x2
	s_load_dword s7, s[4:5], 0x50
	s_load_dwordx2 s[0:1], s[4:5], 0x58
	s_load_dwordx2 s[4:5], s[4:5], 0x48
	v_add_nc_u32_e32 v9, s6, v1
	v_add_nc_u32_e32 v0, s3, v0
	v_cmp_neq_f32_e64 s6, s10, 0
	v_cmp_le_i32_e32 vcc_lo, v9, v0
	s_waitcnt lgkmcnt(0)
	v_mad_i64_i32 v[1:2], null, v9, s7, 0
	s_mul_i32 s1, s1, s8
	s_mul_hi_u32 s3, s0, s8
	s_mul_i32 s8, s0, s8
	s_add_i32 s9, s3, s1
	v_cmp_gt_i32_e64 s0, s12, v0
	s_lshl_b64 s[8:9], s[8:9], 3
	v_lshlrev_b64 v[2:3], 3, v[1:2]
	s_add_u32 s3, s4, s8
	s_addc_u32 s4, s5, s9
	s_xor_b32 s2, s2, -1
	v_ashrrev_i32_e32 v1, 31, v0
	s_or_b32 s2, s6, s2
	v_add_co_u32 v6, s1, s3, v2
	v_add_co_ci_u32_e64 v7, null, s4, v3, s1
	v_cndmask_b32_e64 v8, 0, 1, s2
	s_and_b32 s5, vcc_lo, s0
	s_and_saveexec_b32 s1, s5
	s_cbranch_execz .LBB102_20
; %bb.17:
	v_lshlrev_b64 v[4:5], 3, v[0:1]
	v_mul_f32_e32 v2, s15, v21
	v_mul_f32_e32 v3, s14, v21
	v_fma_f32 v2, v20, s14, -v2
	v_add_co_u32 v4, vcc_lo, v6, v4
	v_fmac_f32_e32 v3, s15, v20
	v_add_co_ci_u32_e64 v5, null, v7, v5, vcc_lo
	s_andn2_b32 vcc_lo, exec_lo, s2
	s_cbranch_vccnz .LBB102_19
; %bb.18:
	global_load_dwordx2 v[10:11], v[4:5], off
	s_waitcnt vmcnt(0)
	v_mul_f32_e32 v12, s11, v11
	v_mul_f32_e32 v11, s10, v11
	v_fma_f32 v12, v10, s10, -v12
	v_fmac_f32_e32 v11, s11, v10
	v_add_f32_e32 v2, v2, v12
	v_add_f32_e32 v3, v3, v11
.LBB102_19:
	global_store_dwordx2 v[4:5], v[2:3], off
.LBB102_20:
	s_or_b32 exec_lo, exec_lo, s1
	v_add_nc_u32_e32 v2, 16, v0
	v_cmp_le_i32_e32 vcc_lo, v9, v2
	v_cmp_gt_i32_e64 s1, s12, v2
	v_ashrrev_i32_e32 v3, 31, v2
	s_and_b32 s2, vcc_lo, s1
	s_and_saveexec_b32 s5, s2
	s_cbranch_execz .LBB102_24
; %bb.21:
	v_lshlrev_b64 v[10:11], 3, v[2:3]
	v_mul_f32_e32 v4, s15, v19
	v_mul_f32_e32 v5, s14, v19
	v_cmp_ne_u32_e32 vcc_lo, 1, v8
	v_fma_f32 v4, v18, s14, -v4
	v_add_co_u32 v6, s2, v6, v10
	v_fmac_f32_e32 v5, s15, v18
	v_add_co_ci_u32_e64 v7, null, v7, v11, s2
	s_cbranch_vccnz .LBB102_23
; %bb.22:
	global_load_dwordx2 v[10:11], v[6:7], off
	s_waitcnt vmcnt(0)
	v_mul_f32_e32 v12, s11, v11
	v_mul_f32_e32 v11, s10, v11
	v_fma_f32 v12, v10, s10, -v12
	v_fmac_f32_e32 v11, s11, v10
	v_add_f32_e32 v4, v4, v12
	v_add_f32_e32 v5, v5, v11
.LBB102_23:
	global_store_dwordx2 v[6:7], v[4:5], off
.LBB102_24:
	s_or_b32 exec_lo, exec_lo, s5
	v_add_nc_u32_e32 v9, 16, v9
	v_mad_i64_i32 v[4:5], null, v9, s7, 0
	v_cmp_le_i32_e32 vcc_lo, v9, v0
	s_and_b32 s0, vcc_lo, s0
	v_lshlrev_b64 v[4:5], 3, v[4:5]
	v_add_co_u32 v6, s2, s3, v4
	v_add_co_ci_u32_e64 v7, null, s4, v5, s2
	s_and_saveexec_b32 s2, s0
	s_cbranch_execz .LBB102_28
; %bb.25:
	v_lshlrev_b64 v[0:1], 3, v[0:1]
	v_mul_f32_e32 v4, s15, v17
	v_mul_f32_e32 v5, s14, v17
	v_cmp_ne_u32_e32 vcc_lo, 1, v8
	v_fma_f32 v4, v16, s14, -v4
	v_add_co_u32 v0, s0, v6, v0
	v_fmac_f32_e32 v5, s15, v16
	v_add_co_ci_u32_e64 v1, null, v7, v1, s0
	s_cbranch_vccnz .LBB102_27
; %bb.26:
	global_load_dwordx2 v[10:11], v[0:1], off
	s_waitcnt vmcnt(0)
	v_mul_f32_e32 v12, s11, v11
	v_mul_f32_e32 v11, s10, v11
	v_fma_f32 v12, v10, s10, -v12
	v_fmac_f32_e32 v11, s11, v10
	v_add_f32_e32 v4, v4, v12
	v_add_f32_e32 v5, v5, v11
.LBB102_27:
	global_store_dwordx2 v[0:1], v[4:5], off
.LBB102_28:
	s_or_b32 exec_lo, exec_lo, s2
	v_cmp_le_i32_e32 vcc_lo, v9, v2
	s_and_b32 s0, vcc_lo, s1
	s_and_saveexec_b32 s1, s0
	s_cbranch_execz .LBB102_32
; %bb.29:
	v_lshlrev_b64 v[2:3], 3, v[2:3]
	v_mul_f32_e32 v0, s15, v15
	v_mul_f32_e32 v1, s14, v15
	v_cmp_ne_u32_e32 vcc_lo, 1, v8
	v_fma_f32 v0, v14, s14, -v0
	v_add_co_u32 v2, s0, v6, v2
	v_fmac_f32_e32 v1, s15, v14
	v_add_co_ci_u32_e64 v3, null, v7, v3, s0
	s_cbranch_vccnz .LBB102_31
; %bb.30:
	global_load_dwordx2 v[4:5], v[2:3], off
	s_waitcnt vmcnt(0)
	v_mul_f32_e32 v6, s11, v5
	v_mul_f32_e32 v5, s10, v5
	v_fma_f32 v6, v4, s10, -v6
	v_fmac_f32_e32 v5, s11, v4
	v_add_f32_e32 v0, v0, v6
	v_add_f32_e32 v1, v1, v5
.LBB102_31:
	global_store_dwordx2 v[2:3], v[0:1], off
.LBB102_32:
	s_endpgm
	.section	.rodata,"a",@progbits
	.p2align	6, 0x0
	.amdhsa_kernel _ZL29rocblas_internal_gemmt_kernelIiLi16ELi32ELi8ELc84ELc78ELc76ELb0ELb0E19rocblas_complex_numIfES1_PKS1_PS1_EviT_T9_T10_S5_lS7_S5_lS6_T11_S5_li
		.amdhsa_group_segment_fixed_size 4096
		.amdhsa_private_segment_fixed_size 0
		.amdhsa_kernarg_size 100
		.amdhsa_user_sgpr_count 6
		.amdhsa_user_sgpr_private_segment_buffer 1
		.amdhsa_user_sgpr_dispatch_ptr 0
		.amdhsa_user_sgpr_queue_ptr 0
		.amdhsa_user_sgpr_kernarg_segment_ptr 1
		.amdhsa_user_sgpr_dispatch_id 0
		.amdhsa_user_sgpr_flat_scratch_init 0
		.amdhsa_user_sgpr_private_segment_size 0
		.amdhsa_wavefront_size32 1
		.amdhsa_uses_dynamic_stack 0
		.amdhsa_system_sgpr_private_segment_wavefront_offset 0
		.amdhsa_system_sgpr_workgroup_id_x 1
		.amdhsa_system_sgpr_workgroup_id_y 1
		.amdhsa_system_sgpr_workgroup_id_z 1
		.amdhsa_system_sgpr_workgroup_info 0
		.amdhsa_system_vgpr_workitem_id 1
		.amdhsa_next_free_vgpr 59
		.amdhsa_next_free_sgpr 24
		.amdhsa_reserve_vcc 1
		.amdhsa_reserve_flat_scratch 0
		.amdhsa_float_round_mode_32 0
		.amdhsa_float_round_mode_16_64 0
		.amdhsa_float_denorm_mode_32 3
		.amdhsa_float_denorm_mode_16_64 3
		.amdhsa_dx10_clamp 1
		.amdhsa_ieee_mode 1
		.amdhsa_fp16_overflow 0
		.amdhsa_workgroup_processor_mode 1
		.amdhsa_memory_ordered 1
		.amdhsa_forward_progress 1
		.amdhsa_shared_vgpr_count 0
		.amdhsa_exception_fp_ieee_invalid_op 0
		.amdhsa_exception_fp_denorm_src 0
		.amdhsa_exception_fp_ieee_div_zero 0
		.amdhsa_exception_fp_ieee_overflow 0
		.amdhsa_exception_fp_ieee_underflow 0
		.amdhsa_exception_fp_ieee_inexact 0
		.amdhsa_exception_int_div_zero 0
	.end_amdhsa_kernel
	.section	.text._ZL29rocblas_internal_gemmt_kernelIiLi16ELi32ELi8ELc84ELc78ELc76ELb0ELb0E19rocblas_complex_numIfES1_PKS1_PS1_EviT_T9_T10_S5_lS7_S5_lS6_T11_S5_li,"axG",@progbits,_ZL29rocblas_internal_gemmt_kernelIiLi16ELi32ELi8ELc84ELc78ELc76ELb0ELb0E19rocblas_complex_numIfES1_PKS1_PS1_EviT_T9_T10_S5_lS7_S5_lS6_T11_S5_li,comdat
.Lfunc_end102:
	.size	_ZL29rocblas_internal_gemmt_kernelIiLi16ELi32ELi8ELc84ELc78ELc76ELb0ELb0E19rocblas_complex_numIfES1_PKS1_PS1_EviT_T9_T10_S5_lS7_S5_lS6_T11_S5_li, .Lfunc_end102-_ZL29rocblas_internal_gemmt_kernelIiLi16ELi32ELi8ELc84ELc78ELc76ELb0ELb0E19rocblas_complex_numIfES1_PKS1_PS1_EviT_T9_T10_S5_lS7_S5_lS6_T11_S5_li
                                        ; -- End function
	.set _ZL29rocblas_internal_gemmt_kernelIiLi16ELi32ELi8ELc84ELc78ELc76ELb0ELb0E19rocblas_complex_numIfES1_PKS1_PS1_EviT_T9_T10_S5_lS7_S5_lS6_T11_S5_li.num_vgpr, 59
	.set _ZL29rocblas_internal_gemmt_kernelIiLi16ELi32ELi8ELc84ELc78ELc76ELb0ELb0E19rocblas_complex_numIfES1_PKS1_PS1_EviT_T9_T10_S5_lS7_S5_lS6_T11_S5_li.num_agpr, 0
	.set _ZL29rocblas_internal_gemmt_kernelIiLi16ELi32ELi8ELc84ELc78ELc76ELb0ELb0E19rocblas_complex_numIfES1_PKS1_PS1_EviT_T9_T10_S5_lS7_S5_lS6_T11_S5_li.numbered_sgpr, 24
	.set _ZL29rocblas_internal_gemmt_kernelIiLi16ELi32ELi8ELc84ELc78ELc76ELb0ELb0E19rocblas_complex_numIfES1_PKS1_PS1_EviT_T9_T10_S5_lS7_S5_lS6_T11_S5_li.num_named_barrier, 0
	.set _ZL29rocblas_internal_gemmt_kernelIiLi16ELi32ELi8ELc84ELc78ELc76ELb0ELb0E19rocblas_complex_numIfES1_PKS1_PS1_EviT_T9_T10_S5_lS7_S5_lS6_T11_S5_li.private_seg_size, 0
	.set _ZL29rocblas_internal_gemmt_kernelIiLi16ELi32ELi8ELc84ELc78ELc76ELb0ELb0E19rocblas_complex_numIfES1_PKS1_PS1_EviT_T9_T10_S5_lS7_S5_lS6_T11_S5_li.uses_vcc, 1
	.set _ZL29rocblas_internal_gemmt_kernelIiLi16ELi32ELi8ELc84ELc78ELc76ELb0ELb0E19rocblas_complex_numIfES1_PKS1_PS1_EviT_T9_T10_S5_lS7_S5_lS6_T11_S5_li.uses_flat_scratch, 0
	.set _ZL29rocblas_internal_gemmt_kernelIiLi16ELi32ELi8ELc84ELc78ELc76ELb0ELb0E19rocblas_complex_numIfES1_PKS1_PS1_EviT_T9_T10_S5_lS7_S5_lS6_T11_S5_li.has_dyn_sized_stack, 0
	.set _ZL29rocblas_internal_gemmt_kernelIiLi16ELi32ELi8ELc84ELc78ELc76ELb0ELb0E19rocblas_complex_numIfES1_PKS1_PS1_EviT_T9_T10_S5_lS7_S5_lS6_T11_S5_li.has_recursion, 0
	.set _ZL29rocblas_internal_gemmt_kernelIiLi16ELi32ELi8ELc84ELc78ELc76ELb0ELb0E19rocblas_complex_numIfES1_PKS1_PS1_EviT_T9_T10_S5_lS7_S5_lS6_T11_S5_li.has_indirect_call, 0
	.section	.AMDGPU.csdata,"",@progbits
; Kernel info:
; codeLenInByte = 2496
; TotalNumSgprs: 26
; NumVgprs: 59
; ScratchSize: 0
; MemoryBound: 1
; FloatMode: 240
; IeeeMode: 1
; LDSByteSize: 4096 bytes/workgroup (compile time only)
; SGPRBlocks: 0
; VGPRBlocks: 7
; NumSGPRsForWavesPerEU: 26
; NumVGPRsForWavesPerEU: 59
; Occupancy: 16
; WaveLimiterHint : 0
; COMPUTE_PGM_RSRC2:SCRATCH_EN: 0
; COMPUTE_PGM_RSRC2:USER_SGPR: 6
; COMPUTE_PGM_RSRC2:TRAP_HANDLER: 0
; COMPUTE_PGM_RSRC2:TGID_X_EN: 1
; COMPUTE_PGM_RSRC2:TGID_Y_EN: 1
; COMPUTE_PGM_RSRC2:TGID_Z_EN: 1
; COMPUTE_PGM_RSRC2:TIDIG_COMP_CNT: 1
	.section	.text._ZL29rocblas_internal_gemmt_kernelIiLi16ELi32ELi8ELc84ELc84ELc76ELb0ELb0E19rocblas_complex_numIfES1_PKS1_PS1_EviT_T9_T10_S5_lS7_S5_lS6_T11_S5_li,"axG",@progbits,_ZL29rocblas_internal_gemmt_kernelIiLi16ELi32ELi8ELc84ELc84ELc76ELb0ELb0E19rocblas_complex_numIfES1_PKS1_PS1_EviT_T9_T10_S5_lS7_S5_lS6_T11_S5_li,comdat
	.globl	_ZL29rocblas_internal_gemmt_kernelIiLi16ELi32ELi8ELc84ELc84ELc76ELb0ELb0E19rocblas_complex_numIfES1_PKS1_PS1_EviT_T9_T10_S5_lS7_S5_lS6_T11_S5_li ; -- Begin function _ZL29rocblas_internal_gemmt_kernelIiLi16ELi32ELi8ELc84ELc84ELc76ELb0ELb0E19rocblas_complex_numIfES1_PKS1_PS1_EviT_T9_T10_S5_lS7_S5_lS6_T11_S5_li
	.p2align	8
	.type	_ZL29rocblas_internal_gemmt_kernelIiLi16ELi32ELi8ELc84ELc84ELc76ELb0ELb0E19rocblas_complex_numIfES1_PKS1_PS1_EviT_T9_T10_S5_lS7_S5_lS6_T11_S5_li,@function
_ZL29rocblas_internal_gemmt_kernelIiLi16ELi32ELi8ELc84ELc84ELc76ELb0ELb0E19rocblas_complex_numIfES1_PKS1_PS1_EviT_T9_T10_S5_lS7_S5_lS6_T11_S5_li: ; @_ZL29rocblas_internal_gemmt_kernelIiLi16ELi32ELi8ELc84ELc84ELc76ELb0ELb0E19rocblas_complex_numIfES1_PKS1_PS1_EviT_T9_T10_S5_lS7_S5_lS6_T11_S5_li
; %bb.0:
	s_clause 0x1
	s_load_dwordx2 s[10:11], s[4:5], 0x40
	s_load_dwordx4 s[12:15], s[4:5], 0x0
	s_waitcnt lgkmcnt(0)
	s_and_b32 s0, s11, 0x7fffffff
	v_cmp_eq_f32_e64 s1, s10, 1.0
	s_cmp_eq_u32 s0, 0
	s_mov_b32 s0, 0
	s_cselect_b32 s9, -1, 0
	s_and_b32 s1, s1, s9
	s_andn2_b32 vcc_lo, exec_lo, s1
	s_mov_b32 s1, -1
	s_cbranch_vccnz .LBB103_4
; %bb.1:
	s_cmp_lg_u32 s13, 0
	s_cbranch_scc0 .LBB103_3
; %bb.2:
	v_cmp_neq_f32_e64 s0, s14, 0
	v_cmp_neq_f32_e64 s1, s15, 0
	s_or_b32 s0, s0, s1
.LBB103_3:
	s_mov_b32 s1, s0
.LBB103_4:
	s_and_b32 vcc_lo, exec_lo, s1
	s_cbranch_vccz .LBB103_32
; %bb.5:
	v_cmp_eq_f32_e64 s0, s14, 0
	v_cmp_eq_f32_e64 s1, s15, 0
	s_lshl_b32 s6, s6, 5
	s_lshl_b32 s7, s7, 5
	v_mov_b32_e32 v20, 0
	v_mov_b32_e32 v21, 0
	s_and_b32 s0, s0, s1
	s_cmp_lt_i32 s13, 1
	v_mov_b32_e32 v18, 0
	s_cselect_b32 s1, -1, 0
	v_mov_b32_e32 v19, 0
	v_mov_b32_e32 v16, 0
	;; [unrolled: 1-line block ×5, first 2 shown]
	s_or_b32 s0, s0, s1
	s_mov_b32 s20, 0
	s_and_b32 vcc_lo, exec_lo, s0
	s_cbranch_vccnz .LBB103_16
; %bb.6:
	s_clause 0x1
	s_load_dword s0, s[4:5], 0x18
	s_load_dwordx2 s[22:23], s[4:5], 0x10
	v_lshl_add_u32 v2, v1, 4, v0
	s_clause 0x2
	s_load_dwordx4 s[16:19], s[4:5], 0x20
	s_load_dword s2, s[4:5], 0x30
	s_load_dwordx2 s[24:25], s[4:5], 0x38
	v_and_b32_e32 v8, 7, v0
	v_lshlrev_b32_e32 v9, 3, v0
	v_lshl_add_u32 v13, v1, 6, 0x800
	v_and_b32_e32 v4, 31, v2
	v_lshrrev_b32_e32 v5, 3, v2
	v_lshrrev_b32_e32 v10, 5, v2
	v_lshlrev_b32_e32 v2, 3, v8
	v_mov_b32_e32 v19, 0
	v_or_b32_e32 v6, s6, v4
	v_lshlrev_b32_e32 v7, 3, v4
	v_add_nc_u32_e32 v4, s6, v4
	v_add_nc_u32_e32 v3, s7, v5
	v_lshl_or_b32 v2, v5, 6, v2
	v_cmp_gt_i32_e32 vcc_lo, s12, v6
	v_lshl_or_b32 v11, v10, 8, v7
	v_lshlrev_b32_e32 v17, 3, v10
	s_waitcnt lgkmcnt(0)
	v_mad_i64_i32 v[5:6], null, s0, v4, 0
	s_mul_i32 s1, s17, s8
	s_mul_hi_u32 s17, s16, s8
	v_mad_i64_i32 v[14:15], null, s2, v8, 0
	s_add_i32 s17, s17, s1
	s_mul_i32 s16, s16, s8
	v_lshlrev_b64 v[5:6], 3, v[5:6]
	s_lshl_b64 s[16:17], s[16:17], 3
	v_ashrrev_i32_e32 v4, 31, v3
	v_cmp_gt_i32_e64 s0, s12, v3
	v_add_nc_u32_e32 v12, 0x800, v2
	v_mov_b32_e32 v2, 0
	v_add_co_u32 v7, s1, v5, s16
	v_add_co_ci_u32_e64 v16, null, s17, v6, s1
	s_mul_i32 s1, s25, s8
	s_mul_hi_u32 s16, s24, s8
	v_lshlrev_b64 v[5:6], 3, v[14:15]
	s_add_i32 s17, s16, s1
	s_mul_i32 s16, s24, s8
	v_lshlrev_b64 v[3:4], 3, v[3:4]
	s_lshl_b64 s[16:17], s[16:17], 3
	v_mov_b32_e32 v18, 0
	v_add_co_u32 v5, s1, s16, v5
	v_add_co_ci_u32_e64 v6, null, s17, v6, s1
	v_add_co_u32 v7, s1, v7, v17
	v_add_co_ci_u32_e64 v14, null, 0, v16, s1
	;; [unrolled: 2-line block ×5, first 2 shown]
	v_mov_b32_e32 v15, 0
	v_mov_b32_e32 v14, 0
	;; [unrolled: 1-line block ×6, first 2 shown]
	s_ashr_i32 s3, s2, 31
	s_xor_b32 s1, vcc_lo, -1
	s_lshl_b64 s[2:3], s[2:3], 6
	s_xor_b32 s0, s0, -1
	s_branch .LBB103_8
.LBB103_7:                              ;   in Loop: Header=BB103_8 Depth=1
	s_or_b32 exec_lo, exec_lo, s16
	s_waitcnt lgkmcnt(0)
	s_barrier
	buffer_gl0_inv
	ds_read_b128 v[22:25], v13
	ds_read2_b64 v[26:29], v9 offset1:16
	ds_read_b128 v[30:33], v13 offset:1024
	ds_read_b128 v[34:37], v13 offset:16
	;; [unrolled: 1-line block ×4, first 2 shown]
	ds_read2_b64 v[46:49], v9 offset0:32 offset1:48
	ds_read_b128 v[50:53], v13 offset:1040
	v_add_co_u32 v4, vcc_lo, v4, 64
	v_add_co_ci_u32_e64 v5, null, 0, v5, vcc_lo
	v_add_co_u32 v6, vcc_lo, v6, s2
	v_add_co_ci_u32_e64 v7, null, s3, v7, vcc_lo
	s_add_i32 s20, s20, 8
	s_cmp_lt_i32 s20, s13
	s_waitcnt lgkmcnt(6)
	v_mul_f32_e32 v3, v23, v27
	v_mul_f32_e32 v54, v22, v27
	;; [unrolled: 1-line block ×4, first 2 shown]
	s_waitcnt lgkmcnt(5)
	v_mul_f32_e32 v57, v31, v27
	v_mul_f32_e32 v27, v30, v27
	;; [unrolled: 1-line block ×3, first 2 shown]
	v_fma_f32 v3, v22, v26, -v3
	v_fmac_f32_e32 v54, v23, v26
	v_fma_f32 v22, v22, v28, -v55
	v_fmac_f32_e32 v56, v23, v28
	;; [unrolled: 2-line block ×3, first 2 shown]
	v_mul_f32_e32 v29, v30, v29
	v_fma_f32 v26, v30, v28, -v58
	v_add_f32_e32 v3, v20, v3
	v_add_f32_e32 v20, v21, v54
	;; [unrolled: 1-line block ×6, first 2 shown]
	s_waitcnt lgkmcnt(1)
	v_mul_f32_e32 v30, v25, v47
	ds_read2_b64 v[16:19], v9 offset0:64 offset1:80
	v_fmac_f32_e32 v29, v31, v28
	v_add_f32_e32 v14, v14, v26
	v_mul_f32_e32 v26, v24, v47
	v_fma_f32 v28, v24, v46, -v30
	v_mul_f32_e32 v30, v25, v49
	v_add_f32_e32 v15, v15, v29
	v_mul_f32_e32 v29, v24, v49
	v_fmac_f32_e32 v26, v25, v46
	v_add_f32_e32 v3, v3, v28
	v_fma_f32 v24, v24, v48, -v30
	v_mul_f32_e32 v28, v33, v47
	v_fmac_f32_e32 v29, v25, v48
	v_add_f32_e32 v26, v20, v26
	v_mul_f32_e32 v20, v32, v47
	v_add_f32_e32 v24, v21, v24
	v_fma_f32 v21, v32, v46, -v28
	v_mul_f32_e32 v25, v33, v49
	v_add_f32_e32 v28, v22, v29
	v_fmac_f32_e32 v20, v33, v46
	v_mul_f32_e32 v29, v32, v49
	v_add_f32_e32 v30, v23, v21
	v_fma_f32 v21, v32, v48, -v25
	s_waitcnt lgkmcnt(0)
	v_mul_f32_e32 v22, v35, v17
	v_add_f32_e32 v25, v27, v20
	v_fmac_f32_e32 v29, v33, v48
	v_mul_f32_e32 v27, v34, v17
	v_add_f32_e32 v14, v14, v21
	v_fma_f32 v31, v34, v16, -v22
	v_mul_f32_e32 v32, v35, v19
	ds_read2_b64 v[20:23], v9 offset0:96 offset1:112
	v_fmac_f32_e32 v27, v35, v16
	v_add_f32_e32 v29, v15, v29
	v_add_f32_e32 v3, v3, v31
	v_mul_f32_e32 v15, v34, v19
	v_fma_f32 v31, v34, v18, -v32
	v_add_f32_e32 v26, v26, v27
	v_mul_f32_e32 v27, v51, v17
	v_mul_f32_e32 v17, v50, v17
	v_fmac_f32_e32 v15, v35, v18
	v_add_f32_e32 v24, v24, v31
	v_mul_f32_e32 v31, v51, v19
	v_mul_f32_e32 v19, v50, v19
	v_fmac_f32_e32 v17, v51, v16
	v_add_f32_e32 v28, v28, v15
	v_fma_f32 v27, v50, v16, -v27
	v_fma_f32 v15, v50, v18, -v31
	v_fmac_f32_e32 v19, v51, v18
	v_add_f32_e32 v31, v25, v17
	s_waitcnt lgkmcnt(0)
	v_mul_f32_e32 v18, v37, v21
	v_add_f32_e32 v32, v14, v15
	ds_read2_b64 v[14:17], v9 offset0:128 offset1:144
	v_add_f32_e32 v30, v30, v27
	v_mul_f32_e32 v25, v36, v21
	v_fma_f32 v18, v36, v20, -v18
	v_mul_f32_e32 v27, v37, v23
	v_add_f32_e32 v29, v29, v19
	v_mul_f32_e32 v19, v36, v23
	v_fmac_f32_e32 v25, v37, v20
	v_add_f32_e32 v3, v3, v18
	v_mul_f32_e32 v18, v53, v21
	v_fma_f32 v27, v36, v22, -v27
	v_fmac_f32_e32 v19, v37, v22
	v_mul_f32_e32 v21, v52, v21
	v_mul_f32_e32 v35, v53, v23
	v_fma_f32 v18, v52, v20, -v18
	v_add_f32_e32 v33, v26, v25
	v_add_f32_e32 v34, v24, v27
	ds_read_b128 v[24:27], v13 offset:1056
	v_add_f32_e32 v36, v28, v19
	v_fmac_f32_e32 v21, v53, v20
	v_mul_f32_e32 v23, v52, v23
	v_fma_f32 v19, v52, v22, -v35
	v_add_f32_e32 v35, v30, v18
	s_waitcnt lgkmcnt(1)
	v_mul_f32_e32 v18, v39, v15
	v_add_f32_e32 v37, v31, v21
	v_fmac_f32_e32 v23, v53, v22
	v_add_f32_e32 v22, v32, v19
	v_mul_f32_e32 v32, v38, v15
	v_fma_f32 v28, v38, v14, -v18
	ds_read2_b64 v[18:21], v9 offset0:160 offset1:176
	v_mul_f32_e32 v30, v39, v17
	v_mul_f32_e32 v46, v38, v17
	v_fmac_f32_e32 v32, v39, v14
	v_add_f32_e32 v23, v29, v23
	v_add_f32_e32 v3, v3, v28
	v_fma_f32 v38, v38, v16, -v30
	ds_read_b128 v[28:31], v13 offset:1072
	s_waitcnt lgkmcnt(2)
	v_mul_f32_e32 v47, v25, v15
	v_add_f32_e32 v32, v33, v32
	v_mul_f32_e32 v15, v24, v15
	v_add_f32_e32 v33, v34, v38
	v_mul_f32_e32 v38, v25, v17
	v_fmac_f32_e32 v46, v39, v16
	v_fma_f32 v34, v24, v14, -v47
	v_fmac_f32_e32 v15, v25, v14
	v_mul_f32_e32 v39, v24, v17
	v_fma_f32 v14, v24, v16, -v38
	v_add_f32_e32 v36, v36, v46
	v_add_f32_e32 v34, v35, v34
	s_waitcnt lgkmcnt(1)
	v_mul_f32_e32 v17, v41, v19
	v_add_f32_e32 v24, v37, v15
	v_fmac_f32_e32 v39, v25, v16
	v_mul_f32_e32 v25, v40, v19
	v_add_f32_e32 v22, v22, v14
	v_fma_f32 v35, v40, v18, -v17
	ds_read2_b64 v[14:17], v9 offset0:192 offset1:208
	v_mul_f32_e32 v37, v41, v21
	v_fmac_f32_e32 v25, v41, v18
	v_add_f32_e32 v38, v23, v39
	v_add_f32_e32 v3, v3, v35
	v_mul_f32_e32 v23, v40, v21
	v_fma_f32 v35, v40, v20, -v37
	v_add_f32_e32 v32, v32, v25
	v_mul_f32_e32 v25, v27, v19
	v_mul_f32_e32 v19, v26, v19
	v_fmac_f32_e32 v23, v41, v20
	v_add_f32_e32 v33, v33, v35
	v_mul_f32_e32 v35, v27, v21
	v_fma_f32 v25, v26, v18, -v25
	v_fmac_f32_e32 v19, v27, v18
	v_add_f32_e32 v18, v36, v23
	v_mul_f32_e32 v21, v26, v21
	v_fma_f32 v23, v26, v20, -v35
	v_add_f32_e32 v26, v34, v25
	v_add_f32_e32 v19, v24, v19
	s_waitcnt lgkmcnt(0)
	v_mul_f32_e32 v34, v43, v15
	v_fmac_f32_e32 v21, v27, v20
	v_add_f32_e32 v20, v22, v23
	ds_read2_b64 v[22:25], v9 offset0:224 offset1:240
	v_mul_f32_e32 v27, v42, v15
	v_fma_f32 v34, v42, v14, -v34
	v_mul_f32_e32 v35, v43, v17
	v_mul_f32_e32 v36, v42, v17
	v_add_f32_e32 v21, v38, v21
	v_fmac_f32_e32 v27, v43, v14
	v_add_f32_e32 v3, v3, v34
	v_mul_f32_e32 v34, v29, v15
	v_fma_f32 v35, v42, v16, -v35
	v_fmac_f32_e32 v36, v43, v16
	v_add_f32_e32 v27, v32, v27
	v_mul_f32_e32 v15, v28, v15
	v_fma_f32 v32, v28, v14, -v34
	v_mul_f32_e32 v34, v29, v17
	v_add_f32_e32 v33, v33, v35
	v_add_f32_e32 v35, v18, v36
	v_fmac_f32_e32 v15, v29, v14
	v_add_f32_e32 v14, v26, v32
	v_mul_f32_e32 v17, v28, v17
	v_fma_f32 v18, v28, v16, -v34
	s_waitcnt lgkmcnt(0)
	v_mul_f32_e32 v26, v45, v23
	v_mul_f32_e32 v28, v44, v23
	v_add_f32_e32 v15, v19, v15
	v_fmac_f32_e32 v17, v29, v16
	v_add_f32_e32 v29, v20, v18
	v_fma_f32 v16, v44, v22, -v26
	v_mul_f32_e32 v18, v45, v25
	v_mul_f32_e32 v19, v44, v25
	v_add_f32_e32 v26, v21, v17
	v_mul_f32_e32 v17, v30, v23
	v_add_f32_e32 v20, v3, v16
	v_fma_f32 v3, v44, v24, -v18
	v_mul_f32_e32 v16, v31, v23
	v_mul_f32_e32 v23, v31, v25
	;; [unrolled: 1-line block ×3, first 2 shown]
	v_fmac_f32_e32 v28, v45, v22
	v_fmac_f32_e32 v19, v45, v24
	v_add_f32_e32 v18, v33, v3
	v_fma_f32 v3, v30, v22, -v16
	v_fmac_f32_e32 v17, v31, v22
	v_fma_f32 v22, v30, v24, -v23
	v_fmac_f32_e32 v25, v31, v24
	v_add_f32_e32 v21, v27, v28
	v_add_f32_e32 v19, v35, v19
	;; [unrolled: 1-line block ×6, first 2 shown]
	s_barrier
	buffer_gl0_inv
	s_cbranch_scc0 .LBB103_16
.LBB103_8:                              ; =>This Inner Loop Header: Depth=1
	v_add_nc_u32_e32 v3, s20, v10
	v_cmp_le_i32_e32 vcc_lo, s13, v3
	s_or_b32 s16, s1, vcc_lo
	s_and_saveexec_b32 s17, s16
	s_xor_b32 s16, exec_lo, s17
; %bb.9:                                ;   in Loop: Header=BB103_8 Depth=1
	v_mov_b32_e32 v3, v2
	ds_write_b64 v11, v[2:3]
; %bb.10:                               ;   in Loop: Header=BB103_8 Depth=1
	s_andn2_saveexec_b32 s16, s16
	s_cbranch_execz .LBB103_12
; %bb.11:                               ;   in Loop: Header=BB103_8 Depth=1
	global_load_dwordx2 v[22:23], v[4:5], off
	s_waitcnt vmcnt(0)
	ds_write_b64 v11, v[22:23]
.LBB103_12:                             ;   in Loop: Header=BB103_8 Depth=1
	s_or_b32 exec_lo, exec_lo, s16
	v_add_nc_u32_e32 v3, s20, v8
	v_cmp_le_i32_e32 vcc_lo, s13, v3
	s_or_b32 s16, vcc_lo, s0
	s_and_saveexec_b32 s17, s16
	s_xor_b32 s16, exec_lo, s17
; %bb.13:                               ;   in Loop: Header=BB103_8 Depth=1
	v_mov_b32_e32 v3, v2
	ds_write_b64 v12, v[2:3]
; %bb.14:                               ;   in Loop: Header=BB103_8 Depth=1
	s_andn2_saveexec_b32 s16, s16
	s_cbranch_execz .LBB103_7
; %bb.15:                               ;   in Loop: Header=BB103_8 Depth=1
	global_load_dwordx2 v[22:23], v[6:7], off
	s_waitcnt vmcnt(0)
	ds_write_b64 v12, v[22:23]
	s_branch .LBB103_7
.LBB103_16:
	s_clause 0x2
	s_load_dword s3, s[4:5], 0x50
	s_load_dwordx2 s[0:1], s[4:5], 0x58
	s_load_dwordx2 s[4:5], s[4:5], 0x48
	v_add_nc_u32_e32 v9, s7, v1
	v_add_nc_u32_e32 v0, s6, v0
	v_cmp_neq_f32_e64 s2, s10, 0
	v_cmp_le_i32_e32 vcc_lo, v9, v0
	s_waitcnt lgkmcnt(0)
	v_mad_i64_i32 v[1:2], null, v9, s3, 0
	s_mul_i32 s1, s1, s8
	s_mul_hi_u32 s7, s0, s8
	s_mul_i32 s6, s0, s8
	s_add_i32 s7, s7, s1
	v_cmp_gt_i32_e64 s0, s12, v0
	s_lshl_b64 s[6:7], s[6:7], 3
	v_lshlrev_b64 v[2:3], 3, v[1:2]
	s_add_u32 s4, s4, s6
	s_addc_u32 s5, s5, s7
	s_xor_b32 s6, s9, -1
	v_ashrrev_i32_e32 v1, 31, v0
	s_or_b32 s2, s2, s6
	v_add_co_u32 v6, s1, s4, v2
	v_add_co_ci_u32_e64 v7, null, s5, v3, s1
	v_cndmask_b32_e64 v8, 0, 1, s2
	s_and_b32 s6, vcc_lo, s0
	s_and_saveexec_b32 s1, s6
	s_cbranch_execz .LBB103_20
; %bb.17:
	v_lshlrev_b64 v[4:5], 3, v[0:1]
	v_mul_f32_e32 v2, s15, v21
	v_mul_f32_e32 v3, s14, v21
	v_fma_f32 v2, v20, s14, -v2
	v_add_co_u32 v4, vcc_lo, v6, v4
	v_fmac_f32_e32 v3, s15, v20
	v_add_co_ci_u32_e64 v5, null, v7, v5, vcc_lo
	s_andn2_b32 vcc_lo, exec_lo, s2
	s_cbranch_vccnz .LBB103_19
; %bb.18:
	global_load_dwordx2 v[10:11], v[4:5], off
	s_waitcnt vmcnt(0)
	v_mul_f32_e32 v12, s11, v11
	v_mul_f32_e32 v11, s10, v11
	v_fma_f32 v12, v10, s10, -v12
	v_fmac_f32_e32 v11, s11, v10
	v_add_f32_e32 v2, v2, v12
	v_add_f32_e32 v3, v3, v11
.LBB103_19:
	global_store_dwordx2 v[4:5], v[2:3], off
.LBB103_20:
	s_or_b32 exec_lo, exec_lo, s1
	v_add_nc_u32_e32 v2, 16, v0
	v_cmp_le_i32_e32 vcc_lo, v9, v2
	v_cmp_gt_i32_e64 s1, s12, v2
	v_ashrrev_i32_e32 v3, 31, v2
	s_and_b32 s2, vcc_lo, s1
	s_and_saveexec_b32 s6, s2
	s_cbranch_execz .LBB103_24
; %bb.21:
	v_lshlrev_b64 v[10:11], 3, v[2:3]
	v_mul_f32_e32 v4, s15, v19
	v_mul_f32_e32 v5, s14, v19
	v_cmp_ne_u32_e32 vcc_lo, 1, v8
	v_fma_f32 v4, v18, s14, -v4
	v_add_co_u32 v6, s2, v6, v10
	v_fmac_f32_e32 v5, s15, v18
	v_add_co_ci_u32_e64 v7, null, v7, v11, s2
	s_cbranch_vccnz .LBB103_23
; %bb.22:
	global_load_dwordx2 v[10:11], v[6:7], off
	s_waitcnt vmcnt(0)
	v_mul_f32_e32 v12, s11, v11
	v_mul_f32_e32 v11, s10, v11
	v_fma_f32 v12, v10, s10, -v12
	v_fmac_f32_e32 v11, s11, v10
	v_add_f32_e32 v4, v4, v12
	v_add_f32_e32 v5, v5, v11
.LBB103_23:
	global_store_dwordx2 v[6:7], v[4:5], off
.LBB103_24:
	s_or_b32 exec_lo, exec_lo, s6
	v_add_nc_u32_e32 v9, 16, v9
	v_mad_i64_i32 v[4:5], null, v9, s3, 0
	v_cmp_le_i32_e32 vcc_lo, v9, v0
	s_and_b32 s0, vcc_lo, s0
	v_lshlrev_b64 v[4:5], 3, v[4:5]
	v_add_co_u32 v6, s2, s4, v4
	v_add_co_ci_u32_e64 v7, null, s5, v5, s2
	s_and_saveexec_b32 s2, s0
	s_cbranch_execz .LBB103_28
; %bb.25:
	v_lshlrev_b64 v[0:1], 3, v[0:1]
	v_mul_f32_e32 v4, s15, v17
	v_mul_f32_e32 v5, s14, v17
	v_cmp_ne_u32_e32 vcc_lo, 1, v8
	v_fma_f32 v4, v16, s14, -v4
	v_add_co_u32 v0, s0, v6, v0
	v_fmac_f32_e32 v5, s15, v16
	v_add_co_ci_u32_e64 v1, null, v7, v1, s0
	s_cbranch_vccnz .LBB103_27
; %bb.26:
	global_load_dwordx2 v[10:11], v[0:1], off
	s_waitcnt vmcnt(0)
	v_mul_f32_e32 v12, s11, v11
	v_mul_f32_e32 v11, s10, v11
	v_fma_f32 v12, v10, s10, -v12
	v_fmac_f32_e32 v11, s11, v10
	v_add_f32_e32 v4, v4, v12
	v_add_f32_e32 v5, v5, v11
.LBB103_27:
	global_store_dwordx2 v[0:1], v[4:5], off
.LBB103_28:
	s_or_b32 exec_lo, exec_lo, s2
	v_cmp_le_i32_e32 vcc_lo, v9, v2
	s_and_b32 s0, vcc_lo, s1
	s_and_saveexec_b32 s1, s0
	s_cbranch_execz .LBB103_32
; %bb.29:
	v_lshlrev_b64 v[2:3], 3, v[2:3]
	v_mul_f32_e32 v0, s15, v15
	v_mul_f32_e32 v1, s14, v15
	v_cmp_ne_u32_e32 vcc_lo, 1, v8
	v_fma_f32 v0, v14, s14, -v0
	v_add_co_u32 v2, s0, v6, v2
	v_fmac_f32_e32 v1, s15, v14
	v_add_co_ci_u32_e64 v3, null, v7, v3, s0
	s_cbranch_vccnz .LBB103_31
; %bb.30:
	global_load_dwordx2 v[4:5], v[2:3], off
	s_waitcnt vmcnt(0)
	v_mul_f32_e32 v6, s11, v5
	v_mul_f32_e32 v5, s10, v5
	v_fma_f32 v6, v4, s10, -v6
	v_fmac_f32_e32 v5, s11, v4
	v_add_f32_e32 v0, v0, v6
	v_add_f32_e32 v1, v1, v5
.LBB103_31:
	global_store_dwordx2 v[2:3], v[0:1], off
.LBB103_32:
	s_endpgm
	.section	.rodata,"a",@progbits
	.p2align	6, 0x0
	.amdhsa_kernel _ZL29rocblas_internal_gemmt_kernelIiLi16ELi32ELi8ELc84ELc84ELc76ELb0ELb0E19rocblas_complex_numIfES1_PKS1_PS1_EviT_T9_T10_S5_lS7_S5_lS6_T11_S5_li
		.amdhsa_group_segment_fixed_size 4096
		.amdhsa_private_segment_fixed_size 0
		.amdhsa_kernarg_size 100
		.amdhsa_user_sgpr_count 6
		.amdhsa_user_sgpr_private_segment_buffer 1
		.amdhsa_user_sgpr_dispatch_ptr 0
		.amdhsa_user_sgpr_queue_ptr 0
		.amdhsa_user_sgpr_kernarg_segment_ptr 1
		.amdhsa_user_sgpr_dispatch_id 0
		.amdhsa_user_sgpr_flat_scratch_init 0
		.amdhsa_user_sgpr_private_segment_size 0
		.amdhsa_wavefront_size32 1
		.amdhsa_uses_dynamic_stack 0
		.amdhsa_system_sgpr_private_segment_wavefront_offset 0
		.amdhsa_system_sgpr_workgroup_id_x 1
		.amdhsa_system_sgpr_workgroup_id_y 1
		.amdhsa_system_sgpr_workgroup_id_z 1
		.amdhsa_system_sgpr_workgroup_info 0
		.amdhsa_system_vgpr_workitem_id 1
		.amdhsa_next_free_vgpr 59
		.amdhsa_next_free_sgpr 26
		.amdhsa_reserve_vcc 1
		.amdhsa_reserve_flat_scratch 0
		.amdhsa_float_round_mode_32 0
		.amdhsa_float_round_mode_16_64 0
		.amdhsa_float_denorm_mode_32 3
		.amdhsa_float_denorm_mode_16_64 3
		.amdhsa_dx10_clamp 1
		.amdhsa_ieee_mode 1
		.amdhsa_fp16_overflow 0
		.amdhsa_workgroup_processor_mode 1
		.amdhsa_memory_ordered 1
		.amdhsa_forward_progress 1
		.amdhsa_shared_vgpr_count 0
		.amdhsa_exception_fp_ieee_invalid_op 0
		.amdhsa_exception_fp_denorm_src 0
		.amdhsa_exception_fp_ieee_div_zero 0
		.amdhsa_exception_fp_ieee_overflow 0
		.amdhsa_exception_fp_ieee_underflow 0
		.amdhsa_exception_fp_ieee_inexact 0
		.amdhsa_exception_int_div_zero 0
	.end_amdhsa_kernel
	.section	.text._ZL29rocblas_internal_gemmt_kernelIiLi16ELi32ELi8ELc84ELc84ELc76ELb0ELb0E19rocblas_complex_numIfES1_PKS1_PS1_EviT_T9_T10_S5_lS7_S5_lS6_T11_S5_li,"axG",@progbits,_ZL29rocblas_internal_gemmt_kernelIiLi16ELi32ELi8ELc84ELc84ELc76ELb0ELb0E19rocblas_complex_numIfES1_PKS1_PS1_EviT_T9_T10_S5_lS7_S5_lS6_T11_S5_li,comdat
.Lfunc_end103:
	.size	_ZL29rocblas_internal_gemmt_kernelIiLi16ELi32ELi8ELc84ELc84ELc76ELb0ELb0E19rocblas_complex_numIfES1_PKS1_PS1_EviT_T9_T10_S5_lS7_S5_lS6_T11_S5_li, .Lfunc_end103-_ZL29rocblas_internal_gemmt_kernelIiLi16ELi32ELi8ELc84ELc84ELc76ELb0ELb0E19rocblas_complex_numIfES1_PKS1_PS1_EviT_T9_T10_S5_lS7_S5_lS6_T11_S5_li
                                        ; -- End function
	.set _ZL29rocblas_internal_gemmt_kernelIiLi16ELi32ELi8ELc84ELc84ELc76ELb0ELb0E19rocblas_complex_numIfES1_PKS1_PS1_EviT_T9_T10_S5_lS7_S5_lS6_T11_S5_li.num_vgpr, 59
	.set _ZL29rocblas_internal_gemmt_kernelIiLi16ELi32ELi8ELc84ELc84ELc76ELb0ELb0E19rocblas_complex_numIfES1_PKS1_PS1_EviT_T9_T10_S5_lS7_S5_lS6_T11_S5_li.num_agpr, 0
	.set _ZL29rocblas_internal_gemmt_kernelIiLi16ELi32ELi8ELc84ELc84ELc76ELb0ELb0E19rocblas_complex_numIfES1_PKS1_PS1_EviT_T9_T10_S5_lS7_S5_lS6_T11_S5_li.numbered_sgpr, 26
	.set _ZL29rocblas_internal_gemmt_kernelIiLi16ELi32ELi8ELc84ELc84ELc76ELb0ELb0E19rocblas_complex_numIfES1_PKS1_PS1_EviT_T9_T10_S5_lS7_S5_lS6_T11_S5_li.num_named_barrier, 0
	.set _ZL29rocblas_internal_gemmt_kernelIiLi16ELi32ELi8ELc84ELc84ELc76ELb0ELb0E19rocblas_complex_numIfES1_PKS1_PS1_EviT_T9_T10_S5_lS7_S5_lS6_T11_S5_li.private_seg_size, 0
	.set _ZL29rocblas_internal_gemmt_kernelIiLi16ELi32ELi8ELc84ELc84ELc76ELb0ELb0E19rocblas_complex_numIfES1_PKS1_PS1_EviT_T9_T10_S5_lS7_S5_lS6_T11_S5_li.uses_vcc, 1
	.set _ZL29rocblas_internal_gemmt_kernelIiLi16ELi32ELi8ELc84ELc84ELc76ELb0ELb0E19rocblas_complex_numIfES1_PKS1_PS1_EviT_T9_T10_S5_lS7_S5_lS6_T11_S5_li.uses_flat_scratch, 0
	.set _ZL29rocblas_internal_gemmt_kernelIiLi16ELi32ELi8ELc84ELc84ELc76ELb0ELb0E19rocblas_complex_numIfES1_PKS1_PS1_EviT_T9_T10_S5_lS7_S5_lS6_T11_S5_li.has_dyn_sized_stack, 0
	.set _ZL29rocblas_internal_gemmt_kernelIiLi16ELi32ELi8ELc84ELc84ELc76ELb0ELb0E19rocblas_complex_numIfES1_PKS1_PS1_EviT_T9_T10_S5_lS7_S5_lS6_T11_S5_li.has_recursion, 0
	.set _ZL29rocblas_internal_gemmt_kernelIiLi16ELi32ELi8ELc84ELc84ELc76ELb0ELb0E19rocblas_complex_numIfES1_PKS1_PS1_EviT_T9_T10_S5_lS7_S5_lS6_T11_S5_li.has_indirect_call, 0
	.section	.AMDGPU.csdata,"",@progbits
; Kernel info:
; codeLenInByte = 2516
; TotalNumSgprs: 28
; NumVgprs: 59
; ScratchSize: 0
; MemoryBound: 1
; FloatMode: 240
; IeeeMode: 1
; LDSByteSize: 4096 bytes/workgroup (compile time only)
; SGPRBlocks: 0
; VGPRBlocks: 7
; NumSGPRsForWavesPerEU: 28
; NumVGPRsForWavesPerEU: 59
; Occupancy: 16
; WaveLimiterHint : 0
; COMPUTE_PGM_RSRC2:SCRATCH_EN: 0
; COMPUTE_PGM_RSRC2:USER_SGPR: 6
; COMPUTE_PGM_RSRC2:TRAP_HANDLER: 0
; COMPUTE_PGM_RSRC2:TGID_X_EN: 1
; COMPUTE_PGM_RSRC2:TGID_Y_EN: 1
; COMPUTE_PGM_RSRC2:TGID_Z_EN: 1
; COMPUTE_PGM_RSRC2:TIDIG_COMP_CNT: 1
	.section	.text._ZL29rocblas_internal_gemmt_kernelIiLi16ELi32ELi8ELc84ELc67ELc76ELb0ELb1E19rocblas_complex_numIfES1_PKS1_PS1_EviT_T9_T10_S5_lS7_S5_lS6_T11_S5_li,"axG",@progbits,_ZL29rocblas_internal_gemmt_kernelIiLi16ELi32ELi8ELc84ELc67ELc76ELb0ELb1E19rocblas_complex_numIfES1_PKS1_PS1_EviT_T9_T10_S5_lS7_S5_lS6_T11_S5_li,comdat
	.globl	_ZL29rocblas_internal_gemmt_kernelIiLi16ELi32ELi8ELc84ELc67ELc76ELb0ELb1E19rocblas_complex_numIfES1_PKS1_PS1_EviT_T9_T10_S5_lS7_S5_lS6_T11_S5_li ; -- Begin function _ZL29rocblas_internal_gemmt_kernelIiLi16ELi32ELi8ELc84ELc67ELc76ELb0ELb1E19rocblas_complex_numIfES1_PKS1_PS1_EviT_T9_T10_S5_lS7_S5_lS6_T11_S5_li
	.p2align	8
	.type	_ZL29rocblas_internal_gemmt_kernelIiLi16ELi32ELi8ELc84ELc67ELc76ELb0ELb1E19rocblas_complex_numIfES1_PKS1_PS1_EviT_T9_T10_S5_lS7_S5_lS6_T11_S5_li,@function
_ZL29rocblas_internal_gemmt_kernelIiLi16ELi32ELi8ELc84ELc67ELc76ELb0ELb1E19rocblas_complex_numIfES1_PKS1_PS1_EviT_T9_T10_S5_lS7_S5_lS6_T11_S5_li: ; @_ZL29rocblas_internal_gemmt_kernelIiLi16ELi32ELi8ELc84ELc67ELc76ELb0ELb1E19rocblas_complex_numIfES1_PKS1_PS1_EviT_T9_T10_S5_lS7_S5_lS6_T11_S5_li
; %bb.0:
	s_clause 0x1
	s_load_dwordx2 s[10:11], s[4:5], 0x40
	s_load_dwordx4 s[12:15], s[4:5], 0x0
	s_waitcnt lgkmcnt(0)
	s_and_b32 s0, s11, 0x7fffffff
	v_cmp_eq_f32_e64 s1, s10, 1.0
	s_cmp_eq_u32 s0, 0
	s_mov_b32 s0, 0
	s_cselect_b32 s9, -1, 0
	s_and_b32 s1, s1, s9
	s_andn2_b32 vcc_lo, exec_lo, s1
	s_mov_b32 s1, -1
	s_cbranch_vccnz .LBB104_4
; %bb.1:
	s_cmp_lg_u32 s13, 0
	s_cbranch_scc0 .LBB104_3
; %bb.2:
	v_cmp_neq_f32_e64 s0, s14, 0
	v_cmp_neq_f32_e64 s1, s15, 0
	s_or_b32 s0, s0, s1
.LBB104_3:
	s_mov_b32 s1, s0
.LBB104_4:
	s_and_b32 vcc_lo, exec_lo, s1
	s_cbranch_vccz .LBB104_32
; %bb.5:
	v_cmp_eq_f32_e64 s0, s14, 0
	v_cmp_eq_f32_e64 s1, s15, 0
	s_lshl_b32 s6, s6, 5
	s_lshl_b32 s7, s7, 5
	v_mov_b32_e32 v20, 0
	v_mov_b32_e32 v21, 0
	s_and_b32 s0, s0, s1
	s_cmp_lt_i32 s13, 1
	v_mov_b32_e32 v18, 0
	s_cselect_b32 s1, -1, 0
	v_mov_b32_e32 v19, 0
	v_mov_b32_e32 v16, 0
	v_mov_b32_e32 v17, 0
	v_mov_b32_e32 v14, 0
	v_mov_b32_e32 v15, 0
	s_or_b32 s0, s0, s1
	s_mov_b32 s20, 0
	s_and_b32 vcc_lo, exec_lo, s0
	s_cbranch_vccnz .LBB104_16
; %bb.6:
	s_clause 0x1
	s_load_dword s1, s[4:5], 0x18
	s_load_dwordx2 s[22:23], s[4:5], 0x10
	v_lshl_add_u32 v2, v1, 4, v0
	v_and_b32_e32 v8, 7, v0
	s_clause 0x2
	s_load_dword s2, s[4:5], 0x30
	s_load_dwordx4 s[16:19], s[4:5], 0x20
	s_load_dwordx2 s[24:25], s[4:5], 0x38
	v_and_b32_e32 v3, 31, v2
	v_lshrrev_b32_e32 v4, 3, v2
	v_lshlrev_b32_e32 v5, 3, v8
	v_lshrrev_b32_e32 v9, 5, v2
	v_lshlrev_b32_e32 v12, 3, v0
	v_or_b32_e32 v6, s6, v3
	v_lshlrev_b32_e32 v7, 3, v3
	v_add_nc_u32_e32 v2, s7, v4
	v_lshl_or_b32 v4, v4, 6, v5
	v_add_nc_u32_e32 v3, s6, v3
	v_cmp_gt_i32_e32 vcc_lo, s12, v6
	v_lshl_or_b32 v10, v9, 8, v7
	v_lshlrev_b32_e32 v16, 3, v9
	v_add_nc_u32_e32 v11, 0x800, v4
	s_waitcnt lgkmcnt(0)
	v_mad_i64_i32 v[4:5], null, s1, v3, 0
	v_ashrrev_i32_e32 v3, 31, v2
	v_mad_i64_i32 v[6:7], null, s2, v8, 0
	s_mul_i32 s1, s17, s8
	s_mul_hi_u32 s17, s16, s8
	s_mul_i32 s16, s16, s8
	v_lshlrev_b64 v[4:5], 3, v[4:5]
	s_add_i32 s17, s17, s1
	s_mul_i32 s21, s25, s8
	s_lshl_b64 s[16:17], s[16:17], 3
	s_mul_hi_u32 s25, s24, s8
	v_cmp_gt_i32_e64 s0, s12, v2
	v_add_co_u32 v14, s1, v4, s16
	v_add_co_ci_u32_e64 v15, null, s17, v5, s1
	v_lshlrev_b64 v[4:5], 3, v[6:7]
	s_add_i32 s17, s25, s21
	s_mul_i32 s16, s24, s8
	v_lshlrev_b64 v[6:7], 3, v[2:3]
	s_lshl_b64 s[16:17], s[16:17], 3
	v_lshl_add_u32 v13, v1, 6, 0x800
	v_add_co_u32 v3, s1, s16, v4
	v_add_co_ci_u32_e64 v4, null, s17, v5, s1
	v_mov_b32_e32 v2, 0
	v_add_co_u32 v3, s1, v3, v6
	v_add_co_ci_u32_e64 v4, null, v4, v7, s1
	v_add_co_u32 v5, s1, v14, v16
	v_add_co_ci_u32_e64 v6, null, 0, v15, s1
	;; [unrolled: 2-line block ×5, first 2 shown]
	v_mov_b32_e32 v15, 0
	v_mov_b32_e32 v14, 0
	;; [unrolled: 1-line block ×8, first 2 shown]
	s_ashr_i32 s3, s2, 31
	s_xor_b32 s1, vcc_lo, -1
	s_lshl_b64 s[2:3], s[2:3], 6
	s_xor_b32 s0, s0, -1
	s_branch .LBB104_8
.LBB104_7:                              ;   in Loop: Header=BB104_8 Depth=1
	s_or_b32 exec_lo, exec_lo, s16
	ds_write_b32 v11, v3 offset:4
	s_waitcnt lgkmcnt(0)
	s_barrier
	buffer_gl0_inv
	ds_read_b128 v[22:25], v13
	ds_read2_b64 v[26:29], v12 offset1:16
	ds_read_b128 v[30:33], v13 offset:1024
	ds_read_b128 v[34:37], v13 offset:16
	;; [unrolled: 1-line block ×4, first 2 shown]
	ds_read2_b64 v[46:49], v12 offset0:32 offset1:48
	ds_read_b128 v[50:53], v13 offset:1040
	v_add_co_u32 v4, vcc_lo, v4, 64
	v_add_co_ci_u32_e64 v5, null, 0, v5, vcc_lo
	v_add_co_u32 v6, vcc_lo, v6, s2
	v_add_co_ci_u32_e64 v7, null, s3, v7, vcc_lo
	s_add_i32 s20, s20, 8
	s_cmp_lt_i32 s20, s13
	s_waitcnt lgkmcnt(6)
	v_mul_f32_e32 v3, v23, v27
	v_mul_f32_e32 v54, v22, v27
	;; [unrolled: 1-line block ×4, first 2 shown]
	s_waitcnt lgkmcnt(5)
	v_mul_f32_e32 v57, v31, v27
	v_mul_f32_e32 v27, v30, v27
	;; [unrolled: 1-line block ×3, first 2 shown]
	v_fma_f32 v3, v22, v26, -v3
	v_fmac_f32_e32 v54, v23, v26
	v_fma_f32 v22, v22, v28, -v55
	v_fmac_f32_e32 v56, v23, v28
	;; [unrolled: 2-line block ×3, first 2 shown]
	v_mul_f32_e32 v29, v30, v29
	v_fma_f32 v26, v30, v28, -v58
	v_add_f32_e32 v3, v20, v3
	v_add_f32_e32 v20, v21, v54
	;; [unrolled: 1-line block ×6, first 2 shown]
	s_waitcnt lgkmcnt(1)
	v_mul_f32_e32 v30, v25, v47
	ds_read2_b64 v[16:19], v12 offset0:64 offset1:80
	v_fmac_f32_e32 v29, v31, v28
	v_add_f32_e32 v14, v14, v26
	v_mul_f32_e32 v26, v24, v47
	v_fma_f32 v28, v24, v46, -v30
	v_mul_f32_e32 v30, v25, v49
	v_add_f32_e32 v15, v15, v29
	v_mul_f32_e32 v29, v24, v49
	v_fmac_f32_e32 v26, v25, v46
	v_add_f32_e32 v3, v3, v28
	v_fma_f32 v24, v24, v48, -v30
	v_mul_f32_e32 v28, v33, v47
	v_fmac_f32_e32 v29, v25, v48
	v_add_f32_e32 v26, v20, v26
	v_mul_f32_e32 v20, v32, v47
	v_add_f32_e32 v24, v21, v24
	v_fma_f32 v21, v32, v46, -v28
	v_mul_f32_e32 v25, v33, v49
	v_add_f32_e32 v28, v22, v29
	v_fmac_f32_e32 v20, v33, v46
	v_mul_f32_e32 v29, v32, v49
	v_add_f32_e32 v30, v23, v21
	v_fma_f32 v21, v32, v48, -v25
	s_waitcnt lgkmcnt(0)
	v_mul_f32_e32 v22, v35, v17
	v_add_f32_e32 v25, v27, v20
	v_fmac_f32_e32 v29, v33, v48
	v_mul_f32_e32 v27, v34, v17
	v_add_f32_e32 v14, v14, v21
	v_fma_f32 v31, v34, v16, -v22
	v_mul_f32_e32 v32, v35, v19
	ds_read2_b64 v[20:23], v12 offset0:96 offset1:112
	v_fmac_f32_e32 v27, v35, v16
	v_add_f32_e32 v29, v15, v29
	v_add_f32_e32 v3, v3, v31
	v_mul_f32_e32 v15, v34, v19
	v_fma_f32 v31, v34, v18, -v32
	v_add_f32_e32 v26, v26, v27
	v_mul_f32_e32 v27, v51, v17
	v_mul_f32_e32 v17, v50, v17
	v_fmac_f32_e32 v15, v35, v18
	v_add_f32_e32 v24, v24, v31
	v_mul_f32_e32 v31, v51, v19
	v_mul_f32_e32 v19, v50, v19
	v_fmac_f32_e32 v17, v51, v16
	v_add_f32_e32 v28, v28, v15
	v_fma_f32 v27, v50, v16, -v27
	v_fma_f32 v15, v50, v18, -v31
	v_fmac_f32_e32 v19, v51, v18
	v_add_f32_e32 v31, v25, v17
	s_waitcnt lgkmcnt(0)
	v_mul_f32_e32 v18, v37, v21
	v_add_f32_e32 v32, v14, v15
	ds_read2_b64 v[14:17], v12 offset0:128 offset1:144
	v_add_f32_e32 v30, v30, v27
	v_mul_f32_e32 v25, v36, v21
	v_fma_f32 v18, v36, v20, -v18
	v_mul_f32_e32 v27, v37, v23
	v_add_f32_e32 v29, v29, v19
	v_mul_f32_e32 v19, v36, v23
	v_fmac_f32_e32 v25, v37, v20
	v_add_f32_e32 v3, v3, v18
	v_mul_f32_e32 v18, v53, v21
	v_fma_f32 v27, v36, v22, -v27
	v_fmac_f32_e32 v19, v37, v22
	v_mul_f32_e32 v21, v52, v21
	v_mul_f32_e32 v35, v53, v23
	v_fma_f32 v18, v52, v20, -v18
	v_add_f32_e32 v33, v26, v25
	v_add_f32_e32 v34, v24, v27
	ds_read_b128 v[24:27], v13 offset:1056
	v_add_f32_e32 v36, v28, v19
	v_fmac_f32_e32 v21, v53, v20
	v_mul_f32_e32 v23, v52, v23
	v_fma_f32 v19, v52, v22, -v35
	v_add_f32_e32 v35, v30, v18
	s_waitcnt lgkmcnt(1)
	v_mul_f32_e32 v18, v39, v15
	v_add_f32_e32 v37, v31, v21
	v_fmac_f32_e32 v23, v53, v22
	v_add_f32_e32 v22, v32, v19
	v_mul_f32_e32 v32, v38, v15
	v_fma_f32 v28, v38, v14, -v18
	ds_read2_b64 v[18:21], v12 offset0:160 offset1:176
	v_mul_f32_e32 v30, v39, v17
	v_mul_f32_e32 v46, v38, v17
	v_fmac_f32_e32 v32, v39, v14
	v_add_f32_e32 v23, v29, v23
	v_add_f32_e32 v3, v3, v28
	v_fma_f32 v38, v38, v16, -v30
	ds_read_b128 v[28:31], v13 offset:1072
	s_waitcnt lgkmcnt(2)
	v_mul_f32_e32 v47, v25, v15
	v_add_f32_e32 v32, v33, v32
	v_mul_f32_e32 v15, v24, v15
	v_add_f32_e32 v33, v34, v38
	v_mul_f32_e32 v38, v25, v17
	v_fmac_f32_e32 v46, v39, v16
	v_fma_f32 v34, v24, v14, -v47
	v_fmac_f32_e32 v15, v25, v14
	v_mul_f32_e32 v39, v24, v17
	v_fma_f32 v14, v24, v16, -v38
	v_add_f32_e32 v36, v36, v46
	v_add_f32_e32 v34, v35, v34
	s_waitcnt lgkmcnt(1)
	v_mul_f32_e32 v17, v41, v19
	v_add_f32_e32 v24, v37, v15
	v_fmac_f32_e32 v39, v25, v16
	v_mul_f32_e32 v25, v40, v19
	v_add_f32_e32 v22, v22, v14
	v_fma_f32 v35, v40, v18, -v17
	ds_read2_b64 v[14:17], v12 offset0:192 offset1:208
	v_mul_f32_e32 v37, v41, v21
	v_fmac_f32_e32 v25, v41, v18
	v_add_f32_e32 v38, v23, v39
	v_add_f32_e32 v3, v3, v35
	v_mul_f32_e32 v23, v40, v21
	v_fma_f32 v35, v40, v20, -v37
	v_add_f32_e32 v32, v32, v25
	v_mul_f32_e32 v25, v27, v19
	v_mul_f32_e32 v19, v26, v19
	v_fmac_f32_e32 v23, v41, v20
	v_add_f32_e32 v33, v33, v35
	v_mul_f32_e32 v35, v27, v21
	v_fma_f32 v25, v26, v18, -v25
	v_fmac_f32_e32 v19, v27, v18
	v_add_f32_e32 v18, v36, v23
	v_mul_f32_e32 v21, v26, v21
	v_fma_f32 v23, v26, v20, -v35
	v_add_f32_e32 v26, v34, v25
	v_add_f32_e32 v19, v24, v19
	s_waitcnt lgkmcnt(0)
	v_mul_f32_e32 v34, v43, v15
	v_fmac_f32_e32 v21, v27, v20
	v_add_f32_e32 v20, v22, v23
	ds_read2_b64 v[22:25], v12 offset0:224 offset1:240
	v_mul_f32_e32 v27, v42, v15
	v_fma_f32 v34, v42, v14, -v34
	v_mul_f32_e32 v35, v43, v17
	v_mul_f32_e32 v36, v42, v17
	v_add_f32_e32 v21, v38, v21
	v_fmac_f32_e32 v27, v43, v14
	v_add_f32_e32 v3, v3, v34
	v_mul_f32_e32 v34, v29, v15
	v_fma_f32 v35, v42, v16, -v35
	v_fmac_f32_e32 v36, v43, v16
	v_add_f32_e32 v27, v32, v27
	v_mul_f32_e32 v15, v28, v15
	v_fma_f32 v32, v28, v14, -v34
	v_mul_f32_e32 v34, v29, v17
	v_add_f32_e32 v33, v33, v35
	v_add_f32_e32 v35, v18, v36
	v_fmac_f32_e32 v15, v29, v14
	v_add_f32_e32 v14, v26, v32
	v_mul_f32_e32 v17, v28, v17
	v_fma_f32 v18, v28, v16, -v34
	s_waitcnt lgkmcnt(0)
	v_mul_f32_e32 v26, v45, v23
	v_mul_f32_e32 v28, v44, v23
	v_add_f32_e32 v15, v19, v15
	v_fmac_f32_e32 v17, v29, v16
	v_add_f32_e32 v29, v20, v18
	v_fma_f32 v16, v44, v22, -v26
	v_mul_f32_e32 v18, v45, v25
	v_mul_f32_e32 v19, v44, v25
	v_add_f32_e32 v26, v21, v17
	v_mul_f32_e32 v17, v30, v23
	v_add_f32_e32 v20, v3, v16
	v_fma_f32 v3, v44, v24, -v18
	v_mul_f32_e32 v16, v31, v23
	v_mul_f32_e32 v23, v31, v25
	;; [unrolled: 1-line block ×3, first 2 shown]
	v_fmac_f32_e32 v28, v45, v22
	v_fmac_f32_e32 v19, v45, v24
	v_add_f32_e32 v18, v33, v3
	v_fma_f32 v3, v30, v22, -v16
	v_fmac_f32_e32 v17, v31, v22
	v_fma_f32 v22, v30, v24, -v23
	v_fmac_f32_e32 v25, v31, v24
	v_add_f32_e32 v21, v27, v28
	v_add_f32_e32 v19, v35, v19
	;; [unrolled: 1-line block ×6, first 2 shown]
	s_barrier
	buffer_gl0_inv
	s_cbranch_scc0 .LBB104_16
.LBB104_8:                              ; =>This Inner Loop Header: Depth=1
	v_add_nc_u32_e32 v3, s20, v9
	v_cmp_le_i32_e32 vcc_lo, s13, v3
	s_or_b32 s16, s1, vcc_lo
	s_and_saveexec_b32 s17, s16
	s_xor_b32 s16, exec_lo, s17
; %bb.9:                                ;   in Loop: Header=BB104_8 Depth=1
	v_mov_b32_e32 v3, v2
	ds_write_b64 v10, v[2:3]
; %bb.10:                               ;   in Loop: Header=BB104_8 Depth=1
	s_andn2_saveexec_b32 s16, s16
	s_cbranch_execz .LBB104_12
; %bb.11:                               ;   in Loop: Header=BB104_8 Depth=1
	global_load_dwordx2 v[22:23], v[4:5], off
	s_waitcnt vmcnt(0)
	ds_write_b64 v10, v[22:23]
.LBB104_12:                             ;   in Loop: Header=BB104_8 Depth=1
	s_or_b32 exec_lo, exec_lo, s16
	v_add_nc_u32_e32 v3, s20, v8
	v_cmp_le_i32_e32 vcc_lo, s13, v3
	s_or_b32 s16, vcc_lo, s0
	s_and_saveexec_b32 s17, s16
	s_xor_b32 s16, exec_lo, s17
; %bb.13:                               ;   in Loop: Header=BB104_8 Depth=1
	ds_write_b32 v11, v2
; %bb.14:                               ;   in Loop: Header=BB104_8 Depth=1
	s_or_saveexec_b32 s16, s16
	v_mov_b32_e32 v3, 0
	s_xor_b32 exec_lo, exec_lo, s16
	s_cbranch_execz .LBB104_7
; %bb.15:                               ;   in Loop: Header=BB104_8 Depth=1
	global_load_dwordx2 v[22:23], v[6:7], off offset:-4
	s_waitcnt vmcnt(0)
	v_xor_b32_e32 v3, 0x80000000, v23
	ds_write_b32 v11, v22
	s_branch .LBB104_7
.LBB104_16:
	s_clause 0x2
	s_load_dword s3, s[4:5], 0x50
	s_load_dwordx2 s[0:1], s[4:5], 0x58
	s_load_dwordx2 s[4:5], s[4:5], 0x48
	v_add_nc_u32_e32 v9, s7, v1
	v_add_nc_u32_e32 v0, s6, v0
	v_cmp_neq_f32_e64 s2, s10, 0
	v_cmp_le_i32_e32 vcc_lo, v9, v0
	s_waitcnt lgkmcnt(0)
	v_mad_i64_i32 v[1:2], null, v9, s3, 0
	s_mul_i32 s1, s1, s8
	s_mul_hi_u32 s7, s0, s8
	s_mul_i32 s6, s0, s8
	s_add_i32 s7, s7, s1
	v_cmp_gt_i32_e64 s0, s12, v0
	s_lshl_b64 s[6:7], s[6:7], 3
	v_lshlrev_b64 v[2:3], 3, v[1:2]
	s_add_u32 s4, s4, s6
	s_addc_u32 s5, s5, s7
	s_xor_b32 s6, s9, -1
	v_ashrrev_i32_e32 v1, 31, v0
	s_or_b32 s2, s2, s6
	v_add_co_u32 v6, s1, s4, v2
	v_add_co_ci_u32_e64 v7, null, s5, v3, s1
	v_cndmask_b32_e64 v8, 0, 1, s2
	s_and_b32 s6, vcc_lo, s0
	s_and_saveexec_b32 s1, s6
	s_cbranch_execz .LBB104_20
; %bb.17:
	v_lshlrev_b64 v[4:5], 3, v[0:1]
	v_mul_f32_e32 v2, s15, v21
	v_mul_f32_e32 v3, s14, v21
	v_fma_f32 v2, v20, s14, -v2
	v_add_co_u32 v4, vcc_lo, v6, v4
	v_fmac_f32_e32 v3, s15, v20
	v_add_co_ci_u32_e64 v5, null, v7, v5, vcc_lo
	s_andn2_b32 vcc_lo, exec_lo, s2
	s_cbranch_vccnz .LBB104_19
; %bb.18:
	global_load_dwordx2 v[10:11], v[4:5], off
	s_waitcnt vmcnt(0)
	v_mul_f32_e32 v12, s11, v11
	v_mul_f32_e32 v11, s10, v11
	v_fma_f32 v12, v10, s10, -v12
	v_fmac_f32_e32 v11, s11, v10
	v_add_f32_e32 v2, v2, v12
	v_add_f32_e32 v3, v3, v11
.LBB104_19:
	global_store_dwordx2 v[4:5], v[2:3], off
.LBB104_20:
	s_or_b32 exec_lo, exec_lo, s1
	v_add_nc_u32_e32 v2, 16, v0
	v_cmp_le_i32_e32 vcc_lo, v9, v2
	v_cmp_gt_i32_e64 s1, s12, v2
	v_ashrrev_i32_e32 v3, 31, v2
	s_and_b32 s2, vcc_lo, s1
	s_and_saveexec_b32 s6, s2
	s_cbranch_execz .LBB104_24
; %bb.21:
	v_lshlrev_b64 v[10:11], 3, v[2:3]
	v_mul_f32_e32 v4, s15, v19
	v_mul_f32_e32 v5, s14, v19
	v_cmp_ne_u32_e32 vcc_lo, 1, v8
	v_fma_f32 v4, v18, s14, -v4
	v_add_co_u32 v6, s2, v6, v10
	v_fmac_f32_e32 v5, s15, v18
	v_add_co_ci_u32_e64 v7, null, v7, v11, s2
	s_cbranch_vccnz .LBB104_23
; %bb.22:
	global_load_dwordx2 v[10:11], v[6:7], off
	s_waitcnt vmcnt(0)
	v_mul_f32_e32 v12, s11, v11
	v_mul_f32_e32 v11, s10, v11
	v_fma_f32 v12, v10, s10, -v12
	v_fmac_f32_e32 v11, s11, v10
	v_add_f32_e32 v4, v4, v12
	v_add_f32_e32 v5, v5, v11
.LBB104_23:
	global_store_dwordx2 v[6:7], v[4:5], off
.LBB104_24:
	s_or_b32 exec_lo, exec_lo, s6
	v_add_nc_u32_e32 v9, 16, v9
	v_mad_i64_i32 v[4:5], null, v9, s3, 0
	v_cmp_le_i32_e32 vcc_lo, v9, v0
	s_and_b32 s0, vcc_lo, s0
	v_lshlrev_b64 v[4:5], 3, v[4:5]
	v_add_co_u32 v6, s2, s4, v4
	v_add_co_ci_u32_e64 v7, null, s5, v5, s2
	s_and_saveexec_b32 s2, s0
	s_cbranch_execz .LBB104_28
; %bb.25:
	v_lshlrev_b64 v[0:1], 3, v[0:1]
	v_mul_f32_e32 v4, s15, v17
	v_mul_f32_e32 v5, s14, v17
	v_cmp_ne_u32_e32 vcc_lo, 1, v8
	v_fma_f32 v4, v16, s14, -v4
	v_add_co_u32 v0, s0, v6, v0
	v_fmac_f32_e32 v5, s15, v16
	v_add_co_ci_u32_e64 v1, null, v7, v1, s0
	s_cbranch_vccnz .LBB104_27
; %bb.26:
	global_load_dwordx2 v[10:11], v[0:1], off
	s_waitcnt vmcnt(0)
	v_mul_f32_e32 v12, s11, v11
	v_mul_f32_e32 v11, s10, v11
	v_fma_f32 v12, v10, s10, -v12
	v_fmac_f32_e32 v11, s11, v10
	v_add_f32_e32 v4, v4, v12
	v_add_f32_e32 v5, v5, v11
.LBB104_27:
	global_store_dwordx2 v[0:1], v[4:5], off
.LBB104_28:
	s_or_b32 exec_lo, exec_lo, s2
	v_cmp_le_i32_e32 vcc_lo, v9, v2
	s_and_b32 s0, vcc_lo, s1
	s_and_saveexec_b32 s1, s0
	s_cbranch_execz .LBB104_32
; %bb.29:
	v_lshlrev_b64 v[2:3], 3, v[2:3]
	v_mul_f32_e32 v0, s15, v15
	v_mul_f32_e32 v1, s14, v15
	v_cmp_ne_u32_e32 vcc_lo, 1, v8
	v_fma_f32 v0, v14, s14, -v0
	v_add_co_u32 v2, s0, v6, v2
	v_fmac_f32_e32 v1, s15, v14
	v_add_co_ci_u32_e64 v3, null, v7, v3, s0
	s_cbranch_vccnz .LBB104_31
; %bb.30:
	global_load_dwordx2 v[4:5], v[2:3], off
	s_waitcnt vmcnt(0)
	v_mul_f32_e32 v6, s11, v5
	v_mul_f32_e32 v5, s10, v5
	v_fma_f32 v6, v4, s10, -v6
	v_fmac_f32_e32 v5, s11, v4
	v_add_f32_e32 v0, v0, v6
	v_add_f32_e32 v1, v1, v5
.LBB104_31:
	global_store_dwordx2 v[2:3], v[0:1], off
.LBB104_32:
	s_endpgm
	.section	.rodata,"a",@progbits
	.p2align	6, 0x0
	.amdhsa_kernel _ZL29rocblas_internal_gemmt_kernelIiLi16ELi32ELi8ELc84ELc67ELc76ELb0ELb1E19rocblas_complex_numIfES1_PKS1_PS1_EviT_T9_T10_S5_lS7_S5_lS6_T11_S5_li
		.amdhsa_group_segment_fixed_size 4096
		.amdhsa_private_segment_fixed_size 0
		.amdhsa_kernarg_size 100
		.amdhsa_user_sgpr_count 6
		.amdhsa_user_sgpr_private_segment_buffer 1
		.amdhsa_user_sgpr_dispatch_ptr 0
		.amdhsa_user_sgpr_queue_ptr 0
		.amdhsa_user_sgpr_kernarg_segment_ptr 1
		.amdhsa_user_sgpr_dispatch_id 0
		.amdhsa_user_sgpr_flat_scratch_init 0
		.amdhsa_user_sgpr_private_segment_size 0
		.amdhsa_wavefront_size32 1
		.amdhsa_uses_dynamic_stack 0
		.amdhsa_system_sgpr_private_segment_wavefront_offset 0
		.amdhsa_system_sgpr_workgroup_id_x 1
		.amdhsa_system_sgpr_workgroup_id_y 1
		.amdhsa_system_sgpr_workgroup_id_z 1
		.amdhsa_system_sgpr_workgroup_info 0
		.amdhsa_system_vgpr_workitem_id 1
		.amdhsa_next_free_vgpr 59
		.amdhsa_next_free_sgpr 26
		.amdhsa_reserve_vcc 1
		.amdhsa_reserve_flat_scratch 0
		.amdhsa_float_round_mode_32 0
		.amdhsa_float_round_mode_16_64 0
		.amdhsa_float_denorm_mode_32 3
		.amdhsa_float_denorm_mode_16_64 3
		.amdhsa_dx10_clamp 1
		.amdhsa_ieee_mode 1
		.amdhsa_fp16_overflow 0
		.amdhsa_workgroup_processor_mode 1
		.amdhsa_memory_ordered 1
		.amdhsa_forward_progress 1
		.amdhsa_shared_vgpr_count 0
		.amdhsa_exception_fp_ieee_invalid_op 0
		.amdhsa_exception_fp_denorm_src 0
		.amdhsa_exception_fp_ieee_div_zero 0
		.amdhsa_exception_fp_ieee_overflow 0
		.amdhsa_exception_fp_ieee_underflow 0
		.amdhsa_exception_fp_ieee_inexact 0
		.amdhsa_exception_int_div_zero 0
	.end_amdhsa_kernel
	.section	.text._ZL29rocblas_internal_gemmt_kernelIiLi16ELi32ELi8ELc84ELc67ELc76ELb0ELb1E19rocblas_complex_numIfES1_PKS1_PS1_EviT_T9_T10_S5_lS7_S5_lS6_T11_S5_li,"axG",@progbits,_ZL29rocblas_internal_gemmt_kernelIiLi16ELi32ELi8ELc84ELc67ELc76ELb0ELb1E19rocblas_complex_numIfES1_PKS1_PS1_EviT_T9_T10_S5_lS7_S5_lS6_T11_S5_li,comdat
.Lfunc_end104:
	.size	_ZL29rocblas_internal_gemmt_kernelIiLi16ELi32ELi8ELc84ELc67ELc76ELb0ELb1E19rocblas_complex_numIfES1_PKS1_PS1_EviT_T9_T10_S5_lS7_S5_lS6_T11_S5_li, .Lfunc_end104-_ZL29rocblas_internal_gemmt_kernelIiLi16ELi32ELi8ELc84ELc67ELc76ELb0ELb1E19rocblas_complex_numIfES1_PKS1_PS1_EviT_T9_T10_S5_lS7_S5_lS6_T11_S5_li
                                        ; -- End function
	.set _ZL29rocblas_internal_gemmt_kernelIiLi16ELi32ELi8ELc84ELc67ELc76ELb0ELb1E19rocblas_complex_numIfES1_PKS1_PS1_EviT_T9_T10_S5_lS7_S5_lS6_T11_S5_li.num_vgpr, 59
	.set _ZL29rocblas_internal_gemmt_kernelIiLi16ELi32ELi8ELc84ELc67ELc76ELb0ELb1E19rocblas_complex_numIfES1_PKS1_PS1_EviT_T9_T10_S5_lS7_S5_lS6_T11_S5_li.num_agpr, 0
	.set _ZL29rocblas_internal_gemmt_kernelIiLi16ELi32ELi8ELc84ELc67ELc76ELb0ELb1E19rocblas_complex_numIfES1_PKS1_PS1_EviT_T9_T10_S5_lS7_S5_lS6_T11_S5_li.numbered_sgpr, 26
	.set _ZL29rocblas_internal_gemmt_kernelIiLi16ELi32ELi8ELc84ELc67ELc76ELb0ELb1E19rocblas_complex_numIfES1_PKS1_PS1_EviT_T9_T10_S5_lS7_S5_lS6_T11_S5_li.num_named_barrier, 0
	.set _ZL29rocblas_internal_gemmt_kernelIiLi16ELi32ELi8ELc84ELc67ELc76ELb0ELb1E19rocblas_complex_numIfES1_PKS1_PS1_EviT_T9_T10_S5_lS7_S5_lS6_T11_S5_li.private_seg_size, 0
	.set _ZL29rocblas_internal_gemmt_kernelIiLi16ELi32ELi8ELc84ELc67ELc76ELb0ELb1E19rocblas_complex_numIfES1_PKS1_PS1_EviT_T9_T10_S5_lS7_S5_lS6_T11_S5_li.uses_vcc, 1
	.set _ZL29rocblas_internal_gemmt_kernelIiLi16ELi32ELi8ELc84ELc67ELc76ELb0ELb1E19rocblas_complex_numIfES1_PKS1_PS1_EviT_T9_T10_S5_lS7_S5_lS6_T11_S5_li.uses_flat_scratch, 0
	.set _ZL29rocblas_internal_gemmt_kernelIiLi16ELi32ELi8ELc84ELc67ELc76ELb0ELb1E19rocblas_complex_numIfES1_PKS1_PS1_EviT_T9_T10_S5_lS7_S5_lS6_T11_S5_li.has_dyn_sized_stack, 0
	.set _ZL29rocblas_internal_gemmt_kernelIiLi16ELi32ELi8ELc84ELc67ELc76ELb0ELb1E19rocblas_complex_numIfES1_PKS1_PS1_EviT_T9_T10_S5_lS7_S5_lS6_T11_S5_li.has_recursion, 0
	.set _ZL29rocblas_internal_gemmt_kernelIiLi16ELi32ELi8ELc84ELc67ELc76ELb0ELb1E19rocblas_complex_numIfES1_PKS1_PS1_EviT_T9_T10_S5_lS7_S5_lS6_T11_S5_li.has_indirect_call, 0
	.section	.AMDGPU.csdata,"",@progbits
; Kernel info:
; codeLenInByte = 2552
; TotalNumSgprs: 28
; NumVgprs: 59
; ScratchSize: 0
; MemoryBound: 1
; FloatMode: 240
; IeeeMode: 1
; LDSByteSize: 4096 bytes/workgroup (compile time only)
; SGPRBlocks: 0
; VGPRBlocks: 7
; NumSGPRsForWavesPerEU: 28
; NumVGPRsForWavesPerEU: 59
; Occupancy: 16
; WaveLimiterHint : 0
; COMPUTE_PGM_RSRC2:SCRATCH_EN: 0
; COMPUTE_PGM_RSRC2:USER_SGPR: 6
; COMPUTE_PGM_RSRC2:TRAP_HANDLER: 0
; COMPUTE_PGM_RSRC2:TGID_X_EN: 1
; COMPUTE_PGM_RSRC2:TGID_Y_EN: 1
; COMPUTE_PGM_RSRC2:TGID_Z_EN: 1
; COMPUTE_PGM_RSRC2:TIDIG_COMP_CNT: 1
	.section	.text._ZL29rocblas_internal_gemmt_kernelIiLi16ELi32ELi8ELc67ELc78ELc76ELb1ELb0E19rocblas_complex_numIfES1_PKS1_PS1_EviT_T9_T10_S5_lS7_S5_lS6_T11_S5_li,"axG",@progbits,_ZL29rocblas_internal_gemmt_kernelIiLi16ELi32ELi8ELc67ELc78ELc76ELb1ELb0E19rocblas_complex_numIfES1_PKS1_PS1_EviT_T9_T10_S5_lS7_S5_lS6_T11_S5_li,comdat
	.globl	_ZL29rocblas_internal_gemmt_kernelIiLi16ELi32ELi8ELc67ELc78ELc76ELb1ELb0E19rocblas_complex_numIfES1_PKS1_PS1_EviT_T9_T10_S5_lS7_S5_lS6_T11_S5_li ; -- Begin function _ZL29rocblas_internal_gemmt_kernelIiLi16ELi32ELi8ELc67ELc78ELc76ELb1ELb0E19rocblas_complex_numIfES1_PKS1_PS1_EviT_T9_T10_S5_lS7_S5_lS6_T11_S5_li
	.p2align	8
	.type	_ZL29rocblas_internal_gemmt_kernelIiLi16ELi32ELi8ELc67ELc78ELc76ELb1ELb0E19rocblas_complex_numIfES1_PKS1_PS1_EviT_T9_T10_S5_lS7_S5_lS6_T11_S5_li,@function
_ZL29rocblas_internal_gemmt_kernelIiLi16ELi32ELi8ELc67ELc78ELc76ELb1ELb0E19rocblas_complex_numIfES1_PKS1_PS1_EviT_T9_T10_S5_lS7_S5_lS6_T11_S5_li: ; @_ZL29rocblas_internal_gemmt_kernelIiLi16ELi32ELi8ELc67ELc78ELc76ELb1ELb0E19rocblas_complex_numIfES1_PKS1_PS1_EviT_T9_T10_S5_lS7_S5_lS6_T11_S5_li
; %bb.0:
	s_clause 0x1
	s_load_dwordx2 s[10:11], s[4:5], 0x40
	s_load_dwordx4 s[12:15], s[4:5], 0x0
	s_waitcnt lgkmcnt(0)
	s_and_b32 s0, s11, 0x7fffffff
	v_cmp_eq_f32_e64 s1, s10, 1.0
	s_cmp_eq_u32 s0, 0
	s_mov_b32 s0, 0
	s_cselect_b32 s2, -1, 0
	s_and_b32 s1, s1, s2
	s_andn2_b32 vcc_lo, exec_lo, s1
	s_mov_b32 s1, -1
	s_cbranch_vccnz .LBB105_4
; %bb.1:
	s_cmp_lg_u32 s13, 0
	s_cbranch_scc0 .LBB105_3
; %bb.2:
	v_cmp_neq_f32_e64 s0, s14, 0
	v_cmp_neq_f32_e64 s1, s15, 0
	s_or_b32 s0, s0, s1
.LBB105_3:
	s_mov_b32 s1, s0
.LBB105_4:
	s_and_b32 vcc_lo, exec_lo, s1
	s_cbranch_vccz .LBB105_32
; %bb.5:
	v_cmp_eq_f32_e64 s0, s14, 0
	v_cmp_eq_f32_e64 s1, s15, 0
	s_lshl_b32 s3, s6, 5
	s_lshl_b32 s6, s7, 5
	v_mov_b32_e32 v20, 0
	v_mov_b32_e32 v21, 0
	s_and_b32 s0, s0, s1
	s_cmp_lt_i32 s13, 1
	v_mov_b32_e32 v18, 0
	s_cselect_b32 s1, -1, 0
	v_mov_b32_e32 v19, 0
	v_mov_b32_e32 v16, 0
	;; [unrolled: 1-line block ×5, first 2 shown]
	s_or_b32 s0, s0, s1
	s_mov_b32 s7, 0
	s_and_b32 vcc_lo, exec_lo, s0
	s_cbranch_vccnz .LBB105_16
; %bb.6:
	s_clause 0x1
	s_load_dword s0, s[4:5], 0x18
	s_load_dwordx2 s[20:21], s[4:5], 0x10
	v_lshl_add_u32 v2, v1, 4, v0
	s_clause 0x2
	s_load_dwordx4 s[16:19], s[4:5], 0x20
	s_load_dword s1, s[4:5], 0x30
	s_load_dwordx2 s[22:23], s[4:5], 0x38
	v_and_b32_e32 v8, 7, v0
	v_lshlrev_b32_e32 v9, 3, v0
	v_lshl_add_u32 v10, v1, 6, 0x800
	v_and_b32_e32 v4, 31, v2
	v_lshrrev_b32_e32 v3, 3, v2
	v_lshrrev_b32_e32 v11, 5, v2
	v_lshlrev_b32_e32 v6, 3, v8
	v_mov_b32_e32 v17, 0
	v_add_nc_u32_e32 v2, s3, v4
	v_add_nc_u32_e32 v5, s6, v3
	v_or_b32_e32 v7, s3, v4
	v_lshl_or_b32 v13, v3, 6, v6
	v_lshlrev_b32_e32 v4, 3, v4
	v_lshlrev_b32_e32 v15, 3, v11
	v_mov_b32_e32 v16, 0
	v_cmp_gt_i32_e32 vcc_lo, s12, v7
	s_waitcnt lgkmcnt(0)
	v_mad_i64_i32 v[2:3], null, s0, v2, 0
	v_lshl_or_b32 v12, v11, 8, v4
	v_cmp_gt_i32_e64 s0, s12, v5
	s_mul_i32 s9, s17, s8
	s_mul_hi_u32 s17, s16, s8
	v_mad_i64_i32 v[4:5], null, s1, v5, 0
	v_lshlrev_b64 v[2:3], 3, v[2:3]
	s_mul_i32 s16, s16, s8
	s_add_i32 s17, s17, s9
	s_mul_hi_u32 s9, s22, s8
	s_lshl_b64 s[16:17], s[16:17], 3
	v_add_nc_u32_e32 v13, 0x800, v13
	v_add_co_u32 v7, s1, v2, s16
	v_add_co_ci_u32_e64 v14, null, s17, v3, s1
	s_mul_i32 s1, s23, s8
	v_lshlrev_b64 v[3:4], 3, v[4:5]
	s_add_i32 s17, s9, s1
	s_mul_i32 s16, s22, s8
	v_add_co_u32 v5, s1, v7, v15
	s_lshl_b64 s[16:17], s[16:17], 3
	v_add_co_ci_u32_e64 v7, null, 0, v14, s1
	v_add_co_u32 v3, s1, v3, s16
	v_add_co_ci_u32_e64 v4, null, s17, v4, s1
	v_add_co_u32 v5, s1, s20, v5
	v_add_co_ci_u32_e64 v7, null, s21, v7, s1
	v_add_co_u32 v3, s1, v3, v6
	v_add_co_ci_u32_e64 v14, null, 0, v4, s1
	v_add_co_u32 v4, s1, v5, 4
	v_add_co_ci_u32_e64 v5, null, 0, v7, s1
	v_add_co_u32 v6, s1, s18, v3
	v_mov_b32_e32 v2, 0
	v_add_co_ci_u32_e64 v7, null, s19, v14, s1
	v_mov_b32_e32 v15, 0
	v_mov_b32_e32 v14, 0
	;; [unrolled: 1-line block ×6, first 2 shown]
	s_xor_b32 s1, vcc_lo, -1
	s_xor_b32 s0, s0, -1
	s_branch .LBB105_8
.LBB105_7:                              ;   in Loop: Header=BB105_8 Depth=1
	s_or_b32 exec_lo, exec_lo, s9
	s_waitcnt lgkmcnt(0)
	s_barrier
	buffer_gl0_inv
	ds_read_b128 v[22:25], v10
	ds_read2_b64 v[26:29], v9 offset1:16
	ds_read_b128 v[30:33], v10 offset:1024
	ds_read_b128 v[34:37], v10 offset:16
	;; [unrolled: 1-line block ×4, first 2 shown]
	ds_read2_b64 v[46:49], v9 offset0:32 offset1:48
	ds_read_b128 v[50:53], v10 offset:1040
	v_add_co_u32 v4, vcc_lo, v4, 64
	v_add_co_ci_u32_e64 v5, null, 0, v5, vcc_lo
	v_add_co_u32 v6, vcc_lo, v6, 64
	v_add_co_ci_u32_e64 v7, null, 0, v7, vcc_lo
	s_add_i32 s7, s7, 8
	s_cmp_lt_i32 s7, s13
	s_waitcnt lgkmcnt(6)
	v_mul_f32_e32 v3, v23, v27
	v_mul_f32_e32 v54, v22, v27
	;; [unrolled: 1-line block ×4, first 2 shown]
	s_waitcnt lgkmcnt(5)
	v_mul_f32_e32 v57, v31, v27
	v_mul_f32_e32 v27, v30, v27
	;; [unrolled: 1-line block ×3, first 2 shown]
	v_fma_f32 v3, v22, v26, -v3
	v_fmac_f32_e32 v54, v23, v26
	v_fma_f32 v22, v22, v28, -v55
	v_fmac_f32_e32 v56, v23, v28
	;; [unrolled: 2-line block ×3, first 2 shown]
	v_mul_f32_e32 v29, v30, v29
	v_fma_f32 v26, v30, v28, -v58
	v_add_f32_e32 v3, v20, v3
	v_add_f32_e32 v20, v21, v54
	;; [unrolled: 1-line block ×6, first 2 shown]
	s_waitcnt lgkmcnt(1)
	v_mul_f32_e32 v30, v25, v47
	ds_read2_b64 v[16:19], v9 offset0:64 offset1:80
	v_fmac_f32_e32 v29, v31, v28
	v_add_f32_e32 v14, v14, v26
	v_mul_f32_e32 v26, v24, v47
	v_fma_f32 v28, v24, v46, -v30
	v_mul_f32_e32 v30, v25, v49
	v_add_f32_e32 v15, v15, v29
	v_mul_f32_e32 v29, v24, v49
	v_fmac_f32_e32 v26, v25, v46
	v_add_f32_e32 v3, v3, v28
	v_fma_f32 v24, v24, v48, -v30
	v_mul_f32_e32 v28, v33, v47
	v_fmac_f32_e32 v29, v25, v48
	v_add_f32_e32 v26, v20, v26
	v_mul_f32_e32 v20, v32, v47
	v_add_f32_e32 v24, v21, v24
	v_fma_f32 v21, v32, v46, -v28
	v_mul_f32_e32 v25, v33, v49
	v_add_f32_e32 v28, v22, v29
	v_fmac_f32_e32 v20, v33, v46
	v_mul_f32_e32 v29, v32, v49
	v_add_f32_e32 v30, v23, v21
	v_fma_f32 v21, v32, v48, -v25
	s_waitcnt lgkmcnt(0)
	v_mul_f32_e32 v22, v35, v17
	v_add_f32_e32 v25, v27, v20
	v_fmac_f32_e32 v29, v33, v48
	v_mul_f32_e32 v27, v34, v17
	v_add_f32_e32 v14, v14, v21
	v_fma_f32 v31, v34, v16, -v22
	v_mul_f32_e32 v32, v35, v19
	ds_read2_b64 v[20:23], v9 offset0:96 offset1:112
	v_fmac_f32_e32 v27, v35, v16
	v_add_f32_e32 v29, v15, v29
	v_add_f32_e32 v3, v3, v31
	v_mul_f32_e32 v15, v34, v19
	v_fma_f32 v31, v34, v18, -v32
	v_add_f32_e32 v26, v26, v27
	v_mul_f32_e32 v27, v51, v17
	v_mul_f32_e32 v17, v50, v17
	v_fmac_f32_e32 v15, v35, v18
	v_add_f32_e32 v24, v24, v31
	v_mul_f32_e32 v31, v51, v19
	v_mul_f32_e32 v19, v50, v19
	v_fmac_f32_e32 v17, v51, v16
	v_add_f32_e32 v28, v28, v15
	v_fma_f32 v27, v50, v16, -v27
	v_fma_f32 v15, v50, v18, -v31
	v_fmac_f32_e32 v19, v51, v18
	v_add_f32_e32 v31, v25, v17
	s_waitcnt lgkmcnt(0)
	v_mul_f32_e32 v18, v37, v21
	v_add_f32_e32 v32, v14, v15
	ds_read2_b64 v[14:17], v9 offset0:128 offset1:144
	v_add_f32_e32 v30, v30, v27
	v_mul_f32_e32 v25, v36, v21
	v_fma_f32 v18, v36, v20, -v18
	v_mul_f32_e32 v27, v37, v23
	v_add_f32_e32 v29, v29, v19
	v_mul_f32_e32 v19, v36, v23
	v_fmac_f32_e32 v25, v37, v20
	v_add_f32_e32 v3, v3, v18
	v_mul_f32_e32 v18, v53, v21
	v_fma_f32 v27, v36, v22, -v27
	v_fmac_f32_e32 v19, v37, v22
	v_mul_f32_e32 v21, v52, v21
	v_mul_f32_e32 v35, v53, v23
	v_fma_f32 v18, v52, v20, -v18
	v_add_f32_e32 v33, v26, v25
	v_add_f32_e32 v34, v24, v27
	ds_read_b128 v[24:27], v10 offset:1056
	v_add_f32_e32 v36, v28, v19
	v_fmac_f32_e32 v21, v53, v20
	v_mul_f32_e32 v23, v52, v23
	v_fma_f32 v19, v52, v22, -v35
	v_add_f32_e32 v35, v30, v18
	s_waitcnt lgkmcnt(1)
	v_mul_f32_e32 v18, v39, v15
	v_add_f32_e32 v37, v31, v21
	v_fmac_f32_e32 v23, v53, v22
	v_add_f32_e32 v22, v32, v19
	v_mul_f32_e32 v32, v38, v15
	v_fma_f32 v28, v38, v14, -v18
	ds_read2_b64 v[18:21], v9 offset0:160 offset1:176
	v_mul_f32_e32 v30, v39, v17
	v_mul_f32_e32 v46, v38, v17
	v_fmac_f32_e32 v32, v39, v14
	v_add_f32_e32 v23, v29, v23
	v_add_f32_e32 v3, v3, v28
	v_fma_f32 v38, v38, v16, -v30
	ds_read_b128 v[28:31], v10 offset:1072
	s_waitcnt lgkmcnt(2)
	v_mul_f32_e32 v47, v25, v15
	v_add_f32_e32 v32, v33, v32
	v_mul_f32_e32 v15, v24, v15
	v_add_f32_e32 v33, v34, v38
	v_mul_f32_e32 v38, v25, v17
	v_fmac_f32_e32 v46, v39, v16
	v_fma_f32 v34, v24, v14, -v47
	v_fmac_f32_e32 v15, v25, v14
	v_mul_f32_e32 v39, v24, v17
	v_fma_f32 v14, v24, v16, -v38
	v_add_f32_e32 v36, v36, v46
	v_add_f32_e32 v34, v35, v34
	s_waitcnt lgkmcnt(1)
	v_mul_f32_e32 v17, v41, v19
	v_add_f32_e32 v24, v37, v15
	v_fmac_f32_e32 v39, v25, v16
	v_mul_f32_e32 v25, v40, v19
	v_add_f32_e32 v22, v22, v14
	v_fma_f32 v35, v40, v18, -v17
	ds_read2_b64 v[14:17], v9 offset0:192 offset1:208
	v_mul_f32_e32 v37, v41, v21
	v_fmac_f32_e32 v25, v41, v18
	v_add_f32_e32 v38, v23, v39
	v_add_f32_e32 v3, v3, v35
	v_mul_f32_e32 v23, v40, v21
	v_fma_f32 v35, v40, v20, -v37
	v_add_f32_e32 v32, v32, v25
	v_mul_f32_e32 v25, v27, v19
	v_mul_f32_e32 v19, v26, v19
	v_fmac_f32_e32 v23, v41, v20
	v_add_f32_e32 v33, v33, v35
	v_mul_f32_e32 v35, v27, v21
	v_fma_f32 v25, v26, v18, -v25
	v_fmac_f32_e32 v19, v27, v18
	v_add_f32_e32 v18, v36, v23
	v_mul_f32_e32 v21, v26, v21
	v_fma_f32 v23, v26, v20, -v35
	v_add_f32_e32 v26, v34, v25
	v_add_f32_e32 v19, v24, v19
	s_waitcnt lgkmcnt(0)
	v_mul_f32_e32 v34, v43, v15
	v_fmac_f32_e32 v21, v27, v20
	v_add_f32_e32 v20, v22, v23
	ds_read2_b64 v[22:25], v9 offset0:224 offset1:240
	v_mul_f32_e32 v27, v42, v15
	v_fma_f32 v34, v42, v14, -v34
	v_mul_f32_e32 v35, v43, v17
	v_mul_f32_e32 v36, v42, v17
	v_add_f32_e32 v21, v38, v21
	v_fmac_f32_e32 v27, v43, v14
	v_add_f32_e32 v3, v3, v34
	v_mul_f32_e32 v34, v29, v15
	v_fma_f32 v35, v42, v16, -v35
	v_fmac_f32_e32 v36, v43, v16
	v_add_f32_e32 v27, v32, v27
	v_mul_f32_e32 v15, v28, v15
	v_fma_f32 v32, v28, v14, -v34
	v_mul_f32_e32 v34, v29, v17
	v_add_f32_e32 v33, v33, v35
	v_add_f32_e32 v35, v18, v36
	v_fmac_f32_e32 v15, v29, v14
	v_add_f32_e32 v14, v26, v32
	v_mul_f32_e32 v17, v28, v17
	v_fma_f32 v18, v28, v16, -v34
	s_waitcnt lgkmcnt(0)
	v_mul_f32_e32 v26, v45, v23
	v_mul_f32_e32 v28, v44, v23
	v_add_f32_e32 v15, v19, v15
	v_fmac_f32_e32 v17, v29, v16
	v_add_f32_e32 v29, v20, v18
	v_fma_f32 v16, v44, v22, -v26
	v_mul_f32_e32 v18, v45, v25
	v_mul_f32_e32 v19, v44, v25
	v_add_f32_e32 v26, v21, v17
	v_mul_f32_e32 v17, v30, v23
	v_add_f32_e32 v20, v3, v16
	v_fma_f32 v3, v44, v24, -v18
	v_mul_f32_e32 v16, v31, v23
	v_mul_f32_e32 v23, v31, v25
	;; [unrolled: 1-line block ×3, first 2 shown]
	v_fmac_f32_e32 v28, v45, v22
	v_fmac_f32_e32 v19, v45, v24
	v_add_f32_e32 v18, v33, v3
	v_fma_f32 v3, v30, v22, -v16
	v_fmac_f32_e32 v17, v31, v22
	v_fma_f32 v22, v30, v24, -v23
	v_fmac_f32_e32 v25, v31, v24
	v_add_f32_e32 v21, v27, v28
	v_add_f32_e32 v19, v35, v19
	v_add_f32_e32 v16, v14, v3
	v_add_f32_e32 v17, v15, v17
	v_add_f32_e32 v14, v29, v22
	v_add_f32_e32 v15, v26, v25
	s_barrier
	buffer_gl0_inv
	s_cbranch_scc0 .LBB105_16
.LBB105_8:                              ; =>This Inner Loop Header: Depth=1
	v_add_nc_u32_e32 v3, s7, v11
	v_cmp_le_i32_e32 vcc_lo, s13, v3
	s_or_b32 s9, s1, vcc_lo
	s_and_saveexec_b32 s16, s9
	s_xor_b32 s9, exec_lo, s16
; %bb.9:                                ;   in Loop: Header=BB105_8 Depth=1
	ds_write_b32 v12, v2
; %bb.10:                               ;   in Loop: Header=BB105_8 Depth=1
	s_or_saveexec_b32 s9, s9
	v_mov_b32_e32 v3, 0
	s_xor_b32 exec_lo, exec_lo, s9
	s_cbranch_execz .LBB105_12
; %bb.11:                               ;   in Loop: Header=BB105_8 Depth=1
	global_load_dwordx2 v[22:23], v[4:5], off offset:-4
	s_waitcnt vmcnt(0)
	v_xor_b32_e32 v3, 0x80000000, v23
	ds_write_b32 v12, v22
.LBB105_12:                             ;   in Loop: Header=BB105_8 Depth=1
	s_or_b32 exec_lo, exec_lo, s9
	v_add_nc_u32_e32 v22, s7, v8
	ds_write_b32 v12, v3 offset:4
	v_cmp_le_i32_e32 vcc_lo, s13, v22
	s_or_b32 s9, vcc_lo, s0
	s_and_saveexec_b32 s16, s9
	s_xor_b32 s9, exec_lo, s16
; %bb.13:                               ;   in Loop: Header=BB105_8 Depth=1
	v_mov_b32_e32 v3, v2
	ds_write_b64 v13, v[2:3]
; %bb.14:                               ;   in Loop: Header=BB105_8 Depth=1
	s_andn2_saveexec_b32 s9, s9
	s_cbranch_execz .LBB105_7
; %bb.15:                               ;   in Loop: Header=BB105_8 Depth=1
	global_load_dwordx2 v[22:23], v[6:7], off
	s_waitcnt vmcnt(0)
	ds_write_b64 v13, v[22:23]
	s_branch .LBB105_7
.LBB105_16:
	s_clause 0x2
	s_load_dword s7, s[4:5], 0x50
	s_load_dwordx2 s[0:1], s[4:5], 0x58
	s_load_dwordx2 s[4:5], s[4:5], 0x48
	v_add_nc_u32_e32 v9, s6, v1
	v_add_nc_u32_e32 v0, s3, v0
	v_cmp_neq_f32_e64 s6, s10, 0
	v_cmp_le_i32_e32 vcc_lo, v9, v0
	s_waitcnt lgkmcnt(0)
	v_mad_i64_i32 v[1:2], null, v9, s7, 0
	s_mul_i32 s1, s1, s8
	s_mul_hi_u32 s3, s0, s8
	s_mul_i32 s8, s0, s8
	s_add_i32 s9, s3, s1
	v_cmp_gt_i32_e64 s0, s12, v0
	s_lshl_b64 s[8:9], s[8:9], 3
	v_lshlrev_b64 v[2:3], 3, v[1:2]
	s_add_u32 s3, s4, s8
	s_addc_u32 s4, s5, s9
	s_xor_b32 s2, s2, -1
	v_ashrrev_i32_e32 v1, 31, v0
	s_or_b32 s2, s6, s2
	v_add_co_u32 v6, s1, s3, v2
	v_add_co_ci_u32_e64 v7, null, s4, v3, s1
	v_cndmask_b32_e64 v8, 0, 1, s2
	s_and_b32 s5, vcc_lo, s0
	s_and_saveexec_b32 s1, s5
	s_cbranch_execz .LBB105_20
; %bb.17:
	v_lshlrev_b64 v[4:5], 3, v[0:1]
	v_mul_f32_e32 v2, s15, v21
	v_mul_f32_e32 v3, s14, v21
	v_fma_f32 v2, v20, s14, -v2
	v_add_co_u32 v4, vcc_lo, v6, v4
	v_fmac_f32_e32 v3, s15, v20
	v_add_co_ci_u32_e64 v5, null, v7, v5, vcc_lo
	s_andn2_b32 vcc_lo, exec_lo, s2
	s_cbranch_vccnz .LBB105_19
; %bb.18:
	global_load_dwordx2 v[10:11], v[4:5], off
	s_waitcnt vmcnt(0)
	v_mul_f32_e32 v12, s11, v11
	v_mul_f32_e32 v11, s10, v11
	v_fma_f32 v12, v10, s10, -v12
	v_fmac_f32_e32 v11, s11, v10
	v_add_f32_e32 v2, v2, v12
	v_add_f32_e32 v3, v3, v11
.LBB105_19:
	global_store_dwordx2 v[4:5], v[2:3], off
.LBB105_20:
	s_or_b32 exec_lo, exec_lo, s1
	v_add_nc_u32_e32 v2, 16, v0
	v_cmp_le_i32_e32 vcc_lo, v9, v2
	v_cmp_gt_i32_e64 s1, s12, v2
	v_ashrrev_i32_e32 v3, 31, v2
	s_and_b32 s2, vcc_lo, s1
	s_and_saveexec_b32 s5, s2
	s_cbranch_execz .LBB105_24
; %bb.21:
	v_lshlrev_b64 v[10:11], 3, v[2:3]
	v_mul_f32_e32 v4, s15, v19
	v_mul_f32_e32 v5, s14, v19
	v_cmp_ne_u32_e32 vcc_lo, 1, v8
	v_fma_f32 v4, v18, s14, -v4
	v_add_co_u32 v6, s2, v6, v10
	v_fmac_f32_e32 v5, s15, v18
	v_add_co_ci_u32_e64 v7, null, v7, v11, s2
	s_cbranch_vccnz .LBB105_23
; %bb.22:
	global_load_dwordx2 v[10:11], v[6:7], off
	s_waitcnt vmcnt(0)
	v_mul_f32_e32 v12, s11, v11
	v_mul_f32_e32 v11, s10, v11
	v_fma_f32 v12, v10, s10, -v12
	v_fmac_f32_e32 v11, s11, v10
	v_add_f32_e32 v4, v4, v12
	v_add_f32_e32 v5, v5, v11
.LBB105_23:
	global_store_dwordx2 v[6:7], v[4:5], off
.LBB105_24:
	s_or_b32 exec_lo, exec_lo, s5
	v_add_nc_u32_e32 v9, 16, v9
	v_mad_i64_i32 v[4:5], null, v9, s7, 0
	v_cmp_le_i32_e32 vcc_lo, v9, v0
	s_and_b32 s0, vcc_lo, s0
	v_lshlrev_b64 v[4:5], 3, v[4:5]
	v_add_co_u32 v6, s2, s3, v4
	v_add_co_ci_u32_e64 v7, null, s4, v5, s2
	s_and_saveexec_b32 s2, s0
	s_cbranch_execz .LBB105_28
; %bb.25:
	v_lshlrev_b64 v[0:1], 3, v[0:1]
	v_mul_f32_e32 v4, s15, v17
	v_mul_f32_e32 v5, s14, v17
	v_cmp_ne_u32_e32 vcc_lo, 1, v8
	v_fma_f32 v4, v16, s14, -v4
	v_add_co_u32 v0, s0, v6, v0
	v_fmac_f32_e32 v5, s15, v16
	v_add_co_ci_u32_e64 v1, null, v7, v1, s0
	s_cbranch_vccnz .LBB105_27
; %bb.26:
	global_load_dwordx2 v[10:11], v[0:1], off
	s_waitcnt vmcnt(0)
	v_mul_f32_e32 v12, s11, v11
	v_mul_f32_e32 v11, s10, v11
	v_fma_f32 v12, v10, s10, -v12
	v_fmac_f32_e32 v11, s11, v10
	v_add_f32_e32 v4, v4, v12
	v_add_f32_e32 v5, v5, v11
.LBB105_27:
	global_store_dwordx2 v[0:1], v[4:5], off
.LBB105_28:
	s_or_b32 exec_lo, exec_lo, s2
	v_cmp_le_i32_e32 vcc_lo, v9, v2
	s_and_b32 s0, vcc_lo, s1
	s_and_saveexec_b32 s1, s0
	s_cbranch_execz .LBB105_32
; %bb.29:
	v_lshlrev_b64 v[2:3], 3, v[2:3]
	v_mul_f32_e32 v0, s15, v15
	v_mul_f32_e32 v1, s14, v15
	v_cmp_ne_u32_e32 vcc_lo, 1, v8
	v_fma_f32 v0, v14, s14, -v0
	v_add_co_u32 v2, s0, v6, v2
	v_fmac_f32_e32 v1, s15, v14
	v_add_co_ci_u32_e64 v3, null, v7, v3, s0
	s_cbranch_vccnz .LBB105_31
; %bb.30:
	global_load_dwordx2 v[4:5], v[2:3], off
	s_waitcnt vmcnt(0)
	v_mul_f32_e32 v6, s11, v5
	v_mul_f32_e32 v5, s10, v5
	v_fma_f32 v6, v4, s10, -v6
	v_fmac_f32_e32 v5, s11, v4
	v_add_f32_e32 v0, v0, v6
	v_add_f32_e32 v1, v1, v5
.LBB105_31:
	global_store_dwordx2 v[2:3], v[0:1], off
.LBB105_32:
	s_endpgm
	.section	.rodata,"a",@progbits
	.p2align	6, 0x0
	.amdhsa_kernel _ZL29rocblas_internal_gemmt_kernelIiLi16ELi32ELi8ELc67ELc78ELc76ELb1ELb0E19rocblas_complex_numIfES1_PKS1_PS1_EviT_T9_T10_S5_lS7_S5_lS6_T11_S5_li
		.amdhsa_group_segment_fixed_size 4096
		.amdhsa_private_segment_fixed_size 0
		.amdhsa_kernarg_size 100
		.amdhsa_user_sgpr_count 6
		.amdhsa_user_sgpr_private_segment_buffer 1
		.amdhsa_user_sgpr_dispatch_ptr 0
		.amdhsa_user_sgpr_queue_ptr 0
		.amdhsa_user_sgpr_kernarg_segment_ptr 1
		.amdhsa_user_sgpr_dispatch_id 0
		.amdhsa_user_sgpr_flat_scratch_init 0
		.amdhsa_user_sgpr_private_segment_size 0
		.amdhsa_wavefront_size32 1
		.amdhsa_uses_dynamic_stack 0
		.amdhsa_system_sgpr_private_segment_wavefront_offset 0
		.amdhsa_system_sgpr_workgroup_id_x 1
		.amdhsa_system_sgpr_workgroup_id_y 1
		.amdhsa_system_sgpr_workgroup_id_z 1
		.amdhsa_system_sgpr_workgroup_info 0
		.amdhsa_system_vgpr_workitem_id 1
		.amdhsa_next_free_vgpr 59
		.amdhsa_next_free_sgpr 24
		.amdhsa_reserve_vcc 1
		.amdhsa_reserve_flat_scratch 0
		.amdhsa_float_round_mode_32 0
		.amdhsa_float_round_mode_16_64 0
		.amdhsa_float_denorm_mode_32 3
		.amdhsa_float_denorm_mode_16_64 3
		.amdhsa_dx10_clamp 1
		.amdhsa_ieee_mode 1
		.amdhsa_fp16_overflow 0
		.amdhsa_workgroup_processor_mode 1
		.amdhsa_memory_ordered 1
		.amdhsa_forward_progress 1
		.amdhsa_shared_vgpr_count 0
		.amdhsa_exception_fp_ieee_invalid_op 0
		.amdhsa_exception_fp_denorm_src 0
		.amdhsa_exception_fp_ieee_div_zero 0
		.amdhsa_exception_fp_ieee_overflow 0
		.amdhsa_exception_fp_ieee_underflow 0
		.amdhsa_exception_fp_ieee_inexact 0
		.amdhsa_exception_int_div_zero 0
	.end_amdhsa_kernel
	.section	.text._ZL29rocblas_internal_gemmt_kernelIiLi16ELi32ELi8ELc67ELc78ELc76ELb1ELb0E19rocblas_complex_numIfES1_PKS1_PS1_EviT_T9_T10_S5_lS7_S5_lS6_T11_S5_li,"axG",@progbits,_ZL29rocblas_internal_gemmt_kernelIiLi16ELi32ELi8ELc67ELc78ELc76ELb1ELb0E19rocblas_complex_numIfES1_PKS1_PS1_EviT_T9_T10_S5_lS7_S5_lS6_T11_S5_li,comdat
.Lfunc_end105:
	.size	_ZL29rocblas_internal_gemmt_kernelIiLi16ELi32ELi8ELc67ELc78ELc76ELb1ELb0E19rocblas_complex_numIfES1_PKS1_PS1_EviT_T9_T10_S5_lS7_S5_lS6_T11_S5_li, .Lfunc_end105-_ZL29rocblas_internal_gemmt_kernelIiLi16ELi32ELi8ELc67ELc78ELc76ELb1ELb0E19rocblas_complex_numIfES1_PKS1_PS1_EviT_T9_T10_S5_lS7_S5_lS6_T11_S5_li
                                        ; -- End function
	.set _ZL29rocblas_internal_gemmt_kernelIiLi16ELi32ELi8ELc67ELc78ELc76ELb1ELb0E19rocblas_complex_numIfES1_PKS1_PS1_EviT_T9_T10_S5_lS7_S5_lS6_T11_S5_li.num_vgpr, 59
	.set _ZL29rocblas_internal_gemmt_kernelIiLi16ELi32ELi8ELc67ELc78ELc76ELb1ELb0E19rocblas_complex_numIfES1_PKS1_PS1_EviT_T9_T10_S5_lS7_S5_lS6_T11_S5_li.num_agpr, 0
	.set _ZL29rocblas_internal_gemmt_kernelIiLi16ELi32ELi8ELc67ELc78ELc76ELb1ELb0E19rocblas_complex_numIfES1_PKS1_PS1_EviT_T9_T10_S5_lS7_S5_lS6_T11_S5_li.numbered_sgpr, 24
	.set _ZL29rocblas_internal_gemmt_kernelIiLi16ELi32ELi8ELc67ELc78ELc76ELb1ELb0E19rocblas_complex_numIfES1_PKS1_PS1_EviT_T9_T10_S5_lS7_S5_lS6_T11_S5_li.num_named_barrier, 0
	.set _ZL29rocblas_internal_gemmt_kernelIiLi16ELi32ELi8ELc67ELc78ELc76ELb1ELb0E19rocblas_complex_numIfES1_PKS1_PS1_EviT_T9_T10_S5_lS7_S5_lS6_T11_S5_li.private_seg_size, 0
	.set _ZL29rocblas_internal_gemmt_kernelIiLi16ELi32ELi8ELc67ELc78ELc76ELb1ELb0E19rocblas_complex_numIfES1_PKS1_PS1_EviT_T9_T10_S5_lS7_S5_lS6_T11_S5_li.uses_vcc, 1
	.set _ZL29rocblas_internal_gemmt_kernelIiLi16ELi32ELi8ELc67ELc78ELc76ELb1ELb0E19rocblas_complex_numIfES1_PKS1_PS1_EviT_T9_T10_S5_lS7_S5_lS6_T11_S5_li.uses_flat_scratch, 0
	.set _ZL29rocblas_internal_gemmt_kernelIiLi16ELi32ELi8ELc67ELc78ELc76ELb1ELb0E19rocblas_complex_numIfES1_PKS1_PS1_EviT_T9_T10_S5_lS7_S5_lS6_T11_S5_li.has_dyn_sized_stack, 0
	.set _ZL29rocblas_internal_gemmt_kernelIiLi16ELi32ELi8ELc67ELc78ELc76ELb1ELb0E19rocblas_complex_numIfES1_PKS1_PS1_EviT_T9_T10_S5_lS7_S5_lS6_T11_S5_li.has_recursion, 0
	.set _ZL29rocblas_internal_gemmt_kernelIiLi16ELi32ELi8ELc67ELc78ELc76ELb1ELb0E19rocblas_complex_numIfES1_PKS1_PS1_EviT_T9_T10_S5_lS7_S5_lS6_T11_S5_li.has_indirect_call, 0
	.section	.AMDGPU.csdata,"",@progbits
; Kernel info:
; codeLenInByte = 2532
; TotalNumSgprs: 26
; NumVgprs: 59
; ScratchSize: 0
; MemoryBound: 1
; FloatMode: 240
; IeeeMode: 1
; LDSByteSize: 4096 bytes/workgroup (compile time only)
; SGPRBlocks: 0
; VGPRBlocks: 7
; NumSGPRsForWavesPerEU: 26
; NumVGPRsForWavesPerEU: 59
; Occupancy: 16
; WaveLimiterHint : 0
; COMPUTE_PGM_RSRC2:SCRATCH_EN: 0
; COMPUTE_PGM_RSRC2:USER_SGPR: 6
; COMPUTE_PGM_RSRC2:TRAP_HANDLER: 0
; COMPUTE_PGM_RSRC2:TGID_X_EN: 1
; COMPUTE_PGM_RSRC2:TGID_Y_EN: 1
; COMPUTE_PGM_RSRC2:TGID_Z_EN: 1
; COMPUTE_PGM_RSRC2:TIDIG_COMP_CNT: 1
	.section	.text._ZL29rocblas_internal_gemmt_kernelIiLi16ELi32ELi8ELc67ELc84ELc76ELb1ELb0E19rocblas_complex_numIfES1_PKS1_PS1_EviT_T9_T10_S5_lS7_S5_lS6_T11_S5_li,"axG",@progbits,_ZL29rocblas_internal_gemmt_kernelIiLi16ELi32ELi8ELc67ELc84ELc76ELb1ELb0E19rocblas_complex_numIfES1_PKS1_PS1_EviT_T9_T10_S5_lS7_S5_lS6_T11_S5_li,comdat
	.globl	_ZL29rocblas_internal_gemmt_kernelIiLi16ELi32ELi8ELc67ELc84ELc76ELb1ELb0E19rocblas_complex_numIfES1_PKS1_PS1_EviT_T9_T10_S5_lS7_S5_lS6_T11_S5_li ; -- Begin function _ZL29rocblas_internal_gemmt_kernelIiLi16ELi32ELi8ELc67ELc84ELc76ELb1ELb0E19rocblas_complex_numIfES1_PKS1_PS1_EviT_T9_T10_S5_lS7_S5_lS6_T11_S5_li
	.p2align	8
	.type	_ZL29rocblas_internal_gemmt_kernelIiLi16ELi32ELi8ELc67ELc84ELc76ELb1ELb0E19rocblas_complex_numIfES1_PKS1_PS1_EviT_T9_T10_S5_lS7_S5_lS6_T11_S5_li,@function
_ZL29rocblas_internal_gemmt_kernelIiLi16ELi32ELi8ELc67ELc84ELc76ELb1ELb0E19rocblas_complex_numIfES1_PKS1_PS1_EviT_T9_T10_S5_lS7_S5_lS6_T11_S5_li: ; @_ZL29rocblas_internal_gemmt_kernelIiLi16ELi32ELi8ELc67ELc84ELc76ELb1ELb0E19rocblas_complex_numIfES1_PKS1_PS1_EviT_T9_T10_S5_lS7_S5_lS6_T11_S5_li
; %bb.0:
	s_clause 0x1
	s_load_dwordx2 s[10:11], s[4:5], 0x40
	s_load_dwordx4 s[12:15], s[4:5], 0x0
	s_waitcnt lgkmcnt(0)
	s_and_b32 s0, s11, 0x7fffffff
	v_cmp_eq_f32_e64 s1, s10, 1.0
	s_cmp_eq_u32 s0, 0
	s_mov_b32 s0, 0
	s_cselect_b32 s9, -1, 0
	s_and_b32 s1, s1, s9
	s_andn2_b32 vcc_lo, exec_lo, s1
	s_mov_b32 s1, -1
	s_cbranch_vccnz .LBB106_4
; %bb.1:
	s_cmp_lg_u32 s13, 0
	s_cbranch_scc0 .LBB106_3
; %bb.2:
	v_cmp_neq_f32_e64 s0, s14, 0
	v_cmp_neq_f32_e64 s1, s15, 0
	s_or_b32 s0, s0, s1
.LBB106_3:
	s_mov_b32 s1, s0
.LBB106_4:
	s_and_b32 vcc_lo, exec_lo, s1
	s_cbranch_vccz .LBB106_32
; %bb.5:
	v_cmp_eq_f32_e64 s0, s14, 0
	v_cmp_eq_f32_e64 s1, s15, 0
	s_lshl_b32 s6, s6, 5
	s_lshl_b32 s7, s7, 5
	v_mov_b32_e32 v20, 0
	v_mov_b32_e32 v21, 0
	s_and_b32 s0, s0, s1
	s_cmp_lt_i32 s13, 1
	v_mov_b32_e32 v18, 0
	s_cselect_b32 s1, -1, 0
	v_mov_b32_e32 v19, 0
	v_mov_b32_e32 v16, 0
	;; [unrolled: 1-line block ×5, first 2 shown]
	s_or_b32 s0, s0, s1
	s_mov_b32 s20, 0
	s_and_b32 vcc_lo, exec_lo, s0
	s_cbranch_vccnz .LBB106_16
; %bb.6:
	s_clause 0x1
	s_load_dword s0, s[4:5], 0x18
	s_load_dwordx2 s[22:23], s[4:5], 0x10
	v_lshl_add_u32 v2, v1, 4, v0
	s_clause 0x2
	s_load_dwordx4 s[16:19], s[4:5], 0x20
	s_load_dword s2, s[4:5], 0x30
	s_load_dwordx2 s[24:25], s[4:5], 0x38
	v_and_b32_e32 v8, 7, v0
	v_lshlrev_b32_e32 v9, 3, v0
	v_lshl_add_u32 v13, v1, 6, 0x800
	v_and_b32_e32 v4, 31, v2
	v_lshrrev_b32_e32 v5, 3, v2
	v_lshrrev_b32_e32 v10, 5, v2
	v_lshlrev_b32_e32 v2, 3, v8
	v_mov_b32_e32 v19, 0
	v_or_b32_e32 v6, s6, v4
	v_lshlrev_b32_e32 v7, 3, v4
	v_add_nc_u32_e32 v4, s6, v4
	v_add_nc_u32_e32 v3, s7, v5
	v_lshl_or_b32 v2, v5, 6, v2
	v_cmp_gt_i32_e32 vcc_lo, s12, v6
	v_lshl_or_b32 v11, v10, 8, v7
	v_lshlrev_b32_e32 v17, 3, v10
	s_waitcnt lgkmcnt(0)
	v_mad_i64_i32 v[5:6], null, s0, v4, 0
	s_mul_i32 s1, s17, s8
	s_mul_hi_u32 s17, s16, s8
	v_mad_i64_i32 v[14:15], null, s2, v8, 0
	s_add_i32 s17, s17, s1
	s_mul_i32 s16, s16, s8
	v_lshlrev_b64 v[5:6], 3, v[5:6]
	s_lshl_b64 s[16:17], s[16:17], 3
	v_ashrrev_i32_e32 v4, 31, v3
	v_cmp_gt_i32_e64 s0, s12, v3
	v_add_nc_u32_e32 v12, 0x800, v2
	v_mov_b32_e32 v2, 0
	v_add_co_u32 v7, s1, v5, s16
	v_add_co_ci_u32_e64 v16, null, s17, v6, s1
	s_mul_i32 s1, s25, s8
	s_mul_hi_u32 s16, s24, s8
	v_lshlrev_b64 v[5:6], 3, v[14:15]
	s_add_i32 s17, s16, s1
	s_mul_i32 s16, s24, s8
	v_add_co_u32 v7, s1, v7, v17
	s_lshl_b64 s[16:17], s[16:17], 3
	v_lshlrev_b64 v[3:4], 3, v[3:4]
	v_add_co_ci_u32_e64 v14, null, 0, v16, s1
	v_add_co_u32 v5, s1, s16, v5
	v_add_co_ci_u32_e64 v6, null, s17, v6, s1
	v_add_co_u32 v7, s1, s22, v7
	;; [unrolled: 2-line block ×5, first 2 shown]
	v_add_co_ci_u32_e64 v7, null, s19, v15, s1
	v_mov_b32_e32 v15, 0
	v_mov_b32_e32 v14, 0
	;; [unrolled: 1-line block ×7, first 2 shown]
	s_ashr_i32 s3, s2, 31
	s_xor_b32 s1, vcc_lo, -1
	s_lshl_b64 s[2:3], s[2:3], 6
	s_xor_b32 s0, s0, -1
	s_branch .LBB106_8
.LBB106_7:                              ;   in Loop: Header=BB106_8 Depth=1
	s_or_b32 exec_lo, exec_lo, s16
	s_waitcnt lgkmcnt(0)
	s_barrier
	buffer_gl0_inv
	ds_read_b128 v[22:25], v13
	ds_read2_b64 v[26:29], v9 offset1:16
	ds_read_b128 v[30:33], v13 offset:1024
	ds_read_b128 v[34:37], v13 offset:16
	ds_read_b128 v[38:41], v13 offset:32
	ds_read_b128 v[42:45], v13 offset:48
	ds_read2_b64 v[46:49], v9 offset0:32 offset1:48
	ds_read_b128 v[50:53], v13 offset:1040
	v_add_co_u32 v4, vcc_lo, v4, 64
	v_add_co_ci_u32_e64 v5, null, 0, v5, vcc_lo
	v_add_co_u32 v6, vcc_lo, v6, s2
	v_add_co_ci_u32_e64 v7, null, s3, v7, vcc_lo
	s_add_i32 s20, s20, 8
	s_cmp_lt_i32 s20, s13
	s_waitcnt lgkmcnt(6)
	v_mul_f32_e32 v3, v23, v27
	v_mul_f32_e32 v54, v22, v27
	;; [unrolled: 1-line block ×4, first 2 shown]
	s_waitcnt lgkmcnt(5)
	v_mul_f32_e32 v57, v31, v27
	v_mul_f32_e32 v27, v30, v27
	;; [unrolled: 1-line block ×3, first 2 shown]
	v_fma_f32 v3, v22, v26, -v3
	v_fmac_f32_e32 v54, v23, v26
	v_fma_f32 v22, v22, v28, -v55
	v_fmac_f32_e32 v56, v23, v28
	;; [unrolled: 2-line block ×3, first 2 shown]
	v_mul_f32_e32 v29, v30, v29
	v_fma_f32 v26, v30, v28, -v58
	v_add_f32_e32 v3, v20, v3
	v_add_f32_e32 v20, v21, v54
	;; [unrolled: 1-line block ×6, first 2 shown]
	s_waitcnt lgkmcnt(1)
	v_mul_f32_e32 v30, v25, v47
	ds_read2_b64 v[16:19], v9 offset0:64 offset1:80
	v_fmac_f32_e32 v29, v31, v28
	v_add_f32_e32 v14, v14, v26
	v_mul_f32_e32 v26, v24, v47
	v_fma_f32 v28, v24, v46, -v30
	v_mul_f32_e32 v30, v25, v49
	v_add_f32_e32 v15, v15, v29
	v_mul_f32_e32 v29, v24, v49
	v_fmac_f32_e32 v26, v25, v46
	v_add_f32_e32 v3, v3, v28
	v_fma_f32 v24, v24, v48, -v30
	v_mul_f32_e32 v28, v33, v47
	v_fmac_f32_e32 v29, v25, v48
	v_add_f32_e32 v26, v20, v26
	v_mul_f32_e32 v20, v32, v47
	v_add_f32_e32 v24, v21, v24
	v_fma_f32 v21, v32, v46, -v28
	v_mul_f32_e32 v25, v33, v49
	v_add_f32_e32 v28, v22, v29
	v_fmac_f32_e32 v20, v33, v46
	v_mul_f32_e32 v29, v32, v49
	v_add_f32_e32 v30, v23, v21
	v_fma_f32 v21, v32, v48, -v25
	s_waitcnt lgkmcnt(0)
	v_mul_f32_e32 v22, v35, v17
	v_add_f32_e32 v25, v27, v20
	v_fmac_f32_e32 v29, v33, v48
	v_mul_f32_e32 v27, v34, v17
	v_add_f32_e32 v14, v14, v21
	v_fma_f32 v31, v34, v16, -v22
	v_mul_f32_e32 v32, v35, v19
	ds_read2_b64 v[20:23], v9 offset0:96 offset1:112
	v_fmac_f32_e32 v27, v35, v16
	v_add_f32_e32 v29, v15, v29
	v_add_f32_e32 v3, v3, v31
	v_mul_f32_e32 v15, v34, v19
	v_fma_f32 v31, v34, v18, -v32
	v_add_f32_e32 v26, v26, v27
	v_mul_f32_e32 v27, v51, v17
	v_mul_f32_e32 v17, v50, v17
	v_fmac_f32_e32 v15, v35, v18
	v_add_f32_e32 v24, v24, v31
	v_mul_f32_e32 v31, v51, v19
	v_mul_f32_e32 v19, v50, v19
	v_fmac_f32_e32 v17, v51, v16
	v_add_f32_e32 v28, v28, v15
	v_fma_f32 v27, v50, v16, -v27
	v_fma_f32 v15, v50, v18, -v31
	v_fmac_f32_e32 v19, v51, v18
	v_add_f32_e32 v31, v25, v17
	s_waitcnt lgkmcnt(0)
	v_mul_f32_e32 v18, v37, v21
	v_add_f32_e32 v32, v14, v15
	ds_read2_b64 v[14:17], v9 offset0:128 offset1:144
	v_add_f32_e32 v30, v30, v27
	v_mul_f32_e32 v25, v36, v21
	v_fma_f32 v18, v36, v20, -v18
	v_mul_f32_e32 v27, v37, v23
	v_add_f32_e32 v29, v29, v19
	v_mul_f32_e32 v19, v36, v23
	v_fmac_f32_e32 v25, v37, v20
	v_add_f32_e32 v3, v3, v18
	v_mul_f32_e32 v18, v53, v21
	v_fma_f32 v27, v36, v22, -v27
	v_fmac_f32_e32 v19, v37, v22
	v_mul_f32_e32 v21, v52, v21
	v_mul_f32_e32 v35, v53, v23
	v_fma_f32 v18, v52, v20, -v18
	v_add_f32_e32 v33, v26, v25
	v_add_f32_e32 v34, v24, v27
	ds_read_b128 v[24:27], v13 offset:1056
	v_add_f32_e32 v36, v28, v19
	v_fmac_f32_e32 v21, v53, v20
	v_mul_f32_e32 v23, v52, v23
	v_fma_f32 v19, v52, v22, -v35
	v_add_f32_e32 v35, v30, v18
	s_waitcnt lgkmcnt(1)
	v_mul_f32_e32 v18, v39, v15
	v_add_f32_e32 v37, v31, v21
	v_fmac_f32_e32 v23, v53, v22
	v_add_f32_e32 v22, v32, v19
	v_mul_f32_e32 v32, v38, v15
	v_fma_f32 v28, v38, v14, -v18
	ds_read2_b64 v[18:21], v9 offset0:160 offset1:176
	v_mul_f32_e32 v30, v39, v17
	v_mul_f32_e32 v46, v38, v17
	v_fmac_f32_e32 v32, v39, v14
	v_add_f32_e32 v23, v29, v23
	v_add_f32_e32 v3, v3, v28
	v_fma_f32 v38, v38, v16, -v30
	ds_read_b128 v[28:31], v13 offset:1072
	s_waitcnt lgkmcnt(2)
	v_mul_f32_e32 v47, v25, v15
	v_add_f32_e32 v32, v33, v32
	v_mul_f32_e32 v15, v24, v15
	v_add_f32_e32 v33, v34, v38
	v_mul_f32_e32 v38, v25, v17
	v_fmac_f32_e32 v46, v39, v16
	v_fma_f32 v34, v24, v14, -v47
	v_fmac_f32_e32 v15, v25, v14
	v_mul_f32_e32 v39, v24, v17
	v_fma_f32 v14, v24, v16, -v38
	v_add_f32_e32 v36, v36, v46
	v_add_f32_e32 v34, v35, v34
	s_waitcnt lgkmcnt(1)
	v_mul_f32_e32 v17, v41, v19
	v_add_f32_e32 v24, v37, v15
	v_fmac_f32_e32 v39, v25, v16
	v_mul_f32_e32 v25, v40, v19
	v_add_f32_e32 v22, v22, v14
	v_fma_f32 v35, v40, v18, -v17
	ds_read2_b64 v[14:17], v9 offset0:192 offset1:208
	v_mul_f32_e32 v37, v41, v21
	v_fmac_f32_e32 v25, v41, v18
	v_add_f32_e32 v38, v23, v39
	v_add_f32_e32 v3, v3, v35
	v_mul_f32_e32 v23, v40, v21
	v_fma_f32 v35, v40, v20, -v37
	v_add_f32_e32 v32, v32, v25
	v_mul_f32_e32 v25, v27, v19
	v_mul_f32_e32 v19, v26, v19
	v_fmac_f32_e32 v23, v41, v20
	v_add_f32_e32 v33, v33, v35
	v_mul_f32_e32 v35, v27, v21
	v_fma_f32 v25, v26, v18, -v25
	v_fmac_f32_e32 v19, v27, v18
	v_add_f32_e32 v18, v36, v23
	v_mul_f32_e32 v21, v26, v21
	v_fma_f32 v23, v26, v20, -v35
	v_add_f32_e32 v26, v34, v25
	v_add_f32_e32 v19, v24, v19
	s_waitcnt lgkmcnt(0)
	v_mul_f32_e32 v34, v43, v15
	v_fmac_f32_e32 v21, v27, v20
	v_add_f32_e32 v20, v22, v23
	ds_read2_b64 v[22:25], v9 offset0:224 offset1:240
	v_mul_f32_e32 v27, v42, v15
	v_fma_f32 v34, v42, v14, -v34
	v_mul_f32_e32 v35, v43, v17
	v_mul_f32_e32 v36, v42, v17
	v_add_f32_e32 v21, v38, v21
	v_fmac_f32_e32 v27, v43, v14
	v_add_f32_e32 v3, v3, v34
	v_mul_f32_e32 v34, v29, v15
	v_fma_f32 v35, v42, v16, -v35
	v_fmac_f32_e32 v36, v43, v16
	v_add_f32_e32 v27, v32, v27
	v_mul_f32_e32 v15, v28, v15
	v_fma_f32 v32, v28, v14, -v34
	v_mul_f32_e32 v34, v29, v17
	v_add_f32_e32 v33, v33, v35
	v_add_f32_e32 v35, v18, v36
	v_fmac_f32_e32 v15, v29, v14
	v_add_f32_e32 v14, v26, v32
	v_mul_f32_e32 v17, v28, v17
	v_fma_f32 v18, v28, v16, -v34
	s_waitcnt lgkmcnt(0)
	v_mul_f32_e32 v26, v45, v23
	v_mul_f32_e32 v28, v44, v23
	v_add_f32_e32 v15, v19, v15
	v_fmac_f32_e32 v17, v29, v16
	v_add_f32_e32 v29, v20, v18
	v_fma_f32 v16, v44, v22, -v26
	v_mul_f32_e32 v18, v45, v25
	v_mul_f32_e32 v19, v44, v25
	v_add_f32_e32 v26, v21, v17
	v_mul_f32_e32 v17, v30, v23
	v_add_f32_e32 v20, v3, v16
	v_fma_f32 v3, v44, v24, -v18
	v_mul_f32_e32 v16, v31, v23
	v_mul_f32_e32 v23, v31, v25
	;; [unrolled: 1-line block ×3, first 2 shown]
	v_fmac_f32_e32 v28, v45, v22
	v_fmac_f32_e32 v19, v45, v24
	v_add_f32_e32 v18, v33, v3
	v_fma_f32 v3, v30, v22, -v16
	v_fmac_f32_e32 v17, v31, v22
	v_fma_f32 v22, v30, v24, -v23
	v_fmac_f32_e32 v25, v31, v24
	v_add_f32_e32 v21, v27, v28
	v_add_f32_e32 v19, v35, v19
	;; [unrolled: 1-line block ×6, first 2 shown]
	s_barrier
	buffer_gl0_inv
	s_cbranch_scc0 .LBB106_16
.LBB106_8:                              ; =>This Inner Loop Header: Depth=1
	v_add_nc_u32_e32 v3, s20, v10
	v_cmp_le_i32_e32 vcc_lo, s13, v3
	s_or_b32 s16, s1, vcc_lo
	s_and_saveexec_b32 s17, s16
	s_xor_b32 s16, exec_lo, s17
; %bb.9:                                ;   in Loop: Header=BB106_8 Depth=1
	ds_write_b32 v11, v2
; %bb.10:                               ;   in Loop: Header=BB106_8 Depth=1
	s_or_saveexec_b32 s16, s16
	v_mov_b32_e32 v3, 0
	s_xor_b32 exec_lo, exec_lo, s16
	s_cbranch_execz .LBB106_12
; %bb.11:                               ;   in Loop: Header=BB106_8 Depth=1
	global_load_dwordx2 v[22:23], v[4:5], off offset:-4
	s_waitcnt vmcnt(0)
	v_xor_b32_e32 v3, 0x80000000, v23
	ds_write_b32 v11, v22
.LBB106_12:                             ;   in Loop: Header=BB106_8 Depth=1
	s_or_b32 exec_lo, exec_lo, s16
	v_add_nc_u32_e32 v22, s20, v8
	ds_write_b32 v11, v3 offset:4
	v_cmp_le_i32_e32 vcc_lo, s13, v22
	s_or_b32 s16, vcc_lo, s0
	s_and_saveexec_b32 s17, s16
	s_xor_b32 s16, exec_lo, s17
; %bb.13:                               ;   in Loop: Header=BB106_8 Depth=1
	v_mov_b32_e32 v3, v2
	ds_write_b64 v12, v[2:3]
; %bb.14:                               ;   in Loop: Header=BB106_8 Depth=1
	s_andn2_saveexec_b32 s16, s16
	s_cbranch_execz .LBB106_7
; %bb.15:                               ;   in Loop: Header=BB106_8 Depth=1
	global_load_dwordx2 v[22:23], v[6:7], off
	s_waitcnt vmcnt(0)
	ds_write_b64 v12, v[22:23]
	s_branch .LBB106_7
.LBB106_16:
	s_clause 0x2
	s_load_dword s3, s[4:5], 0x50
	s_load_dwordx2 s[0:1], s[4:5], 0x58
	s_load_dwordx2 s[4:5], s[4:5], 0x48
	v_add_nc_u32_e32 v9, s7, v1
	v_add_nc_u32_e32 v0, s6, v0
	v_cmp_neq_f32_e64 s2, s10, 0
	v_cmp_le_i32_e32 vcc_lo, v9, v0
	s_waitcnt lgkmcnt(0)
	v_mad_i64_i32 v[1:2], null, v9, s3, 0
	s_mul_i32 s1, s1, s8
	s_mul_hi_u32 s7, s0, s8
	s_mul_i32 s6, s0, s8
	s_add_i32 s7, s7, s1
	v_cmp_gt_i32_e64 s0, s12, v0
	s_lshl_b64 s[6:7], s[6:7], 3
	v_lshlrev_b64 v[2:3], 3, v[1:2]
	s_add_u32 s4, s4, s6
	s_addc_u32 s5, s5, s7
	s_xor_b32 s6, s9, -1
	v_ashrrev_i32_e32 v1, 31, v0
	s_or_b32 s2, s2, s6
	v_add_co_u32 v6, s1, s4, v2
	v_add_co_ci_u32_e64 v7, null, s5, v3, s1
	v_cndmask_b32_e64 v8, 0, 1, s2
	s_and_b32 s6, vcc_lo, s0
	s_and_saveexec_b32 s1, s6
	s_cbranch_execz .LBB106_20
; %bb.17:
	v_lshlrev_b64 v[4:5], 3, v[0:1]
	v_mul_f32_e32 v2, s15, v21
	v_mul_f32_e32 v3, s14, v21
	v_fma_f32 v2, v20, s14, -v2
	v_add_co_u32 v4, vcc_lo, v6, v4
	v_fmac_f32_e32 v3, s15, v20
	v_add_co_ci_u32_e64 v5, null, v7, v5, vcc_lo
	s_andn2_b32 vcc_lo, exec_lo, s2
	s_cbranch_vccnz .LBB106_19
; %bb.18:
	global_load_dwordx2 v[10:11], v[4:5], off
	s_waitcnt vmcnt(0)
	v_mul_f32_e32 v12, s11, v11
	v_mul_f32_e32 v11, s10, v11
	v_fma_f32 v12, v10, s10, -v12
	v_fmac_f32_e32 v11, s11, v10
	v_add_f32_e32 v2, v2, v12
	v_add_f32_e32 v3, v3, v11
.LBB106_19:
	global_store_dwordx2 v[4:5], v[2:3], off
.LBB106_20:
	s_or_b32 exec_lo, exec_lo, s1
	v_add_nc_u32_e32 v2, 16, v0
	v_cmp_le_i32_e32 vcc_lo, v9, v2
	v_cmp_gt_i32_e64 s1, s12, v2
	v_ashrrev_i32_e32 v3, 31, v2
	s_and_b32 s2, vcc_lo, s1
	s_and_saveexec_b32 s6, s2
	s_cbranch_execz .LBB106_24
; %bb.21:
	v_lshlrev_b64 v[10:11], 3, v[2:3]
	v_mul_f32_e32 v4, s15, v19
	v_mul_f32_e32 v5, s14, v19
	v_cmp_ne_u32_e32 vcc_lo, 1, v8
	v_fma_f32 v4, v18, s14, -v4
	v_add_co_u32 v6, s2, v6, v10
	v_fmac_f32_e32 v5, s15, v18
	v_add_co_ci_u32_e64 v7, null, v7, v11, s2
	s_cbranch_vccnz .LBB106_23
; %bb.22:
	global_load_dwordx2 v[10:11], v[6:7], off
	s_waitcnt vmcnt(0)
	v_mul_f32_e32 v12, s11, v11
	v_mul_f32_e32 v11, s10, v11
	v_fma_f32 v12, v10, s10, -v12
	v_fmac_f32_e32 v11, s11, v10
	v_add_f32_e32 v4, v4, v12
	v_add_f32_e32 v5, v5, v11
.LBB106_23:
	global_store_dwordx2 v[6:7], v[4:5], off
.LBB106_24:
	s_or_b32 exec_lo, exec_lo, s6
	v_add_nc_u32_e32 v9, 16, v9
	v_mad_i64_i32 v[4:5], null, v9, s3, 0
	v_cmp_le_i32_e32 vcc_lo, v9, v0
	s_and_b32 s0, vcc_lo, s0
	v_lshlrev_b64 v[4:5], 3, v[4:5]
	v_add_co_u32 v6, s2, s4, v4
	v_add_co_ci_u32_e64 v7, null, s5, v5, s2
	s_and_saveexec_b32 s2, s0
	s_cbranch_execz .LBB106_28
; %bb.25:
	v_lshlrev_b64 v[0:1], 3, v[0:1]
	v_mul_f32_e32 v4, s15, v17
	v_mul_f32_e32 v5, s14, v17
	v_cmp_ne_u32_e32 vcc_lo, 1, v8
	v_fma_f32 v4, v16, s14, -v4
	v_add_co_u32 v0, s0, v6, v0
	v_fmac_f32_e32 v5, s15, v16
	v_add_co_ci_u32_e64 v1, null, v7, v1, s0
	s_cbranch_vccnz .LBB106_27
; %bb.26:
	global_load_dwordx2 v[10:11], v[0:1], off
	s_waitcnt vmcnt(0)
	v_mul_f32_e32 v12, s11, v11
	v_mul_f32_e32 v11, s10, v11
	v_fma_f32 v12, v10, s10, -v12
	v_fmac_f32_e32 v11, s11, v10
	v_add_f32_e32 v4, v4, v12
	v_add_f32_e32 v5, v5, v11
.LBB106_27:
	global_store_dwordx2 v[0:1], v[4:5], off
.LBB106_28:
	s_or_b32 exec_lo, exec_lo, s2
	v_cmp_le_i32_e32 vcc_lo, v9, v2
	s_and_b32 s0, vcc_lo, s1
	s_and_saveexec_b32 s1, s0
	s_cbranch_execz .LBB106_32
; %bb.29:
	v_lshlrev_b64 v[2:3], 3, v[2:3]
	v_mul_f32_e32 v0, s15, v15
	v_mul_f32_e32 v1, s14, v15
	v_cmp_ne_u32_e32 vcc_lo, 1, v8
	v_fma_f32 v0, v14, s14, -v0
	v_add_co_u32 v2, s0, v6, v2
	v_fmac_f32_e32 v1, s15, v14
	v_add_co_ci_u32_e64 v3, null, v7, v3, s0
	s_cbranch_vccnz .LBB106_31
; %bb.30:
	global_load_dwordx2 v[4:5], v[2:3], off
	s_waitcnt vmcnt(0)
	v_mul_f32_e32 v6, s11, v5
	v_mul_f32_e32 v5, s10, v5
	v_fma_f32 v6, v4, s10, -v6
	v_fmac_f32_e32 v5, s11, v4
	v_add_f32_e32 v0, v0, v6
	v_add_f32_e32 v1, v1, v5
.LBB106_31:
	global_store_dwordx2 v[2:3], v[0:1], off
.LBB106_32:
	s_endpgm
	.section	.rodata,"a",@progbits
	.p2align	6, 0x0
	.amdhsa_kernel _ZL29rocblas_internal_gemmt_kernelIiLi16ELi32ELi8ELc67ELc84ELc76ELb1ELb0E19rocblas_complex_numIfES1_PKS1_PS1_EviT_T9_T10_S5_lS7_S5_lS6_T11_S5_li
		.amdhsa_group_segment_fixed_size 4096
		.amdhsa_private_segment_fixed_size 0
		.amdhsa_kernarg_size 100
		.amdhsa_user_sgpr_count 6
		.amdhsa_user_sgpr_private_segment_buffer 1
		.amdhsa_user_sgpr_dispatch_ptr 0
		.amdhsa_user_sgpr_queue_ptr 0
		.amdhsa_user_sgpr_kernarg_segment_ptr 1
		.amdhsa_user_sgpr_dispatch_id 0
		.amdhsa_user_sgpr_flat_scratch_init 0
		.amdhsa_user_sgpr_private_segment_size 0
		.amdhsa_wavefront_size32 1
		.amdhsa_uses_dynamic_stack 0
		.amdhsa_system_sgpr_private_segment_wavefront_offset 0
		.amdhsa_system_sgpr_workgroup_id_x 1
		.amdhsa_system_sgpr_workgroup_id_y 1
		.amdhsa_system_sgpr_workgroup_id_z 1
		.amdhsa_system_sgpr_workgroup_info 0
		.amdhsa_system_vgpr_workitem_id 1
		.amdhsa_next_free_vgpr 59
		.amdhsa_next_free_sgpr 26
		.amdhsa_reserve_vcc 1
		.amdhsa_reserve_flat_scratch 0
		.amdhsa_float_round_mode_32 0
		.amdhsa_float_round_mode_16_64 0
		.amdhsa_float_denorm_mode_32 3
		.amdhsa_float_denorm_mode_16_64 3
		.amdhsa_dx10_clamp 1
		.amdhsa_ieee_mode 1
		.amdhsa_fp16_overflow 0
		.amdhsa_workgroup_processor_mode 1
		.amdhsa_memory_ordered 1
		.amdhsa_forward_progress 1
		.amdhsa_shared_vgpr_count 0
		.amdhsa_exception_fp_ieee_invalid_op 0
		.amdhsa_exception_fp_denorm_src 0
		.amdhsa_exception_fp_ieee_div_zero 0
		.amdhsa_exception_fp_ieee_overflow 0
		.amdhsa_exception_fp_ieee_underflow 0
		.amdhsa_exception_fp_ieee_inexact 0
		.amdhsa_exception_int_div_zero 0
	.end_amdhsa_kernel
	.section	.text._ZL29rocblas_internal_gemmt_kernelIiLi16ELi32ELi8ELc67ELc84ELc76ELb1ELb0E19rocblas_complex_numIfES1_PKS1_PS1_EviT_T9_T10_S5_lS7_S5_lS6_T11_S5_li,"axG",@progbits,_ZL29rocblas_internal_gemmt_kernelIiLi16ELi32ELi8ELc67ELc84ELc76ELb1ELb0E19rocblas_complex_numIfES1_PKS1_PS1_EviT_T9_T10_S5_lS7_S5_lS6_T11_S5_li,comdat
.Lfunc_end106:
	.size	_ZL29rocblas_internal_gemmt_kernelIiLi16ELi32ELi8ELc67ELc84ELc76ELb1ELb0E19rocblas_complex_numIfES1_PKS1_PS1_EviT_T9_T10_S5_lS7_S5_lS6_T11_S5_li, .Lfunc_end106-_ZL29rocblas_internal_gemmt_kernelIiLi16ELi32ELi8ELc67ELc84ELc76ELb1ELb0E19rocblas_complex_numIfES1_PKS1_PS1_EviT_T9_T10_S5_lS7_S5_lS6_T11_S5_li
                                        ; -- End function
	.set _ZL29rocblas_internal_gemmt_kernelIiLi16ELi32ELi8ELc67ELc84ELc76ELb1ELb0E19rocblas_complex_numIfES1_PKS1_PS1_EviT_T9_T10_S5_lS7_S5_lS6_T11_S5_li.num_vgpr, 59
	.set _ZL29rocblas_internal_gemmt_kernelIiLi16ELi32ELi8ELc67ELc84ELc76ELb1ELb0E19rocblas_complex_numIfES1_PKS1_PS1_EviT_T9_T10_S5_lS7_S5_lS6_T11_S5_li.num_agpr, 0
	.set _ZL29rocblas_internal_gemmt_kernelIiLi16ELi32ELi8ELc67ELc84ELc76ELb1ELb0E19rocblas_complex_numIfES1_PKS1_PS1_EviT_T9_T10_S5_lS7_S5_lS6_T11_S5_li.numbered_sgpr, 26
	.set _ZL29rocblas_internal_gemmt_kernelIiLi16ELi32ELi8ELc67ELc84ELc76ELb1ELb0E19rocblas_complex_numIfES1_PKS1_PS1_EviT_T9_T10_S5_lS7_S5_lS6_T11_S5_li.num_named_barrier, 0
	.set _ZL29rocblas_internal_gemmt_kernelIiLi16ELi32ELi8ELc67ELc84ELc76ELb1ELb0E19rocblas_complex_numIfES1_PKS1_PS1_EviT_T9_T10_S5_lS7_S5_lS6_T11_S5_li.private_seg_size, 0
	.set _ZL29rocblas_internal_gemmt_kernelIiLi16ELi32ELi8ELc67ELc84ELc76ELb1ELb0E19rocblas_complex_numIfES1_PKS1_PS1_EviT_T9_T10_S5_lS7_S5_lS6_T11_S5_li.uses_vcc, 1
	.set _ZL29rocblas_internal_gemmt_kernelIiLi16ELi32ELi8ELc67ELc84ELc76ELb1ELb0E19rocblas_complex_numIfES1_PKS1_PS1_EviT_T9_T10_S5_lS7_S5_lS6_T11_S5_li.uses_flat_scratch, 0
	.set _ZL29rocblas_internal_gemmt_kernelIiLi16ELi32ELi8ELc67ELc84ELc76ELb1ELb0E19rocblas_complex_numIfES1_PKS1_PS1_EviT_T9_T10_S5_lS7_S5_lS6_T11_S5_li.has_dyn_sized_stack, 0
	.set _ZL29rocblas_internal_gemmt_kernelIiLi16ELi32ELi8ELc67ELc84ELc76ELb1ELb0E19rocblas_complex_numIfES1_PKS1_PS1_EviT_T9_T10_S5_lS7_S5_lS6_T11_S5_li.has_recursion, 0
	.set _ZL29rocblas_internal_gemmt_kernelIiLi16ELi32ELi8ELc67ELc84ELc76ELb1ELb0E19rocblas_complex_numIfES1_PKS1_PS1_EviT_T9_T10_S5_lS7_S5_lS6_T11_S5_li.has_indirect_call, 0
	.section	.AMDGPU.csdata,"",@progbits
; Kernel info:
; codeLenInByte = 2552
; TotalNumSgprs: 28
; NumVgprs: 59
; ScratchSize: 0
; MemoryBound: 1
; FloatMode: 240
; IeeeMode: 1
; LDSByteSize: 4096 bytes/workgroup (compile time only)
; SGPRBlocks: 0
; VGPRBlocks: 7
; NumSGPRsForWavesPerEU: 28
; NumVGPRsForWavesPerEU: 59
; Occupancy: 16
; WaveLimiterHint : 0
; COMPUTE_PGM_RSRC2:SCRATCH_EN: 0
; COMPUTE_PGM_RSRC2:USER_SGPR: 6
; COMPUTE_PGM_RSRC2:TRAP_HANDLER: 0
; COMPUTE_PGM_RSRC2:TGID_X_EN: 1
; COMPUTE_PGM_RSRC2:TGID_Y_EN: 1
; COMPUTE_PGM_RSRC2:TGID_Z_EN: 1
; COMPUTE_PGM_RSRC2:TIDIG_COMP_CNT: 1
	.section	.text._ZL29rocblas_internal_gemmt_kernelIiLi16ELi32ELi8ELc67ELc67ELc76ELb1ELb1E19rocblas_complex_numIfES1_PKS1_PS1_EviT_T9_T10_S5_lS7_S5_lS6_T11_S5_li,"axG",@progbits,_ZL29rocblas_internal_gemmt_kernelIiLi16ELi32ELi8ELc67ELc67ELc76ELb1ELb1E19rocblas_complex_numIfES1_PKS1_PS1_EviT_T9_T10_S5_lS7_S5_lS6_T11_S5_li,comdat
	.globl	_ZL29rocblas_internal_gemmt_kernelIiLi16ELi32ELi8ELc67ELc67ELc76ELb1ELb1E19rocblas_complex_numIfES1_PKS1_PS1_EviT_T9_T10_S5_lS7_S5_lS6_T11_S5_li ; -- Begin function _ZL29rocblas_internal_gemmt_kernelIiLi16ELi32ELi8ELc67ELc67ELc76ELb1ELb1E19rocblas_complex_numIfES1_PKS1_PS1_EviT_T9_T10_S5_lS7_S5_lS6_T11_S5_li
	.p2align	8
	.type	_ZL29rocblas_internal_gemmt_kernelIiLi16ELi32ELi8ELc67ELc67ELc76ELb1ELb1E19rocblas_complex_numIfES1_PKS1_PS1_EviT_T9_T10_S5_lS7_S5_lS6_T11_S5_li,@function
_ZL29rocblas_internal_gemmt_kernelIiLi16ELi32ELi8ELc67ELc67ELc76ELb1ELb1E19rocblas_complex_numIfES1_PKS1_PS1_EviT_T9_T10_S5_lS7_S5_lS6_T11_S5_li: ; @_ZL29rocblas_internal_gemmt_kernelIiLi16ELi32ELi8ELc67ELc67ELc76ELb1ELb1E19rocblas_complex_numIfES1_PKS1_PS1_EviT_T9_T10_S5_lS7_S5_lS6_T11_S5_li
; %bb.0:
	s_clause 0x1
	s_load_dwordx2 s[10:11], s[4:5], 0x40
	s_load_dwordx4 s[12:15], s[4:5], 0x0
	s_waitcnt lgkmcnt(0)
	s_and_b32 s0, s11, 0x7fffffff
	v_cmp_eq_f32_e64 s1, s10, 1.0
	s_cmp_eq_u32 s0, 0
	s_mov_b32 s0, 0
	s_cselect_b32 s9, -1, 0
	s_and_b32 s1, s1, s9
	s_andn2_b32 vcc_lo, exec_lo, s1
	s_mov_b32 s1, -1
	s_cbranch_vccnz .LBB107_4
; %bb.1:
	s_cmp_lg_u32 s13, 0
	s_cbranch_scc0 .LBB107_3
; %bb.2:
	v_cmp_neq_f32_e64 s0, s14, 0
	v_cmp_neq_f32_e64 s1, s15, 0
	s_or_b32 s0, s0, s1
.LBB107_3:
	s_mov_b32 s1, s0
.LBB107_4:
	s_and_b32 vcc_lo, exec_lo, s1
	s_cbranch_vccz .LBB107_32
; %bb.5:
	v_cmp_eq_f32_e64 s0, s14, 0
	v_cmp_eq_f32_e64 s1, s15, 0
	s_lshl_b32 s6, s6, 5
	s_lshl_b32 s7, s7, 5
	v_mov_b32_e32 v19, 0
	v_mov_b32_e32 v20, 0
	s_and_b32 s0, s0, s1
	s_cmp_lt_i32 s13, 1
	v_mov_b32_e32 v17, 0
	s_cselect_b32 s1, -1, 0
	v_mov_b32_e32 v18, 0
	v_mov_b32_e32 v15, 0
	;; [unrolled: 1-line block ×5, first 2 shown]
	s_or_b32 s0, s0, s1
	s_mov_b32 s20, 0
	s_and_b32 vcc_lo, exec_lo, s0
	s_cbranch_vccnz .LBB107_16
; %bb.6:
	s_clause 0x1
	s_load_dword s1, s[4:5], 0x18
	s_load_dwordx2 s[22:23], s[4:5], 0x10
	v_lshl_add_u32 v2, v1, 4, v0
	v_and_b32_e32 v6, 7, v0
	s_clause 0x2
	s_load_dword s2, s[4:5], 0x30
	s_load_dwordx4 s[16:19], s[4:5], 0x20
	s_load_dwordx2 s[24:25], s[4:5], 0x38
	v_and_b32_e32 v3, 31, v2
	v_lshrrev_b32_e32 v4, 3, v2
	v_lshlrev_b32_e32 v5, 3, v6
	v_lshrrev_b32_e32 v7, 5, v2
	v_lshlrev_b32_e32 v10, 3, v0
	v_or_b32_e32 v8, s6, v3
	v_lshlrev_b32_e32 v9, 3, v3
	v_add_nc_u32_e32 v2, s7, v4
	v_lshl_or_b32 v4, v4, 6, v5
	v_add_nc_u32_e32 v3, s6, v3
	v_cmp_gt_i32_e32 vcc_lo, s12, v8
	v_lshl_or_b32 v8, v7, 8, v9
	v_cmp_gt_i32_e64 s0, s12, v2
	v_add_nc_u32_e32 v9, 0x800, v4
	s_waitcnt lgkmcnt(0)
	v_mad_i64_i32 v[4:5], null, s1, v3, 0
	v_ashrrev_i32_e32 v3, 31, v2
	v_mad_i64_i32 v[12:13], null, s2, v6, 0
	s_mul_i32 s1, s17, s8
	s_mul_hi_u32 s17, s16, s8
	s_mul_i32 s16, s16, s8
	v_lshlrev_b64 v[4:5], 3, v[4:5]
	s_add_i32 s17, s17, s1
	s_mul_i32 s21, s25, s8
	s_lshl_b64 s[16:17], s[16:17], 3
	s_mul_hi_u32 s25, s24, s8
	v_lshlrev_b64 v[2:3], 3, v[2:3]
	v_add_co_u32 v14, s1, v4, s16
	v_add_co_ci_u32_e64 v15, null, s17, v5, s1
	v_lshlrev_b64 v[4:5], 3, v[12:13]
	s_add_i32 s17, s25, s21
	s_mul_i32 s16, s24, s8
	v_lshlrev_b32_e32 v13, 3, v7
	s_lshl_b64 s[16:17], s[16:17], 3
	v_lshl_add_u32 v11, v1, 6, 0x800
	v_add_co_u32 v4, s1, s16, v4
	v_add_co_ci_u32_e64 v5, null, s17, v5, s1
	v_mov_b32_e32 v12, 0
	v_add_co_u32 v2, s1, v4, v2
	v_add_co_ci_u32_e64 v3, null, v5, v3, s1
	v_add_co_u32 v4, s1, v14, v13
	v_add_co_ci_u32_e64 v5, null, 0, v15, s1
	;; [unrolled: 2-line block ×5, first 2 shown]
	v_mov_b32_e32 v14, 0
	v_mov_b32_e32 v13, 0
	;; [unrolled: 1-line block ×8, first 2 shown]
	s_ashr_i32 s3, s2, 31
	s_xor_b32 s1, vcc_lo, -1
	s_lshl_b64 s[2:3], s[2:3], 6
	s_xor_b32 s0, s0, -1
	s_branch .LBB107_8
.LBB107_7:                              ;   in Loop: Header=BB107_8 Depth=1
	s_or_b32 exec_lo, exec_lo, s16
	ds_write_b32 v9, v21 offset:4
	s_waitcnt lgkmcnt(0)
	s_barrier
	buffer_gl0_inv
	ds_read_b128 v[21:24], v11
	ds_read2_b64 v[25:28], v10 offset1:16
	ds_read_b128 v[29:32], v11 offset:1024
	ds_read_b128 v[33:36], v11 offset:16
	ds_read_b128 v[37:40], v11 offset:32
	ds_read_b128 v[41:44], v11 offset:48
	ds_read2_b64 v[45:48], v10 offset0:32 offset1:48
	ds_read_b128 v[49:52], v11 offset:1040
	v_add_co_u32 v2, vcc_lo, v2, 64
	v_add_co_ci_u32_e64 v3, null, 0, v3, vcc_lo
	v_add_co_u32 v4, vcc_lo, v4, s2
	v_add_co_ci_u32_e64 v5, null, s3, v5, vcc_lo
	s_add_i32 s20, s20, 8
	s_cmp_lt_i32 s20, s13
	s_waitcnt lgkmcnt(6)
	v_mul_f32_e32 v53, v22, v26
	v_mul_f32_e32 v54, v21, v26
	;; [unrolled: 1-line block ×4, first 2 shown]
	s_waitcnt lgkmcnt(5)
	v_mul_f32_e32 v57, v30, v26
	v_mul_f32_e32 v26, v29, v26
	;; [unrolled: 1-line block ×3, first 2 shown]
	v_fma_f32 v53, v21, v25, -v53
	v_fmac_f32_e32 v54, v22, v25
	v_fma_f32 v21, v21, v27, -v55
	v_fmac_f32_e32 v56, v22, v27
	;; [unrolled: 2-line block ×3, first 2 shown]
	v_mul_f32_e32 v28, v29, v28
	v_fma_f32 v25, v29, v27, -v58
	v_add_f32_e32 v19, v19, v53
	v_add_f32_e32 v21, v17, v21
	;; [unrolled: 1-line block ×5, first 2 shown]
	s_waitcnt lgkmcnt(1)
	v_mul_f32_e32 v53, v24, v46
	ds_read2_b64 v[15:18], v10 offset0:64 offset1:80
	v_fmac_f32_e32 v28, v30, v27
	v_add_f32_e32 v13, v13, v25
	v_mul_f32_e32 v25, v23, v46
	v_fma_f32 v27, v23, v45, -v53
	v_mul_f32_e32 v30, v24, v48
	v_add_f32_e32 v20, v20, v54
	v_add_f32_e32 v14, v14, v28
	v_fmac_f32_e32 v25, v24, v45
	v_mul_f32_e32 v28, v23, v48
	v_add_f32_e32 v27, v19, v27
	v_fma_f32 v19, v23, v47, -v30
	v_mul_f32_e32 v23, v32, v46
	v_add_f32_e32 v25, v20, v25
	v_fmac_f32_e32 v28, v24, v47
	v_mul_f32_e32 v20, v31, v46
	v_add_f32_e32 v24, v21, v19
	v_fma_f32 v19, v31, v45, -v23
	v_mul_f32_e32 v21, v32, v48
	v_add_f32_e32 v23, v29, v28
	v_fmac_f32_e32 v20, v32, v45
	v_mul_f32_e32 v28, v31, v48
	v_add_f32_e32 v29, v22, v19
	v_fma_f32 v19, v31, v47, -v21
	s_waitcnt lgkmcnt(0)
	v_mul_f32_e32 v21, v34, v16
	v_add_f32_e32 v26, v26, v20
	v_fmac_f32_e32 v28, v32, v47
	v_mul_f32_e32 v30, v33, v16
	v_add_f32_e32 v13, v13, v19
	v_fma_f32 v31, v33, v15, -v21
	v_mul_f32_e32 v32, v34, v18
	ds_read2_b64 v[19:22], v10 offset0:96 offset1:112
	v_fmac_f32_e32 v30, v34, v15
	v_add_f32_e32 v28, v14, v28
	v_add_f32_e32 v27, v27, v31
	v_mul_f32_e32 v14, v33, v18
	v_fma_f32 v31, v33, v17, -v32
	v_add_f32_e32 v25, v25, v30
	v_mul_f32_e32 v30, v50, v16
	v_mul_f32_e32 v16, v49, v16
	v_fmac_f32_e32 v14, v34, v17
	v_add_f32_e32 v24, v24, v31
	v_mul_f32_e32 v31, v50, v18
	v_fma_f32 v30, v49, v15, -v30
	v_fmac_f32_e32 v16, v50, v15
	v_mul_f32_e32 v18, v49, v18
	v_add_f32_e32 v32, v23, v14
	v_fma_f32 v14, v49, v17, -v31
	v_add_f32_e32 v29, v29, v30
	v_add_f32_e32 v30, v26, v16
	v_fmac_f32_e32 v18, v50, v17
	s_waitcnt lgkmcnt(0)
	v_mul_f32_e32 v17, v36, v20
	v_add_f32_e32 v31, v13, v14
	ds_read2_b64 v[13:16], v10 offset0:128 offset1:144
	v_mul_f32_e32 v23, v35, v20
	v_mul_f32_e32 v26, v36, v22
	v_fma_f32 v17, v35, v19, -v17
	v_add_f32_e32 v28, v28, v18
	v_mul_f32_e32 v18, v35, v22
	v_fmac_f32_e32 v23, v36, v19
	v_fma_f32 v26, v35, v21, -v26
	v_add_f32_e32 v27, v27, v17
	v_mul_f32_e32 v17, v52, v20
	v_fmac_f32_e32 v18, v36, v21
	v_mul_f32_e32 v20, v51, v20
	v_mul_f32_e32 v35, v52, v22
	v_add_f32_e32 v33, v25, v23
	v_fma_f32 v17, v51, v19, -v17
	v_add_f32_e32 v34, v24, v26
	ds_read_b128 v[23:26], v11 offset:1056
	v_add_f32_e32 v32, v32, v18
	v_fmac_f32_e32 v20, v52, v19
	v_mul_f32_e32 v22, v51, v22
	v_fma_f32 v18, v51, v21, -v35
	v_add_f32_e32 v35, v29, v17
	s_waitcnt lgkmcnt(1)
	v_mul_f32_e32 v17, v38, v14
	v_add_f32_e32 v36, v30, v20
	v_fmac_f32_e32 v22, v52, v21
	v_add_f32_e32 v21, v31, v18
	v_mul_f32_e32 v31, v37, v14
	v_fma_f32 v29, v37, v13, -v17
	ds_read2_b64 v[17:20], v10 offset0:160 offset1:176
	v_mul_f32_e32 v30, v38, v16
	v_mul_f32_e32 v46, v37, v16
	v_fmac_f32_e32 v31, v38, v13
	v_add_f32_e32 v22, v28, v22
	v_add_f32_e32 v45, v27, v29
	v_fma_f32 v37, v37, v15, -v30
	ds_read_b128 v[27:30], v11 offset:1072
	s_waitcnt lgkmcnt(2)
	v_mul_f32_e32 v47, v24, v14
	v_add_f32_e32 v31, v33, v31
	v_mul_f32_e32 v14, v23, v14
	v_add_f32_e32 v33, v34, v37
	v_mul_f32_e32 v37, v24, v16
	v_fmac_f32_e32 v46, v38, v15
	v_fma_f32 v34, v23, v13, -v47
	v_fmac_f32_e32 v14, v24, v13
	v_mul_f32_e32 v38, v23, v16
	v_fma_f32 v13, v23, v15, -v37
	v_add_f32_e32 v32, v32, v46
	v_add_f32_e32 v34, v35, v34
	s_waitcnt lgkmcnt(1)
	v_mul_f32_e32 v16, v40, v18
	v_add_f32_e32 v23, v36, v14
	v_fmac_f32_e32 v38, v24, v15
	v_mul_f32_e32 v24, v39, v18
	v_add_f32_e32 v21, v21, v13
	v_fma_f32 v35, v39, v17, -v16
	ds_read2_b64 v[13:16], v10 offset0:192 offset1:208
	v_mul_f32_e32 v36, v40, v20
	v_fmac_f32_e32 v24, v40, v17
	v_add_f32_e32 v37, v22, v38
	v_mul_f32_e32 v22, v39, v20
	v_add_f32_e32 v35, v45, v35
	v_fma_f32 v36, v39, v19, -v36
	v_add_f32_e32 v31, v31, v24
	v_mul_f32_e32 v24, v26, v18
	v_mul_f32_e32 v18, v25, v18
	v_fmac_f32_e32 v22, v40, v19
	v_add_f32_e32 v33, v33, v36
	v_mul_f32_e32 v36, v26, v20
	v_fma_f32 v24, v25, v17, -v24
	v_fmac_f32_e32 v18, v26, v17
	v_add_f32_e32 v17, v32, v22
	v_mul_f32_e32 v20, v25, v20
	v_fma_f32 v22, v25, v19, -v36
	v_add_f32_e32 v25, v34, v24
	v_add_f32_e32 v18, v23, v18
	s_waitcnt lgkmcnt(0)
	v_mul_f32_e32 v32, v42, v14
	v_fmac_f32_e32 v20, v26, v19
	v_add_f32_e32 v19, v21, v22
	ds_read2_b64 v[21:24], v10 offset0:224 offset1:240
	v_mul_f32_e32 v26, v41, v14
	v_fma_f32 v32, v41, v13, -v32
	v_mul_f32_e32 v34, v42, v16
	v_mul_f32_e32 v36, v41, v16
	v_add_f32_e32 v20, v37, v20
	v_fmac_f32_e32 v26, v42, v13
	v_add_f32_e32 v32, v35, v32
	v_mul_f32_e32 v35, v28, v14
	v_fma_f32 v34, v41, v15, -v34
	v_fmac_f32_e32 v36, v42, v15
	v_add_f32_e32 v26, v31, v26
	v_mul_f32_e32 v14, v27, v14
	v_fma_f32 v31, v27, v13, -v35
	v_add_f32_e32 v33, v33, v34
	v_mul_f32_e32 v34, v28, v16
	v_add_f32_e32 v35, v17, v36
	v_fmac_f32_e32 v14, v28, v13
	v_add_f32_e32 v13, v25, v31
	v_mul_f32_e32 v16, v27, v16
	v_fma_f32 v17, v27, v15, -v34
	s_waitcnt lgkmcnt(0)
	v_mul_f32_e32 v25, v44, v22
	v_mul_f32_e32 v27, v43, v22
	v_add_f32_e32 v14, v18, v14
	v_fmac_f32_e32 v16, v28, v15
	v_add_f32_e32 v28, v19, v17
	v_fma_f32 v15, v43, v21, -v25
	v_fmac_f32_e32 v27, v44, v21
	v_mul_f32_e32 v17, v44, v24
	v_mul_f32_e32 v18, v43, v24
	v_add_f32_e32 v25, v20, v16
	v_add_f32_e32 v19, v32, v15
	;; [unrolled: 1-line block ×3, first 2 shown]
	v_fma_f32 v15, v43, v23, -v17
	v_mul_f32_e32 v16, v30, v22
	v_mul_f32_e32 v22, v29, v22
	;; [unrolled: 1-line block ×4, first 2 shown]
	v_fmac_f32_e32 v18, v44, v23
	v_add_f32_e32 v17, v33, v15
	v_fma_f32 v15, v29, v21, -v16
	v_fmac_f32_e32 v22, v30, v21
	v_fma_f32 v21, v29, v23, -v26
	v_fmac_f32_e32 v24, v30, v23
	v_add_f32_e32 v18, v35, v18
	v_add_f32_e32 v15, v13, v15
	;; [unrolled: 1-line block ×5, first 2 shown]
	s_barrier
	buffer_gl0_inv
	s_cbranch_scc0 .LBB107_16
.LBB107_8:                              ; =>This Inner Loop Header: Depth=1
	v_add_nc_u32_e32 v21, s20, v7
	v_cmp_le_i32_e32 vcc_lo, s13, v21
	s_or_b32 s16, s1, vcc_lo
	s_and_saveexec_b32 s17, s16
	s_xor_b32 s16, exec_lo, s17
; %bb.9:                                ;   in Loop: Header=BB107_8 Depth=1
	ds_write_b32 v8, v12
; %bb.10:                               ;   in Loop: Header=BB107_8 Depth=1
	s_or_saveexec_b32 s16, s16
	v_mov_b32_e32 v21, 0
	s_xor_b32 exec_lo, exec_lo, s16
	s_cbranch_execz .LBB107_12
; %bb.11:                               ;   in Loop: Header=BB107_8 Depth=1
	global_load_dwordx2 v[22:23], v[2:3], off
	s_waitcnt vmcnt(0)
	v_xor_b32_e32 v21, 0x80000000, v23
	ds_write_b32 v8, v22
.LBB107_12:                             ;   in Loop: Header=BB107_8 Depth=1
	s_or_b32 exec_lo, exec_lo, s16
	v_add_nc_u32_e32 v22, s20, v6
	ds_write_b32 v8, v21 offset:4
	v_cmp_le_i32_e32 vcc_lo, s13, v22
	s_or_b32 s16, vcc_lo, s0
	s_and_saveexec_b32 s17, s16
	s_xor_b32 s16, exec_lo, s17
; %bb.13:                               ;   in Loop: Header=BB107_8 Depth=1
	ds_write_b32 v9, v12
; %bb.14:                               ;   in Loop: Header=BB107_8 Depth=1
	s_or_saveexec_b32 s16, s16
	v_mov_b32_e32 v21, 0
	s_xor_b32 exec_lo, exec_lo, s16
	s_cbranch_execz .LBB107_7
; %bb.15:                               ;   in Loop: Header=BB107_8 Depth=1
	global_load_dwordx2 v[22:23], v[4:5], off offset:-4
	s_waitcnt vmcnt(0)
	v_xor_b32_e32 v21, 0x80000000, v23
	ds_write_b32 v9, v22
	s_branch .LBB107_7
.LBB107_16:
	s_clause 0x2
	s_load_dword s3, s[4:5], 0x50
	s_load_dwordx2 s[0:1], s[4:5], 0x58
	s_load_dwordx2 s[4:5], s[4:5], 0x48
	v_add_nc_u32_e32 v9, s7, v1
	v_add_nc_u32_e32 v0, s6, v0
	v_cmp_neq_f32_e64 s2, s10, 0
	v_cmp_le_i32_e32 vcc_lo, v9, v0
	s_waitcnt lgkmcnt(0)
	v_mad_i64_i32 v[1:2], null, v9, s3, 0
	s_mul_i32 s1, s1, s8
	s_mul_hi_u32 s7, s0, s8
	s_mul_i32 s6, s0, s8
	s_add_i32 s7, s7, s1
	v_cmp_gt_i32_e64 s0, s12, v0
	s_lshl_b64 s[6:7], s[6:7], 3
	v_lshlrev_b64 v[2:3], 3, v[1:2]
	s_add_u32 s4, s4, s6
	s_addc_u32 s5, s5, s7
	s_xor_b32 s6, s9, -1
	v_ashrrev_i32_e32 v1, 31, v0
	s_or_b32 s2, s2, s6
	v_add_co_u32 v6, s1, s4, v2
	v_add_co_ci_u32_e64 v7, null, s5, v3, s1
	v_cndmask_b32_e64 v8, 0, 1, s2
	s_and_b32 s6, vcc_lo, s0
	s_and_saveexec_b32 s1, s6
	s_cbranch_execz .LBB107_20
; %bb.17:
	v_lshlrev_b64 v[4:5], 3, v[0:1]
	v_mul_f32_e32 v2, s15, v20
	v_mul_f32_e32 v3, s14, v20
	v_fma_f32 v2, v19, s14, -v2
	v_add_co_u32 v4, vcc_lo, v6, v4
	v_fmac_f32_e32 v3, s15, v19
	v_add_co_ci_u32_e64 v5, null, v7, v5, vcc_lo
	s_andn2_b32 vcc_lo, exec_lo, s2
	s_cbranch_vccnz .LBB107_19
; %bb.18:
	global_load_dwordx2 v[10:11], v[4:5], off
	s_waitcnt vmcnt(0)
	v_mul_f32_e32 v12, s11, v11
	v_mul_f32_e32 v11, s10, v11
	v_fma_f32 v12, v10, s10, -v12
	v_fmac_f32_e32 v11, s11, v10
	v_add_f32_e32 v2, v2, v12
	v_add_f32_e32 v3, v3, v11
.LBB107_19:
	global_store_dwordx2 v[4:5], v[2:3], off
.LBB107_20:
	s_or_b32 exec_lo, exec_lo, s1
	v_add_nc_u32_e32 v2, 16, v0
	v_cmp_le_i32_e32 vcc_lo, v9, v2
	v_cmp_gt_i32_e64 s1, s12, v2
	v_ashrrev_i32_e32 v3, 31, v2
	s_and_b32 s2, vcc_lo, s1
	s_and_saveexec_b32 s6, s2
	s_cbranch_execz .LBB107_24
; %bb.21:
	v_lshlrev_b64 v[10:11], 3, v[2:3]
	v_mul_f32_e32 v4, s15, v18
	v_mul_f32_e32 v5, s14, v18
	v_cmp_ne_u32_e32 vcc_lo, 1, v8
	v_fma_f32 v4, v17, s14, -v4
	v_add_co_u32 v6, s2, v6, v10
	v_fmac_f32_e32 v5, s15, v17
	v_add_co_ci_u32_e64 v7, null, v7, v11, s2
	s_cbranch_vccnz .LBB107_23
; %bb.22:
	global_load_dwordx2 v[10:11], v[6:7], off
	s_waitcnt vmcnt(0)
	v_mul_f32_e32 v12, s11, v11
	v_mul_f32_e32 v11, s10, v11
	v_fma_f32 v12, v10, s10, -v12
	v_fmac_f32_e32 v11, s11, v10
	v_add_f32_e32 v4, v4, v12
	v_add_f32_e32 v5, v5, v11
.LBB107_23:
	global_store_dwordx2 v[6:7], v[4:5], off
.LBB107_24:
	s_or_b32 exec_lo, exec_lo, s6
	v_add_nc_u32_e32 v9, 16, v9
	v_mad_i64_i32 v[4:5], null, v9, s3, 0
	v_cmp_le_i32_e32 vcc_lo, v9, v0
	s_and_b32 s0, vcc_lo, s0
	v_lshlrev_b64 v[4:5], 3, v[4:5]
	v_add_co_u32 v6, s2, s4, v4
	v_add_co_ci_u32_e64 v7, null, s5, v5, s2
	s_and_saveexec_b32 s2, s0
	s_cbranch_execz .LBB107_28
; %bb.25:
	v_lshlrev_b64 v[0:1], 3, v[0:1]
	v_mul_f32_e32 v4, s15, v16
	v_mul_f32_e32 v5, s14, v16
	v_cmp_ne_u32_e32 vcc_lo, 1, v8
	v_fma_f32 v4, v15, s14, -v4
	v_add_co_u32 v0, s0, v6, v0
	v_fmac_f32_e32 v5, s15, v15
	v_add_co_ci_u32_e64 v1, null, v7, v1, s0
	s_cbranch_vccnz .LBB107_27
; %bb.26:
	global_load_dwordx2 v[10:11], v[0:1], off
	s_waitcnt vmcnt(0)
	v_mul_f32_e32 v12, s11, v11
	v_mul_f32_e32 v11, s10, v11
	v_fma_f32 v12, v10, s10, -v12
	v_fmac_f32_e32 v11, s11, v10
	v_add_f32_e32 v4, v4, v12
	v_add_f32_e32 v5, v5, v11
.LBB107_27:
	global_store_dwordx2 v[0:1], v[4:5], off
.LBB107_28:
	s_or_b32 exec_lo, exec_lo, s2
	v_cmp_le_i32_e32 vcc_lo, v9, v2
	s_and_b32 s0, vcc_lo, s1
	s_and_saveexec_b32 s1, s0
	s_cbranch_execz .LBB107_32
; %bb.29:
	v_lshlrev_b64 v[2:3], 3, v[2:3]
	v_mul_f32_e32 v0, s15, v14
	v_mul_f32_e32 v1, s14, v14
	v_cmp_ne_u32_e32 vcc_lo, 1, v8
	v_fma_f32 v0, v13, s14, -v0
	v_add_co_u32 v2, s0, v6, v2
	v_fmac_f32_e32 v1, s15, v13
	v_add_co_ci_u32_e64 v3, null, v7, v3, s0
	s_cbranch_vccnz .LBB107_31
; %bb.30:
	global_load_dwordx2 v[4:5], v[2:3], off
	s_waitcnt vmcnt(0)
	v_mul_f32_e32 v6, s11, v5
	v_mul_f32_e32 v5, s10, v5
	v_fma_f32 v6, v4, s10, -v6
	v_fmac_f32_e32 v5, s11, v4
	v_add_f32_e32 v0, v0, v6
	v_add_f32_e32 v1, v1, v5
.LBB107_31:
	global_store_dwordx2 v[2:3], v[0:1], off
.LBB107_32:
	s_endpgm
	.section	.rodata,"a",@progbits
	.p2align	6, 0x0
	.amdhsa_kernel _ZL29rocblas_internal_gemmt_kernelIiLi16ELi32ELi8ELc67ELc67ELc76ELb1ELb1E19rocblas_complex_numIfES1_PKS1_PS1_EviT_T9_T10_S5_lS7_S5_lS6_T11_S5_li
		.amdhsa_group_segment_fixed_size 4096
		.amdhsa_private_segment_fixed_size 0
		.amdhsa_kernarg_size 100
		.amdhsa_user_sgpr_count 6
		.amdhsa_user_sgpr_private_segment_buffer 1
		.amdhsa_user_sgpr_dispatch_ptr 0
		.amdhsa_user_sgpr_queue_ptr 0
		.amdhsa_user_sgpr_kernarg_segment_ptr 1
		.amdhsa_user_sgpr_dispatch_id 0
		.amdhsa_user_sgpr_flat_scratch_init 0
		.amdhsa_user_sgpr_private_segment_size 0
		.amdhsa_wavefront_size32 1
		.amdhsa_uses_dynamic_stack 0
		.amdhsa_system_sgpr_private_segment_wavefront_offset 0
		.amdhsa_system_sgpr_workgroup_id_x 1
		.amdhsa_system_sgpr_workgroup_id_y 1
		.amdhsa_system_sgpr_workgroup_id_z 1
		.amdhsa_system_sgpr_workgroup_info 0
		.amdhsa_system_vgpr_workitem_id 1
		.amdhsa_next_free_vgpr 59
		.amdhsa_next_free_sgpr 26
		.amdhsa_reserve_vcc 1
		.amdhsa_reserve_flat_scratch 0
		.amdhsa_float_round_mode_32 0
		.amdhsa_float_round_mode_16_64 0
		.amdhsa_float_denorm_mode_32 3
		.amdhsa_float_denorm_mode_16_64 3
		.amdhsa_dx10_clamp 1
		.amdhsa_ieee_mode 1
		.amdhsa_fp16_overflow 0
		.amdhsa_workgroup_processor_mode 1
		.amdhsa_memory_ordered 1
		.amdhsa_forward_progress 1
		.amdhsa_shared_vgpr_count 0
		.amdhsa_exception_fp_ieee_invalid_op 0
		.amdhsa_exception_fp_denorm_src 0
		.amdhsa_exception_fp_ieee_div_zero 0
		.amdhsa_exception_fp_ieee_overflow 0
		.amdhsa_exception_fp_ieee_underflow 0
		.amdhsa_exception_fp_ieee_inexact 0
		.amdhsa_exception_int_div_zero 0
	.end_amdhsa_kernel
	.section	.text._ZL29rocblas_internal_gemmt_kernelIiLi16ELi32ELi8ELc67ELc67ELc76ELb1ELb1E19rocblas_complex_numIfES1_PKS1_PS1_EviT_T9_T10_S5_lS7_S5_lS6_T11_S5_li,"axG",@progbits,_ZL29rocblas_internal_gemmt_kernelIiLi16ELi32ELi8ELc67ELc67ELc76ELb1ELb1E19rocblas_complex_numIfES1_PKS1_PS1_EviT_T9_T10_S5_lS7_S5_lS6_T11_S5_li,comdat
.Lfunc_end107:
	.size	_ZL29rocblas_internal_gemmt_kernelIiLi16ELi32ELi8ELc67ELc67ELc76ELb1ELb1E19rocblas_complex_numIfES1_PKS1_PS1_EviT_T9_T10_S5_lS7_S5_lS6_T11_S5_li, .Lfunc_end107-_ZL29rocblas_internal_gemmt_kernelIiLi16ELi32ELi8ELc67ELc67ELc76ELb1ELb1E19rocblas_complex_numIfES1_PKS1_PS1_EviT_T9_T10_S5_lS7_S5_lS6_T11_S5_li
                                        ; -- End function
	.set _ZL29rocblas_internal_gemmt_kernelIiLi16ELi32ELi8ELc67ELc67ELc76ELb1ELb1E19rocblas_complex_numIfES1_PKS1_PS1_EviT_T9_T10_S5_lS7_S5_lS6_T11_S5_li.num_vgpr, 59
	.set _ZL29rocblas_internal_gemmt_kernelIiLi16ELi32ELi8ELc67ELc67ELc76ELb1ELb1E19rocblas_complex_numIfES1_PKS1_PS1_EviT_T9_T10_S5_lS7_S5_lS6_T11_S5_li.num_agpr, 0
	.set _ZL29rocblas_internal_gemmt_kernelIiLi16ELi32ELi8ELc67ELc67ELc76ELb1ELb1E19rocblas_complex_numIfES1_PKS1_PS1_EviT_T9_T10_S5_lS7_S5_lS6_T11_S5_li.numbered_sgpr, 26
	.set _ZL29rocblas_internal_gemmt_kernelIiLi16ELi32ELi8ELc67ELc67ELc76ELb1ELb1E19rocblas_complex_numIfES1_PKS1_PS1_EviT_T9_T10_S5_lS7_S5_lS6_T11_S5_li.num_named_barrier, 0
	.set _ZL29rocblas_internal_gemmt_kernelIiLi16ELi32ELi8ELc67ELc67ELc76ELb1ELb1E19rocblas_complex_numIfES1_PKS1_PS1_EviT_T9_T10_S5_lS7_S5_lS6_T11_S5_li.private_seg_size, 0
	.set _ZL29rocblas_internal_gemmt_kernelIiLi16ELi32ELi8ELc67ELc67ELc76ELb1ELb1E19rocblas_complex_numIfES1_PKS1_PS1_EviT_T9_T10_S5_lS7_S5_lS6_T11_S5_li.uses_vcc, 1
	.set _ZL29rocblas_internal_gemmt_kernelIiLi16ELi32ELi8ELc67ELc67ELc76ELb1ELb1E19rocblas_complex_numIfES1_PKS1_PS1_EviT_T9_T10_S5_lS7_S5_lS6_T11_S5_li.uses_flat_scratch, 0
	.set _ZL29rocblas_internal_gemmt_kernelIiLi16ELi32ELi8ELc67ELc67ELc76ELb1ELb1E19rocblas_complex_numIfES1_PKS1_PS1_EviT_T9_T10_S5_lS7_S5_lS6_T11_S5_li.has_dyn_sized_stack, 0
	.set _ZL29rocblas_internal_gemmt_kernelIiLi16ELi32ELi8ELc67ELc67ELc76ELb1ELb1E19rocblas_complex_numIfES1_PKS1_PS1_EviT_T9_T10_S5_lS7_S5_lS6_T11_S5_li.has_recursion, 0
	.set _ZL29rocblas_internal_gemmt_kernelIiLi16ELi32ELi8ELc67ELc67ELc76ELb1ELb1E19rocblas_complex_numIfES1_PKS1_PS1_EviT_T9_T10_S5_lS7_S5_lS6_T11_S5_li.has_indirect_call, 0
	.section	.AMDGPU.csdata,"",@progbits
; Kernel info:
; codeLenInByte = 2572
; TotalNumSgprs: 28
; NumVgprs: 59
; ScratchSize: 0
; MemoryBound: 0
; FloatMode: 240
; IeeeMode: 1
; LDSByteSize: 4096 bytes/workgroup (compile time only)
; SGPRBlocks: 0
; VGPRBlocks: 7
; NumSGPRsForWavesPerEU: 28
; NumVGPRsForWavesPerEU: 59
; Occupancy: 16
; WaveLimiterHint : 0
; COMPUTE_PGM_RSRC2:SCRATCH_EN: 0
; COMPUTE_PGM_RSRC2:USER_SGPR: 6
; COMPUTE_PGM_RSRC2:TRAP_HANDLER: 0
; COMPUTE_PGM_RSRC2:TGID_X_EN: 1
; COMPUTE_PGM_RSRC2:TGID_Y_EN: 1
; COMPUTE_PGM_RSRC2:TGID_Z_EN: 1
; COMPUTE_PGM_RSRC2:TIDIG_COMP_CNT: 1
	.section	.text._ZL29rocblas_internal_gemmt_kernelIiLi16ELi32ELi8ELc78ELc78ELc85ELb0ELb0E19rocblas_complex_numIdEPKS1_S3_PS1_EviT_T9_T10_S5_lS7_S5_lS6_T11_S5_li,"axG",@progbits,_ZL29rocblas_internal_gemmt_kernelIiLi16ELi32ELi8ELc78ELc78ELc85ELb0ELb0E19rocblas_complex_numIdEPKS1_S3_PS1_EviT_T9_T10_S5_lS7_S5_lS6_T11_S5_li,comdat
	.globl	_ZL29rocblas_internal_gemmt_kernelIiLi16ELi32ELi8ELc78ELc78ELc85ELb0ELb0E19rocblas_complex_numIdEPKS1_S3_PS1_EviT_T9_T10_S5_lS7_S5_lS6_T11_S5_li ; -- Begin function _ZL29rocblas_internal_gemmt_kernelIiLi16ELi32ELi8ELc78ELc78ELc85ELb0ELb0E19rocblas_complex_numIdEPKS1_S3_PS1_EviT_T9_T10_S5_lS7_S5_lS6_T11_S5_li
	.p2align	8
	.type	_ZL29rocblas_internal_gemmt_kernelIiLi16ELi32ELi8ELc78ELc78ELc85ELb0ELb0E19rocblas_complex_numIdEPKS1_S3_PS1_EviT_T9_T10_S5_lS7_S5_lS6_T11_S5_li,@function
_ZL29rocblas_internal_gemmt_kernelIiLi16ELi32ELi8ELc78ELc78ELc85ELb0ELb0E19rocblas_complex_numIdEPKS1_S3_PS1_EviT_T9_T10_S5_lS7_S5_lS6_T11_S5_li: ; @_ZL29rocblas_internal_gemmt_kernelIiLi16ELi32ELi8ELc78ELc78ELc85ELb0ELb0E19rocblas_complex_numIdEPKS1_S3_PS1_EviT_T9_T10_S5_lS7_S5_lS6_T11_S5_li
; %bb.0:
	s_load_dwordx4 s[20:23], s[4:5], 0x38
	s_waitcnt lgkmcnt(0)
	s_load_dwordx4 s[12:15], s[22:23], 0x0
	s_clause 0x1
	s_load_dwordx4 s[0:3], s[4:5], 0x8
	s_load_dwordx2 s[10:11], s[4:5], 0x0
	s_waitcnt lgkmcnt(0)
	s_load_dwordx4 s[16:19], s[0:1], 0x0
	v_cmp_eq_f64_e64 s22, s[12:13], 1.0
	v_cmp_eq_f64_e64 s9, s[14:15], 0
	s_and_b32 s0, s22, s9
	s_andn2_b32 vcc_lo, exec_lo, s0
	s_mov_b32 s0, -1
	s_cbranch_vccnz .LBB108_3
; %bb.1:
	s_cmp_lg_u32 s11, 0
	s_cbranch_scc0 .LBB108_31
; %bb.2:
	s_waitcnt lgkmcnt(0)
	v_cmp_neq_f64_e64 s0, s[16:17], 0
	v_cmp_neq_f64_e64 s1, s[18:19], 0
	s_or_b32 s0, s0, s1
.LBB108_3:
	s_and_b32 vcc_lo, exec_lo, s0
	s_cbranch_vccz .LBB108_32
; %bb.4:
	s_waitcnt lgkmcnt(0)
	v_cmp_eq_f64_e64 s0, s[16:17], 0
	v_cmp_eq_f64_e64 s1, s[18:19], 0
	s_load_dwordx2 s[22:23], s[4:5], 0x48
	s_lshl_b32 s28, s6, 5
	s_lshl_b32 s29, s7, 5
	v_mov_b32_e32 v22, 0
	v_mov_b32_e32 v24, 0
	;; [unrolled: 1-line block ×16, first 2 shown]
	s_mov_b32 s30, 0
	s_and_b32 s0, s0, s1
	s_cmp_lt_i32 s11, 1
	s_cselect_b32 s1, -1, 0
	s_or_b32 s0, s0, s1
	s_and_b32 vcc_lo, exec_lo, s0
	s_cbranch_vccnz .LBB108_15
; %bb.5:
	s_clause 0x2
	s_load_dword s6, s[4:5], 0x18
	s_load_dwordx4 s[24:27], s[4:5], 0x20
	s_load_dword s1, s[4:5], 0x30
	v_lshl_add_u32 v2, v1, 4, v0
	v_and_b32_e32 v26, 7, v0
	v_mov_b32_e32 v10, 0
	v_mov_b32_e32 v12, 0
	;; [unrolled: 1-line block ×3, first 2 shown]
	v_and_b32_e32 v3, 31, v2
	v_lshrrev_b32_e32 v4, 3, v2
	v_lshlrev_b32_e32 v7, 4, v26
	v_lshrrev_b32_e32 v29, 5, v2
	v_mov_b32_e32 v18, 0
	v_or_b32_e32 v5, s28, v3
	v_add_nc_u32_e32 v6, s29, v4
	v_lshlrev_b32_e32 v8, 4, v3
	v_lshl_or_b32 v9, v4, 7, v7
	v_add_nc_u32_e32 v2, s28, v3
	v_cmp_gt_i32_e32 vcc_lo, s10, v5
	v_cmp_gt_i32_e64 s0, s10, v6
	v_lshl_or_b32 v30, v29, 9, v8
	s_waitcnt lgkmcnt(0)
	v_mad_i64_i32 v[3:4], null, v29, s6, 0
	s_mul_i32 s25, s25, s8
	s_mul_hi_u32 s31, s24, s8
	v_mad_i64_i32 v[5:6], null, s1, v6, 0
	s_mul_i32 s24, s24, s8
	s_add_i32 s25, s31, s25
	v_lshlrev_b64 v[3:4], 4, v[3:4]
	s_lshl_b64 s[24:25], s[24:25], 4
	v_add_nc_u32_e32 v31, 0x1000, v9
	v_mov_b32_e32 v16, 0
	v_mov_b32_e32 v14, 0
	v_mov_b32_e32 v24, 0
	v_add_co_u32 v8, s1, v3, s24
	v_ashrrev_i32_e32 v3, 31, v2
	v_add_co_ci_u32_e64 v9, null, s25, v4, s1
	s_mul_i32 s1, s21, s8
	s_mul_hi_u32 s21, s20, s8
	v_lshlrev_b64 v[4:5], 4, v[5:6]
	s_add_i32 s21, s21, s1
	s_mul_i32 s20, s20, s8
	v_lshlrev_b64 v[2:3], 4, v[2:3]
	s_lshl_b64 s[20:21], s[20:21], 4
	v_mov_b32_e32 v22, 0
	v_add_co_u32 v4, s1, v4, s20
	v_add_co_ci_u32_e64 v5, null, s21, v5, s1
	v_add_co_u32 v2, s1, v8, v2
	v_add_co_ci_u32_e64 v3, null, v9, v3, s1
	;; [unrolled: 2-line block ×4, first 2 shown]
	v_add_co_u32 v8, s1, s26, v4
	v_lshlrev_b32_e32 v27, 4, v0
	v_lshl_add_u32 v28, v1, 7, 0x1000
	v_add_co_ci_u32_e64 v9, null, s27, v5, s1
	v_mov_b32_e32 v11, 0
	v_mov_b32_e32 v13, 0
	;; [unrolled: 1-line block ×9, first 2 shown]
	s_ashr_i32 s7, s6, 31
	s_xor_b32 s1, vcc_lo, -1
	s_lshl_b64 s[2:3], s[6:7], 7
	s_xor_b32 s0, s0, -1
	s_branch .LBB108_7
.LBB108_6:                              ;   in Loop: Header=BB108_7 Depth=1
	s_or_b32 exec_lo, exec_lo, s6
	s_waitcnt lgkmcnt(0)
	s_barrier
	buffer_gl0_inv
	ds_read_b128 v[32:35], v28
	ds_read_b128 v[36:39], v28 offset:16
	ds_read_b128 v[40:43], v28 offset:32
	;; [unrolled: 1-line block ×3, first 2 shown]
	ds_read_b128 v[48:51], v27
	v_add_co_u32 v6, vcc_lo, v6, s2
	v_add_co_ci_u32_e64 v7, null, s3, v7, vcc_lo
	v_add_co_u32 v8, vcc_lo, 0x80, v8
	v_add_co_ci_u32_e64 v9, null, 0, v9, vcc_lo
	s_add_i32 s30, s30, 8
	s_cmp_lt_i32 s30, s11
	s_waitcnt lgkmcnt(0)
	v_mul_f64 v[3:4], v[34:35], v[50:51]
	v_mul_f64 v[52:53], v[32:33], v[50:51]
	v_fma_f64 v[3:4], v[32:33], v[48:49], -v[3:4]
	v_fma_f64 v[52:53], v[34:35], v[48:49], v[52:53]
	v_add_f64 v[3:4], v[22:23], v[3:4]
	v_add_f64 v[52:53], v[52:53], v[24:25]
	ds_read_b128 v[22:25], v27 offset:256
	s_waitcnt lgkmcnt(0)
	v_mul_f64 v[54:55], v[34:35], v[24:25]
	v_fma_f64 v[54:55], v[32:33], v[22:23], -v[54:55]
	v_mul_f64 v[32:33], v[32:33], v[24:25]
	v_fma_f64 v[32:33], v[34:35], v[22:23], v[32:33]
	v_add_f64 v[34:35], v[14:15], v[54:55]
	v_add_f64 v[32:33], v[32:33], v[16:17]
	ds_read_b128 v[14:17], v28 offset:2048
	s_waitcnt lgkmcnt(0)
	v_mul_f64 v[54:55], v[16:17], v[50:51]
	v_mul_f64 v[50:51], v[14:15], v[50:51]
	v_fma_f64 v[54:55], v[14:15], v[48:49], -v[54:55]
	v_fma_f64 v[48:49], v[16:17], v[48:49], v[50:51]
	v_add_f64 v[50:51], v[18:19], v[54:55]
	v_mul_f64 v[18:19], v[16:17], v[24:25]
	v_add_f64 v[48:49], v[48:49], v[20:21]
	v_fma_f64 v[18:19], v[14:15], v[22:23], -v[18:19]
	v_mul_f64 v[14:15], v[14:15], v[24:25]
	v_fma_f64 v[14:15], v[16:17], v[22:23], v[14:15]
	v_add_f64 v[22:23], v[12:13], v[18:19]
	v_add_f64 v[24:25], v[14:15], v[10:11]
	ds_read_b128 v[10:13], v27 offset:512
	s_waitcnt lgkmcnt(0)
	v_mul_f64 v[14:15], v[38:39], v[12:13]
	v_mul_f64 v[16:17], v[36:37], v[12:13]
	v_fma_f64 v[14:15], v[36:37], v[10:11], -v[14:15]
	v_fma_f64 v[16:17], v[38:39], v[10:11], v[16:17]
	v_add_f64 v[3:4], v[3:4], v[14:15]
	v_add_f64 v[52:53], v[16:17], v[52:53]
	ds_read_b128 v[14:17], v27 offset:768
	s_waitcnt lgkmcnt(0)
	v_mul_f64 v[18:19], v[38:39], v[16:17]
	v_mul_f64 v[20:21], v[36:37], v[16:17]
	v_fma_f64 v[18:19], v[36:37], v[14:15], -v[18:19]
	;; [unrolled: 8-line block ×3, first 2 shown]
	v_fma_f64 v[10:11], v[20:21], v[10:11], v[12:13]
	v_mul_f64 v[12:13], v[18:19], v[16:17]
	v_add_f64 v[36:37], v[50:51], v[36:37]
	v_add_f64 v[38:39], v[10:11], v[48:49]
	v_mul_f64 v[10:11], v[20:21], v[16:17]
	v_fma_f64 v[12:13], v[20:21], v[14:15], v[12:13]
	v_fma_f64 v[10:11], v[18:19], v[14:15], -v[10:11]
	v_add_f64 v[24:25], v[12:13], v[24:25]
	v_add_f64 v[22:23], v[22:23], v[10:11]
	ds_read_b128 v[10:13], v27 offset:1024
	s_waitcnt lgkmcnt(0)
	v_mul_f64 v[14:15], v[42:43], v[12:13]
	v_mul_f64 v[16:17], v[40:41], v[12:13]
	v_fma_f64 v[14:15], v[40:41], v[10:11], -v[14:15]
	v_fma_f64 v[16:17], v[42:43], v[10:11], v[16:17]
	v_add_f64 v[3:4], v[3:4], v[14:15]
	v_add_f64 v[48:49], v[16:17], v[52:53]
	ds_read_b128 v[14:17], v27 offset:1280
	s_waitcnt lgkmcnt(0)
	v_mul_f64 v[18:19], v[42:43], v[16:17]
	v_mul_f64 v[20:21], v[40:41], v[16:17]
	v_fma_f64 v[18:19], v[40:41], v[14:15], -v[18:19]
	v_fma_f64 v[20:21], v[42:43], v[14:15], v[20:21]
	;; [unrolled: 8-line block ×3, first 2 shown]
	v_mul_f64 v[12:13], v[18:19], v[16:17]
	v_add_f64 v[36:37], v[36:37], v[40:41]
	v_add_f64 v[38:39], v[10:11], v[38:39]
	v_mul_f64 v[10:11], v[20:21], v[16:17]
	v_fma_f64 v[12:13], v[20:21], v[14:15], v[12:13]
	v_fma_f64 v[10:11], v[18:19], v[14:15], -v[10:11]
	v_add_f64 v[24:25], v[12:13], v[24:25]
	v_add_f64 v[22:23], v[22:23], v[10:11]
	ds_read_b128 v[10:13], v27 offset:1536
	s_waitcnt lgkmcnt(0)
	v_mul_f64 v[14:15], v[46:47], v[12:13]
	v_mul_f64 v[16:17], v[44:45], v[12:13]
	v_fma_f64 v[14:15], v[44:45], v[10:11], -v[14:15]
	v_fma_f64 v[16:17], v[46:47], v[10:11], v[16:17]
	v_add_f64 v[3:4], v[3:4], v[14:15]
	v_add_f64 v[40:41], v[16:17], v[48:49]
	ds_read_b128 v[14:17], v27 offset:1792
	s_waitcnt lgkmcnt(0)
	v_mul_f64 v[18:19], v[46:47], v[16:17]
	v_mul_f64 v[20:21], v[44:45], v[16:17]
	v_fma_f64 v[18:19], v[44:45], v[14:15], -v[18:19]
	v_fma_f64 v[20:21], v[46:47], v[14:15], v[20:21]
	;; [unrolled: 8-line block ×3, first 2 shown]
	v_mul_f64 v[12:13], v[18:19], v[16:17]
	v_add_f64 v[36:37], v[36:37], v[42:43]
	v_add_f64 v[38:39], v[10:11], v[38:39]
	v_mul_f64 v[10:11], v[20:21], v[16:17]
	v_fma_f64 v[12:13], v[20:21], v[14:15], v[12:13]
	v_fma_f64 v[10:11], v[18:19], v[14:15], -v[10:11]
	v_add_f64 v[24:25], v[12:13], v[24:25]
	v_add_f64 v[22:23], v[22:23], v[10:11]
	ds_read_b128 v[10:13], v28 offset:64
	ds_read_b128 v[14:17], v27 offset:2048
	s_waitcnt lgkmcnt(0)
	v_mul_f64 v[18:19], v[12:13], v[16:17]
	v_mul_f64 v[20:21], v[10:11], v[16:17]
	v_fma_f64 v[18:19], v[10:11], v[14:15], -v[18:19]
	v_fma_f64 v[20:21], v[12:13], v[14:15], v[20:21]
	v_add_f64 v[3:4], v[3:4], v[18:19]
	v_add_f64 v[40:41], v[20:21], v[40:41]
	ds_read_b128 v[18:21], v27 offset:2304
	s_waitcnt lgkmcnt(0)
	v_mul_f64 v[42:43], v[12:13], v[20:21]
	v_fma_f64 v[42:43], v[10:11], v[18:19], -v[42:43]
	v_mul_f64 v[10:11], v[10:11], v[20:21]
	v_add_f64 v[34:35], v[34:35], v[42:43]
	v_fma_f64 v[10:11], v[12:13], v[18:19], v[10:11]
	v_add_f64 v[32:33], v[10:11], v[32:33]
	ds_read_b128 v[10:13], v28 offset:2112
	s_waitcnt lgkmcnt(0)
	v_mul_f64 v[42:43], v[12:13], v[16:17]
	v_mul_f64 v[16:17], v[10:11], v[16:17]
	v_fma_f64 v[42:43], v[10:11], v[14:15], -v[42:43]
	v_fma_f64 v[14:15], v[12:13], v[14:15], v[16:17]
	v_add_f64 v[36:37], v[36:37], v[42:43]
	v_add_f64 v[38:39], v[14:15], v[38:39]
	v_mul_f64 v[14:15], v[12:13], v[20:21]
	v_fma_f64 v[14:15], v[10:11], v[18:19], -v[14:15]
	v_mul_f64 v[10:11], v[10:11], v[20:21]
	v_add_f64 v[22:23], v[22:23], v[14:15]
	v_fma_f64 v[10:11], v[12:13], v[18:19], v[10:11]
	v_add_f64 v[24:25], v[10:11], v[24:25]
	ds_read_b128 v[10:13], v28 offset:80
	ds_read_b128 v[14:17], v27 offset:2560
	s_waitcnt lgkmcnt(0)
	v_mul_f64 v[18:19], v[12:13], v[16:17]
	v_mul_f64 v[20:21], v[10:11], v[16:17]
	v_fma_f64 v[18:19], v[10:11], v[14:15], -v[18:19]
	v_fma_f64 v[20:21], v[12:13], v[14:15], v[20:21]
	v_add_f64 v[3:4], v[3:4], v[18:19]
	v_add_f64 v[40:41], v[20:21], v[40:41]
	ds_read_b128 v[18:21], v27 offset:2816
	s_waitcnt lgkmcnt(0)
	v_mul_f64 v[42:43], v[12:13], v[20:21]
	v_fma_f64 v[42:43], v[10:11], v[18:19], -v[42:43]
	v_mul_f64 v[10:11], v[10:11], v[20:21]
	v_add_f64 v[34:35], v[34:35], v[42:43]
	v_fma_f64 v[10:11], v[12:13], v[18:19], v[10:11]
	v_add_f64 v[32:33], v[10:11], v[32:33]
	ds_read_b128 v[10:13], v28 offset:2128
	s_waitcnt lgkmcnt(0)
	v_mul_f64 v[42:43], v[12:13], v[16:17]
	v_mul_f64 v[16:17], v[10:11], v[16:17]
	v_fma_f64 v[42:43], v[10:11], v[14:15], -v[42:43]
	v_fma_f64 v[14:15], v[12:13], v[14:15], v[16:17]
	v_add_f64 v[36:37], v[36:37], v[42:43]
	v_add_f64 v[38:39], v[14:15], v[38:39]
	v_mul_f64 v[14:15], v[12:13], v[20:21]
	v_fma_f64 v[14:15], v[10:11], v[18:19], -v[14:15]
	v_mul_f64 v[10:11], v[10:11], v[20:21]
	v_add_f64 v[22:23], v[22:23], v[14:15]
	v_fma_f64 v[10:11], v[12:13], v[18:19], v[10:11]
	;; [unrolled: 31-line block ×3, first 2 shown]
	v_add_f64 v[48:49], v[10:11], v[24:25]
	ds_read_b128 v[10:13], v28 offset:112
	ds_read_b128 v[18:21], v27 offset:3584
	;; [unrolled: 1-line block ×3, first 2 shown]
	s_waitcnt lgkmcnt(1)
	v_mul_f64 v[14:15], v[12:13], v[20:21]
	v_mul_f64 v[16:17], v[10:11], v[20:21]
	v_fma_f64 v[14:15], v[10:11], v[18:19], -v[14:15]
	v_fma_f64 v[16:17], v[12:13], v[18:19], v[16:17]
	v_add_f64 v[22:23], v[3:4], v[14:15]
	s_waitcnt lgkmcnt(0)
	v_mul_f64 v[3:4], v[12:13], v[34:35]
	v_add_f64 v[24:25], v[16:17], v[40:41]
	v_fma_f64 v[3:4], v[10:11], v[32:33], -v[3:4]
	v_mul_f64 v[10:11], v[10:11], v[34:35]
	v_add_f64 v[14:15], v[42:43], v[3:4]
	v_fma_f64 v[10:11], v[12:13], v[32:33], v[10:11]
	v_add_f64 v[16:17], v[10:11], v[44:45]
	ds_read_b128 v[10:13], v28 offset:2160
	s_waitcnt lgkmcnt(0)
	s_barrier
	buffer_gl0_inv
	v_mul_f64 v[3:4], v[12:13], v[20:21]
	v_mul_f64 v[20:21], v[10:11], v[20:21]
	v_fma_f64 v[3:4], v[10:11], v[18:19], -v[3:4]
	v_fma_f64 v[20:21], v[12:13], v[18:19], v[20:21]
	v_add_f64 v[18:19], v[36:37], v[3:4]
	v_mul_f64 v[3:4], v[12:13], v[34:35]
	v_add_f64 v[20:21], v[20:21], v[38:39]
	v_fma_f64 v[3:4], v[10:11], v[32:33], -v[3:4]
	v_mul_f64 v[10:11], v[10:11], v[34:35]
	v_fma_f64 v[10:11], v[12:13], v[32:33], v[10:11]
	v_add_f64 v[12:13], v[46:47], v[3:4]
	v_add_f64 v[10:11], v[10:11], v[48:49]
	s_cbranch_scc0 .LBB108_15
.LBB108_7:                              ; =>This Inner Loop Header: Depth=1
	v_add_nc_u32_e32 v3, s30, v29
	v_cmp_le_i32_e32 vcc_lo, s11, v3
	s_or_b32 s6, s1, vcc_lo
	s_and_saveexec_b32 s7, s6
	s_xor_b32 s6, exec_lo, s7
	s_cbranch_execz .LBB108_9
; %bb.8:                                ;   in Loop: Header=BB108_7 Depth=1
	v_mov_b32_e32 v3, v2
	v_mov_b32_e32 v4, v2
	;; [unrolled: 1-line block ×3, first 2 shown]
	ds_write_b128 v30, v[2:5]
.LBB108_9:                              ;   in Loop: Header=BB108_7 Depth=1
	s_andn2_saveexec_b32 s6, s6
	s_cbranch_execz .LBB108_11
; %bb.10:                               ;   in Loop: Header=BB108_7 Depth=1
	global_load_dwordx4 v[32:35], v[6:7], off
	s_waitcnt vmcnt(0)
	ds_write2_b64 v30, v[32:33], v[34:35] offset1:1
.LBB108_11:                             ;   in Loop: Header=BB108_7 Depth=1
	s_or_b32 exec_lo, exec_lo, s6
	v_add_nc_u32_e32 v3, s30, v26
	v_cmp_le_i32_e32 vcc_lo, s11, v3
	s_or_b32 s6, vcc_lo, s0
	s_and_saveexec_b32 s7, s6
	s_xor_b32 s6, exec_lo, s7
	s_cbranch_execz .LBB108_13
; %bb.12:                               ;   in Loop: Header=BB108_7 Depth=1
	v_mov_b32_e32 v3, v2
	v_mov_b32_e32 v4, v2
	;; [unrolled: 1-line block ×3, first 2 shown]
	ds_write_b128 v31, v[2:5]
.LBB108_13:                             ;   in Loop: Header=BB108_7 Depth=1
	s_andn2_saveexec_b32 s6, s6
	s_cbranch_execz .LBB108_6
; %bb.14:                               ;   in Loop: Header=BB108_7 Depth=1
	global_load_dwordx4 v[32:35], v[8:9], off
	s_waitcnt vmcnt(0)
	ds_write2_b64 v31, v[32:33], v[34:35] offset1:1
	s_branch .LBB108_6
.LBB108_15:
	s_clause 0x1
	s_load_dword s2, s[4:5], 0x50
	s_load_dwordx2 s[4:5], s[4:5], 0x58
	v_cmp_neq_f64_e64 s6, s[12:13], 0
	v_add_nc_u32_e32 v27, s29, v1
	v_add_nc_u32_e32 v4, s28, v0
	v_cmp_gt_i32_e64 s0, s10, v27
	v_cmp_le_i32_e32 vcc_lo, v4, v27
	v_ashrrev_i32_e32 v5, 31, v4
	s_waitcnt lgkmcnt(0)
	v_mad_i64_i32 v[0:1], null, v27, s2, 0
	s_mul_i32 s1, s5, s8
	s_mul_hi_u32 s3, s4, s8
	s_mul_i32 s4, s4, s8
	s_add_i32 s5, s3, s1
	s_lshl_b64 s[4:5], s[4:5], 4
	v_lshlrev_b64 v[0:1], 4, v[0:1]
	s_add_u32 s3, s22, s4
	s_addc_u32 s4, s23, s5
	s_xor_b32 s5, s9, -1
	s_or_b32 s5, s6, s5
	v_add_co_u32 v8, s1, s3, v0
	v_add_co_ci_u32_e64 v9, null, s4, v1, s1
	v_cndmask_b32_e64 v26, 0, 1, s5
	s_and_b32 s6, s0, vcc_lo
	s_and_saveexec_b32 s1, s6
	s_cbranch_execz .LBB108_19
; %bb.16:
	v_mul_f64 v[0:1], s[18:19], v[24:25]
	v_mul_f64 v[2:3], s[16:17], v[24:25]
	v_lshlrev_b64 v[6:7], 4, v[4:5]
	v_add_co_u32 v6, vcc_lo, v8, v6
	v_add_co_ci_u32_e64 v7, null, v9, v7, vcc_lo
	s_andn2_b32 vcc_lo, exec_lo, s5
	v_fma_f64 v[0:1], s[16:17], v[22:23], -v[0:1]
	v_fma_f64 v[2:3], s[18:19], v[22:23], v[2:3]
	s_cbranch_vccnz .LBB108_18
; %bb.17:
	global_load_dwordx4 v[22:25], v[6:7], off
	s_waitcnt vmcnt(0)
	v_mul_f64 v[28:29], s[14:15], v[24:25]
	v_mul_f64 v[24:25], s[12:13], v[24:25]
	v_fma_f64 v[28:29], s[12:13], v[22:23], -v[28:29]
	v_fma_f64 v[22:23], s[14:15], v[22:23], v[24:25]
	v_add_f64 v[0:1], v[0:1], v[28:29]
	v_add_f64 v[2:3], v[2:3], v[22:23]
.LBB108_18:
	global_store_dwordx4 v[6:7], v[0:3], off
.LBB108_19:
	s_or_b32 exec_lo, exec_lo, s1
	v_add_nc_u32_e32 v6, 16, v4
	v_cmp_le_i32_e32 vcc_lo, v6, v27
	v_ashrrev_i32_e32 v7, 31, v6
	s_and_b32 s0, s0, vcc_lo
	s_and_saveexec_b32 s1, s0
	s_cbranch_execz .LBB108_23
; %bb.20:
	v_mul_f64 v[0:1], s[18:19], v[16:17]
	v_mul_f64 v[2:3], s[16:17], v[16:17]
	v_cmp_ne_u32_e32 vcc_lo, 1, v26
	s_and_b32 vcc_lo, exec_lo, vcc_lo
	v_fma_f64 v[0:1], s[16:17], v[14:15], -v[0:1]
	v_fma_f64 v[2:3], s[18:19], v[14:15], v[2:3]
	v_lshlrev_b64 v[14:15], 4, v[6:7]
	v_add_co_u32 v8, s0, v8, v14
	v_add_co_ci_u32_e64 v9, null, v9, v15, s0
	s_cbranch_vccnz .LBB108_22
; %bb.21:
	global_load_dwordx4 v[14:17], v[8:9], off
	s_waitcnt vmcnt(0)
	v_mul_f64 v[22:23], s[14:15], v[16:17]
	v_mul_f64 v[16:17], s[12:13], v[16:17]
	v_fma_f64 v[22:23], s[12:13], v[14:15], -v[22:23]
	v_fma_f64 v[14:15], s[14:15], v[14:15], v[16:17]
	v_add_f64 v[0:1], v[0:1], v[22:23]
	v_add_f64 v[2:3], v[2:3], v[14:15]
.LBB108_22:
	global_store_dwordx4 v[8:9], v[0:3], off
.LBB108_23:
	s_or_b32 exec_lo, exec_lo, s1
	v_add_nc_u32_e32 v14, 16, v27
	v_mad_i64_i32 v[0:1], null, v14, s2, 0
	v_cmp_gt_i32_e64 s0, s10, v14
	v_cmp_le_i32_e32 vcc_lo, v4, v14
	v_lshlrev_b64 v[0:1], 4, v[0:1]
	v_add_co_u32 v8, s1, s3, v0
	v_add_co_ci_u32_e64 v9, null, s4, v1, s1
	s_and_b32 s1, s0, vcc_lo
	s_and_saveexec_b32 s2, s1
	s_cbranch_execz .LBB108_27
; %bb.24:
	v_mul_f64 v[0:1], s[18:19], v[20:21]
	v_mul_f64 v[2:3], s[16:17], v[20:21]
	v_lshlrev_b64 v[4:5], 4, v[4:5]
	v_cmp_ne_u32_e32 vcc_lo, 1, v26
	s_and_b32 vcc_lo, exec_lo, vcc_lo
	v_add_co_u32 v4, s1, v8, v4
	v_add_co_ci_u32_e64 v5, null, v9, v5, s1
	v_fma_f64 v[0:1], s[16:17], v[18:19], -v[0:1]
	v_fma_f64 v[2:3], s[18:19], v[18:19], v[2:3]
	s_cbranch_vccnz .LBB108_26
; %bb.25:
	global_load_dwordx4 v[15:18], v[4:5], off
	s_waitcnt vmcnt(0)
	v_mul_f64 v[19:20], s[14:15], v[17:18]
	v_mul_f64 v[17:18], s[12:13], v[17:18]
	v_fma_f64 v[19:20], s[12:13], v[15:16], -v[19:20]
	v_fma_f64 v[15:16], s[14:15], v[15:16], v[17:18]
	v_add_f64 v[0:1], v[0:1], v[19:20]
	v_add_f64 v[2:3], v[2:3], v[15:16]
.LBB108_26:
	global_store_dwordx4 v[4:5], v[0:3], off
.LBB108_27:
	s_or_b32 exec_lo, exec_lo, s2
	v_cmp_le_i32_e32 vcc_lo, v6, v14
	s_and_b32 s0, s0, vcc_lo
	s_and_saveexec_b32 s1, s0
	s_cbranch_execz .LBB108_32
; %bb.28:
	v_mul_f64 v[0:1], s[18:19], v[10:11]
	v_mul_f64 v[2:3], s[16:17], v[10:11]
	v_lshlrev_b64 v[4:5], 4, v[6:7]
	v_cmp_ne_u32_e32 vcc_lo, 1, v26
	s_and_b32 vcc_lo, exec_lo, vcc_lo
	v_add_co_u32 v4, s0, v8, v4
	v_add_co_ci_u32_e64 v5, null, v9, v5, s0
	v_fma_f64 v[0:1], s[16:17], v[12:13], -v[0:1]
	v_fma_f64 v[2:3], s[18:19], v[12:13], v[2:3]
	s_cbranch_vccnz .LBB108_30
; %bb.29:
	global_load_dwordx4 v[6:9], v[4:5], off
	s_waitcnt vmcnt(0)
	v_mul_f64 v[10:11], s[14:15], v[8:9]
	v_mul_f64 v[8:9], s[12:13], v[8:9]
	v_fma_f64 v[10:11], s[12:13], v[6:7], -v[10:11]
	v_fma_f64 v[6:7], s[14:15], v[6:7], v[8:9]
	v_add_f64 v[0:1], v[0:1], v[10:11]
	v_add_f64 v[2:3], v[2:3], v[6:7]
.LBB108_30:
	global_store_dwordx4 v[4:5], v[0:3], off
	s_endpgm
.LBB108_31:
.LBB108_32:
	s_endpgm
	.section	.rodata,"a",@progbits
	.p2align	6, 0x0
	.amdhsa_kernel _ZL29rocblas_internal_gemmt_kernelIiLi16ELi32ELi8ELc78ELc78ELc85ELb0ELb0E19rocblas_complex_numIdEPKS1_S3_PS1_EviT_T9_T10_S5_lS7_S5_lS6_T11_S5_li
		.amdhsa_group_segment_fixed_size 8192
		.amdhsa_private_segment_fixed_size 0
		.amdhsa_kernarg_size 100
		.amdhsa_user_sgpr_count 6
		.amdhsa_user_sgpr_private_segment_buffer 1
		.amdhsa_user_sgpr_dispatch_ptr 0
		.amdhsa_user_sgpr_queue_ptr 0
		.amdhsa_user_sgpr_kernarg_segment_ptr 1
		.amdhsa_user_sgpr_dispatch_id 0
		.amdhsa_user_sgpr_flat_scratch_init 0
		.amdhsa_user_sgpr_private_segment_size 0
		.amdhsa_wavefront_size32 1
		.amdhsa_uses_dynamic_stack 0
		.amdhsa_system_sgpr_private_segment_wavefront_offset 0
		.amdhsa_system_sgpr_workgroup_id_x 1
		.amdhsa_system_sgpr_workgroup_id_y 1
		.amdhsa_system_sgpr_workgroup_id_z 1
		.amdhsa_system_sgpr_workgroup_info 0
		.amdhsa_system_vgpr_workitem_id 1
		.amdhsa_next_free_vgpr 56
		.amdhsa_next_free_sgpr 32
		.amdhsa_reserve_vcc 1
		.amdhsa_reserve_flat_scratch 0
		.amdhsa_float_round_mode_32 0
		.amdhsa_float_round_mode_16_64 0
		.amdhsa_float_denorm_mode_32 3
		.amdhsa_float_denorm_mode_16_64 3
		.amdhsa_dx10_clamp 1
		.amdhsa_ieee_mode 1
		.amdhsa_fp16_overflow 0
		.amdhsa_workgroup_processor_mode 1
		.amdhsa_memory_ordered 1
		.amdhsa_forward_progress 1
		.amdhsa_shared_vgpr_count 0
		.amdhsa_exception_fp_ieee_invalid_op 0
		.amdhsa_exception_fp_denorm_src 0
		.amdhsa_exception_fp_ieee_div_zero 0
		.amdhsa_exception_fp_ieee_overflow 0
		.amdhsa_exception_fp_ieee_underflow 0
		.amdhsa_exception_fp_ieee_inexact 0
		.amdhsa_exception_int_div_zero 0
	.end_amdhsa_kernel
	.section	.text._ZL29rocblas_internal_gemmt_kernelIiLi16ELi32ELi8ELc78ELc78ELc85ELb0ELb0E19rocblas_complex_numIdEPKS1_S3_PS1_EviT_T9_T10_S5_lS7_S5_lS6_T11_S5_li,"axG",@progbits,_ZL29rocblas_internal_gemmt_kernelIiLi16ELi32ELi8ELc78ELc78ELc85ELb0ELb0E19rocblas_complex_numIdEPKS1_S3_PS1_EviT_T9_T10_S5_lS7_S5_lS6_T11_S5_li,comdat
.Lfunc_end108:
	.size	_ZL29rocblas_internal_gemmt_kernelIiLi16ELi32ELi8ELc78ELc78ELc85ELb0ELb0E19rocblas_complex_numIdEPKS1_S3_PS1_EviT_T9_T10_S5_lS7_S5_lS6_T11_S5_li, .Lfunc_end108-_ZL29rocblas_internal_gemmt_kernelIiLi16ELi32ELi8ELc78ELc78ELc85ELb0ELb0E19rocblas_complex_numIdEPKS1_S3_PS1_EviT_T9_T10_S5_lS7_S5_lS6_T11_S5_li
                                        ; -- End function
	.set _ZL29rocblas_internal_gemmt_kernelIiLi16ELi32ELi8ELc78ELc78ELc85ELb0ELb0E19rocblas_complex_numIdEPKS1_S3_PS1_EviT_T9_T10_S5_lS7_S5_lS6_T11_S5_li.num_vgpr, 56
	.set _ZL29rocblas_internal_gemmt_kernelIiLi16ELi32ELi8ELc78ELc78ELc85ELb0ELb0E19rocblas_complex_numIdEPKS1_S3_PS1_EviT_T9_T10_S5_lS7_S5_lS6_T11_S5_li.num_agpr, 0
	.set _ZL29rocblas_internal_gemmt_kernelIiLi16ELi32ELi8ELc78ELc78ELc85ELb0ELb0E19rocblas_complex_numIdEPKS1_S3_PS1_EviT_T9_T10_S5_lS7_S5_lS6_T11_S5_li.numbered_sgpr, 32
	.set _ZL29rocblas_internal_gemmt_kernelIiLi16ELi32ELi8ELc78ELc78ELc85ELb0ELb0E19rocblas_complex_numIdEPKS1_S3_PS1_EviT_T9_T10_S5_lS7_S5_lS6_T11_S5_li.num_named_barrier, 0
	.set _ZL29rocblas_internal_gemmt_kernelIiLi16ELi32ELi8ELc78ELc78ELc85ELb0ELb0E19rocblas_complex_numIdEPKS1_S3_PS1_EviT_T9_T10_S5_lS7_S5_lS6_T11_S5_li.private_seg_size, 0
	.set _ZL29rocblas_internal_gemmt_kernelIiLi16ELi32ELi8ELc78ELc78ELc85ELb0ELb0E19rocblas_complex_numIdEPKS1_S3_PS1_EviT_T9_T10_S5_lS7_S5_lS6_T11_S5_li.uses_vcc, 1
	.set _ZL29rocblas_internal_gemmt_kernelIiLi16ELi32ELi8ELc78ELc78ELc85ELb0ELb0E19rocblas_complex_numIdEPKS1_S3_PS1_EviT_T9_T10_S5_lS7_S5_lS6_T11_S5_li.uses_flat_scratch, 0
	.set _ZL29rocblas_internal_gemmt_kernelIiLi16ELi32ELi8ELc78ELc78ELc85ELb0ELb0E19rocblas_complex_numIdEPKS1_S3_PS1_EviT_T9_T10_S5_lS7_S5_lS6_T11_S5_li.has_dyn_sized_stack, 0
	.set _ZL29rocblas_internal_gemmt_kernelIiLi16ELi32ELi8ELc78ELc78ELc85ELb0ELb0E19rocblas_complex_numIdEPKS1_S3_PS1_EviT_T9_T10_S5_lS7_S5_lS6_T11_S5_li.has_recursion, 0
	.set _ZL29rocblas_internal_gemmt_kernelIiLi16ELi32ELi8ELc78ELc78ELc85ELb0ELb0E19rocblas_complex_numIdEPKS1_S3_PS1_EviT_T9_T10_S5_lS7_S5_lS6_T11_S5_li.has_indirect_call, 0
	.section	.AMDGPU.csdata,"",@progbits
; Kernel info:
; codeLenInByte = 3572
; TotalNumSgprs: 34
; NumVgprs: 56
; ScratchSize: 0
; MemoryBound: 0
; FloatMode: 240
; IeeeMode: 1
; LDSByteSize: 8192 bytes/workgroup (compile time only)
; SGPRBlocks: 0
; VGPRBlocks: 6
; NumSGPRsForWavesPerEU: 34
; NumVGPRsForWavesPerEU: 56
; Occupancy: 16
; WaveLimiterHint : 0
; COMPUTE_PGM_RSRC2:SCRATCH_EN: 0
; COMPUTE_PGM_RSRC2:USER_SGPR: 6
; COMPUTE_PGM_RSRC2:TRAP_HANDLER: 0
; COMPUTE_PGM_RSRC2:TGID_X_EN: 1
; COMPUTE_PGM_RSRC2:TGID_Y_EN: 1
; COMPUTE_PGM_RSRC2:TGID_Z_EN: 1
; COMPUTE_PGM_RSRC2:TIDIG_COMP_CNT: 1
	.section	.text._ZL29rocblas_internal_gemmt_kernelIiLi16ELi32ELi8ELc78ELc84ELc85ELb0ELb0E19rocblas_complex_numIdEPKS1_S3_PS1_EviT_T9_T10_S5_lS7_S5_lS6_T11_S5_li,"axG",@progbits,_ZL29rocblas_internal_gemmt_kernelIiLi16ELi32ELi8ELc78ELc84ELc85ELb0ELb0E19rocblas_complex_numIdEPKS1_S3_PS1_EviT_T9_T10_S5_lS7_S5_lS6_T11_S5_li,comdat
	.globl	_ZL29rocblas_internal_gemmt_kernelIiLi16ELi32ELi8ELc78ELc84ELc85ELb0ELb0E19rocblas_complex_numIdEPKS1_S3_PS1_EviT_T9_T10_S5_lS7_S5_lS6_T11_S5_li ; -- Begin function _ZL29rocblas_internal_gemmt_kernelIiLi16ELi32ELi8ELc78ELc84ELc85ELb0ELb0E19rocblas_complex_numIdEPKS1_S3_PS1_EviT_T9_T10_S5_lS7_S5_lS6_T11_S5_li
	.p2align	8
	.type	_ZL29rocblas_internal_gemmt_kernelIiLi16ELi32ELi8ELc78ELc84ELc85ELb0ELb0E19rocblas_complex_numIdEPKS1_S3_PS1_EviT_T9_T10_S5_lS7_S5_lS6_T11_S5_li,@function
_ZL29rocblas_internal_gemmt_kernelIiLi16ELi32ELi8ELc78ELc84ELc85ELb0ELb0E19rocblas_complex_numIdEPKS1_S3_PS1_EviT_T9_T10_S5_lS7_S5_lS6_T11_S5_li: ; @_ZL29rocblas_internal_gemmt_kernelIiLi16ELi32ELi8ELc78ELc84ELc85ELb0ELb0E19rocblas_complex_numIdEPKS1_S3_PS1_EviT_T9_T10_S5_lS7_S5_lS6_T11_S5_li
; %bb.0:
	s_load_dwordx4 s[20:23], s[4:5], 0x38
	s_waitcnt lgkmcnt(0)
	s_load_dwordx4 s[12:15], s[22:23], 0x0
	s_clause 0x1
	s_load_dwordx4 s[0:3], s[4:5], 0x8
	s_load_dwordx2 s[10:11], s[4:5], 0x0
	s_waitcnt lgkmcnt(0)
	s_load_dwordx4 s[16:19], s[0:1], 0x0
	v_cmp_eq_f64_e64 s22, s[12:13], 1.0
	v_cmp_eq_f64_e64 s9, s[14:15], 0
	s_and_b32 s0, s22, s9
	s_andn2_b32 vcc_lo, exec_lo, s0
	s_mov_b32 s0, -1
	s_cbranch_vccnz .LBB109_3
; %bb.1:
	s_cmp_lg_u32 s11, 0
	s_cbranch_scc0 .LBB109_31
; %bb.2:
	s_waitcnt lgkmcnt(0)
	v_cmp_neq_f64_e64 s0, s[16:17], 0
	v_cmp_neq_f64_e64 s1, s[18:19], 0
	s_or_b32 s0, s0, s1
.LBB109_3:
	s_and_b32 vcc_lo, exec_lo, s0
	s_cbranch_vccz .LBB109_32
; %bb.4:
	s_waitcnt lgkmcnt(0)
	v_cmp_eq_f64_e64 s0, s[16:17], 0
	v_cmp_eq_f64_e64 s1, s[18:19], 0
	s_load_dwordx2 s[22:23], s[4:5], 0x48
	s_lshl_b32 s28, s6, 5
	s_lshl_b32 s29, s7, 5
	v_mov_b32_e32 v22, 0
	v_mov_b32_e32 v24, 0
	;; [unrolled: 1-line block ×16, first 2 shown]
	s_mov_b32 s30, 0
	s_and_b32 s0, s0, s1
	s_cmp_lt_i32 s11, 1
	s_cselect_b32 s1, -1, 0
	s_or_b32 s0, s0, s1
	s_and_b32 vcc_lo, exec_lo, s0
	s_cbranch_vccnz .LBB109_15
; %bb.5:
	s_clause 0x1
	s_load_dword s34, s[4:5], 0x18
	s_load_dword s6, s[4:5], 0x30
	v_lshl_add_u32 v2, v1, 4, v0
	s_load_dwordx4 s[24:27], s[4:5], 0x20
	v_and_b32_e32 v26, 7, v0
	s_mul_i32 s21, s21, s8
	s_mul_hi_u32 s31, s20, s8
	v_and_b32_e32 v6, 31, v2
	v_lshrrev_b32_e32 v3, 3, v2
	v_lshlrev_b32_e32 v4, 4, v26
	v_lshrrev_b32_e32 v27, 5, v2
	s_add_i32 s21, s31, s21
	v_or_b32_e32 v5, s28, v6
	v_add_nc_u32_e32 v2, s29, v3
	v_lshl_or_b32 v3, v3, 7, v4
	v_lshlrev_b32_e32 v7, 4, v6
	v_add_nc_u32_e32 v6, s28, v6
	v_cmp_gt_i32_e32 vcc_lo, s10, v5
	s_mul_i32 s20, s20, s8
	v_add_nc_u32_e32 v29, 0x1000, v3
	s_waitcnt lgkmcnt(0)
	v_mad_i64_i32 v[4:5], null, v27, s34, 0
	v_mad_i64_i32 v[8:9], null, s6, v26, 0
	s_mul_i32 s1, s25, s8
	s_mul_hi_u32 s25, s24, s8
	v_lshl_or_b32 v28, v27, 9, v7
	v_ashrrev_i32_e32 v7, 31, v6
	v_lshlrev_b64 v[4:5], 4, v[4:5]
	s_add_i32 s25, s25, s1
	s_mul_i32 s24, s24, s8
	v_ashrrev_i32_e32 v3, 31, v2
	s_lshl_b64 s[24:25], s[24:25], 4
	v_lshlrev_b64 v[6:7], 4, v[6:7]
	v_add_co_u32 v10, s1, v4, s24
	v_add_co_ci_u32_e64 v11, null, s25, v5, s1
	v_lshlrev_b64 v[4:5], 4, v[8:9]
	v_add_co_u32 v6, s1, v10, v6
	s_lshl_b64 s[20:21], s[20:21], 4
	v_cmp_gt_i32_e64 s0, s10, v2
	v_lshlrev_b64 v[2:3], 4, v[2:3]
	v_add_co_ci_u32_e64 v7, null, v11, v7, s1
	v_add_co_u32 v4, s1, s20, v4
	v_add_co_ci_u32_e64 v5, null, s21, v5, s1
	v_add_co_u32 v6, s1, s2, v6
	;; [unrolled: 2-line block ×3, first 2 shown]
	v_add_co_ci_u32_e64 v3, null, v5, v3, s1
	v_mov_b32_e32 v10, 0
	v_add_co_u32 v8, s1, s26, v2
	v_mov_b32_e32 v12, 0
	v_mov_b32_e32 v20, 0
	;; [unrolled: 1-line block ×7, first 2 shown]
	v_lshlrev_b32_e32 v30, 4, v0
	v_lshl_add_u32 v31, v1, 7, 0x1000
	v_add_co_ci_u32_e64 v9, null, s27, v3, s1
	v_mov_b32_e32 v11, 0
	v_mov_b32_e32 v13, 0
	v_mov_b32_e32 v21, 0
	v_mov_b32_e32 v19, 0
	v_mov_b32_e32 v17, 0
	v_mov_b32_e32 v15, 0
	v_mov_b32_e32 v25, 0
	v_mov_b32_e32 v23, 0
	v_mov_b32_e32 v2, 0
	s_ashr_i32 s35, s34, 31
	s_ashr_i32 s7, s6, 31
	s_lshl_b64 s[2:3], s[34:35], 7
	s_lshl_b64 s[6:7], s[6:7], 7
	s_xor_b32 s1, vcc_lo, -1
	s_xor_b32 s0, s0, -1
	s_branch .LBB109_7
.LBB109_6:                              ;   in Loop: Header=BB109_7 Depth=1
	s_or_b32 exec_lo, exec_lo, s20
	s_waitcnt lgkmcnt(0)
	s_barrier
	buffer_gl0_inv
	ds_read_b128 v[32:35], v31
	ds_read_b128 v[36:39], v31 offset:16
	ds_read_b128 v[40:43], v31 offset:32
	;; [unrolled: 1-line block ×3, first 2 shown]
	ds_read_b128 v[48:51], v30
	v_add_co_u32 v6, vcc_lo, v6, s2
	v_add_co_ci_u32_e64 v7, null, s3, v7, vcc_lo
	v_add_co_u32 v8, vcc_lo, v8, s6
	v_add_co_ci_u32_e64 v9, null, s7, v9, vcc_lo
	s_add_i32 s30, s30, 8
	s_cmp_lt_i32 s30, s11
	s_waitcnt lgkmcnt(0)
	v_mul_f64 v[3:4], v[34:35], v[50:51]
	v_mul_f64 v[52:53], v[32:33], v[50:51]
	v_fma_f64 v[3:4], v[32:33], v[48:49], -v[3:4]
	v_fma_f64 v[52:53], v[34:35], v[48:49], v[52:53]
	v_add_f64 v[3:4], v[22:23], v[3:4]
	v_add_f64 v[52:53], v[52:53], v[24:25]
	ds_read_b128 v[22:25], v30 offset:256
	s_waitcnt lgkmcnt(0)
	v_mul_f64 v[54:55], v[34:35], v[24:25]
	v_fma_f64 v[54:55], v[32:33], v[22:23], -v[54:55]
	v_mul_f64 v[32:33], v[32:33], v[24:25]
	v_fma_f64 v[32:33], v[34:35], v[22:23], v[32:33]
	v_add_f64 v[34:35], v[14:15], v[54:55]
	v_add_f64 v[32:33], v[32:33], v[16:17]
	ds_read_b128 v[14:17], v31 offset:2048
	s_waitcnt lgkmcnt(0)
	v_mul_f64 v[54:55], v[16:17], v[50:51]
	v_mul_f64 v[50:51], v[14:15], v[50:51]
	v_fma_f64 v[54:55], v[14:15], v[48:49], -v[54:55]
	v_fma_f64 v[48:49], v[16:17], v[48:49], v[50:51]
	v_add_f64 v[50:51], v[18:19], v[54:55]
	v_mul_f64 v[18:19], v[16:17], v[24:25]
	v_add_f64 v[48:49], v[48:49], v[20:21]
	v_fma_f64 v[18:19], v[14:15], v[22:23], -v[18:19]
	v_mul_f64 v[14:15], v[14:15], v[24:25]
	v_fma_f64 v[14:15], v[16:17], v[22:23], v[14:15]
	v_add_f64 v[22:23], v[12:13], v[18:19]
	v_add_f64 v[24:25], v[14:15], v[10:11]
	ds_read_b128 v[10:13], v30 offset:512
	s_waitcnt lgkmcnt(0)
	v_mul_f64 v[14:15], v[38:39], v[12:13]
	v_mul_f64 v[16:17], v[36:37], v[12:13]
	v_fma_f64 v[14:15], v[36:37], v[10:11], -v[14:15]
	v_fma_f64 v[16:17], v[38:39], v[10:11], v[16:17]
	v_add_f64 v[3:4], v[3:4], v[14:15]
	v_add_f64 v[52:53], v[16:17], v[52:53]
	ds_read_b128 v[14:17], v30 offset:768
	s_waitcnt lgkmcnt(0)
	v_mul_f64 v[18:19], v[38:39], v[16:17]
	v_mul_f64 v[20:21], v[36:37], v[16:17]
	v_fma_f64 v[18:19], v[36:37], v[14:15], -v[18:19]
	;; [unrolled: 8-line block ×3, first 2 shown]
	v_fma_f64 v[10:11], v[20:21], v[10:11], v[12:13]
	v_mul_f64 v[12:13], v[18:19], v[16:17]
	v_add_f64 v[36:37], v[50:51], v[36:37]
	v_add_f64 v[38:39], v[10:11], v[48:49]
	v_mul_f64 v[10:11], v[20:21], v[16:17]
	v_fma_f64 v[12:13], v[20:21], v[14:15], v[12:13]
	v_fma_f64 v[10:11], v[18:19], v[14:15], -v[10:11]
	v_add_f64 v[24:25], v[12:13], v[24:25]
	v_add_f64 v[22:23], v[22:23], v[10:11]
	ds_read_b128 v[10:13], v30 offset:1024
	s_waitcnt lgkmcnt(0)
	v_mul_f64 v[14:15], v[42:43], v[12:13]
	v_mul_f64 v[16:17], v[40:41], v[12:13]
	v_fma_f64 v[14:15], v[40:41], v[10:11], -v[14:15]
	v_fma_f64 v[16:17], v[42:43], v[10:11], v[16:17]
	v_add_f64 v[3:4], v[3:4], v[14:15]
	v_add_f64 v[48:49], v[16:17], v[52:53]
	ds_read_b128 v[14:17], v30 offset:1280
	s_waitcnt lgkmcnt(0)
	v_mul_f64 v[18:19], v[42:43], v[16:17]
	v_mul_f64 v[20:21], v[40:41], v[16:17]
	v_fma_f64 v[18:19], v[40:41], v[14:15], -v[18:19]
	v_fma_f64 v[20:21], v[42:43], v[14:15], v[20:21]
	;; [unrolled: 8-line block ×3, first 2 shown]
	v_mul_f64 v[12:13], v[18:19], v[16:17]
	v_add_f64 v[36:37], v[36:37], v[40:41]
	v_add_f64 v[38:39], v[10:11], v[38:39]
	v_mul_f64 v[10:11], v[20:21], v[16:17]
	v_fma_f64 v[12:13], v[20:21], v[14:15], v[12:13]
	v_fma_f64 v[10:11], v[18:19], v[14:15], -v[10:11]
	v_add_f64 v[24:25], v[12:13], v[24:25]
	v_add_f64 v[22:23], v[22:23], v[10:11]
	ds_read_b128 v[10:13], v30 offset:1536
	s_waitcnt lgkmcnt(0)
	v_mul_f64 v[14:15], v[46:47], v[12:13]
	v_mul_f64 v[16:17], v[44:45], v[12:13]
	v_fma_f64 v[14:15], v[44:45], v[10:11], -v[14:15]
	v_fma_f64 v[16:17], v[46:47], v[10:11], v[16:17]
	v_add_f64 v[3:4], v[3:4], v[14:15]
	v_add_f64 v[40:41], v[16:17], v[48:49]
	ds_read_b128 v[14:17], v30 offset:1792
	s_waitcnt lgkmcnt(0)
	v_mul_f64 v[18:19], v[46:47], v[16:17]
	v_mul_f64 v[20:21], v[44:45], v[16:17]
	v_fma_f64 v[18:19], v[44:45], v[14:15], -v[18:19]
	v_fma_f64 v[20:21], v[46:47], v[14:15], v[20:21]
	;; [unrolled: 8-line block ×3, first 2 shown]
	v_mul_f64 v[12:13], v[18:19], v[16:17]
	v_add_f64 v[36:37], v[36:37], v[42:43]
	v_add_f64 v[38:39], v[10:11], v[38:39]
	v_mul_f64 v[10:11], v[20:21], v[16:17]
	v_fma_f64 v[12:13], v[20:21], v[14:15], v[12:13]
	v_fma_f64 v[10:11], v[18:19], v[14:15], -v[10:11]
	v_add_f64 v[24:25], v[12:13], v[24:25]
	v_add_f64 v[22:23], v[22:23], v[10:11]
	ds_read_b128 v[10:13], v31 offset:64
	ds_read_b128 v[14:17], v30 offset:2048
	s_waitcnt lgkmcnt(0)
	v_mul_f64 v[18:19], v[12:13], v[16:17]
	v_mul_f64 v[20:21], v[10:11], v[16:17]
	v_fma_f64 v[18:19], v[10:11], v[14:15], -v[18:19]
	v_fma_f64 v[20:21], v[12:13], v[14:15], v[20:21]
	v_add_f64 v[3:4], v[3:4], v[18:19]
	v_add_f64 v[40:41], v[20:21], v[40:41]
	ds_read_b128 v[18:21], v30 offset:2304
	s_waitcnt lgkmcnt(0)
	v_mul_f64 v[42:43], v[12:13], v[20:21]
	v_fma_f64 v[42:43], v[10:11], v[18:19], -v[42:43]
	v_mul_f64 v[10:11], v[10:11], v[20:21]
	v_add_f64 v[34:35], v[34:35], v[42:43]
	v_fma_f64 v[10:11], v[12:13], v[18:19], v[10:11]
	v_add_f64 v[32:33], v[10:11], v[32:33]
	ds_read_b128 v[10:13], v31 offset:2112
	s_waitcnt lgkmcnt(0)
	v_mul_f64 v[42:43], v[12:13], v[16:17]
	v_mul_f64 v[16:17], v[10:11], v[16:17]
	v_fma_f64 v[42:43], v[10:11], v[14:15], -v[42:43]
	v_fma_f64 v[14:15], v[12:13], v[14:15], v[16:17]
	v_add_f64 v[36:37], v[36:37], v[42:43]
	v_add_f64 v[38:39], v[14:15], v[38:39]
	v_mul_f64 v[14:15], v[12:13], v[20:21]
	v_fma_f64 v[14:15], v[10:11], v[18:19], -v[14:15]
	v_mul_f64 v[10:11], v[10:11], v[20:21]
	v_add_f64 v[22:23], v[22:23], v[14:15]
	v_fma_f64 v[10:11], v[12:13], v[18:19], v[10:11]
	v_add_f64 v[24:25], v[10:11], v[24:25]
	ds_read_b128 v[10:13], v31 offset:80
	ds_read_b128 v[14:17], v30 offset:2560
	s_waitcnt lgkmcnt(0)
	v_mul_f64 v[18:19], v[12:13], v[16:17]
	v_mul_f64 v[20:21], v[10:11], v[16:17]
	v_fma_f64 v[18:19], v[10:11], v[14:15], -v[18:19]
	v_fma_f64 v[20:21], v[12:13], v[14:15], v[20:21]
	v_add_f64 v[3:4], v[3:4], v[18:19]
	v_add_f64 v[40:41], v[20:21], v[40:41]
	ds_read_b128 v[18:21], v30 offset:2816
	s_waitcnt lgkmcnt(0)
	v_mul_f64 v[42:43], v[12:13], v[20:21]
	v_fma_f64 v[42:43], v[10:11], v[18:19], -v[42:43]
	v_mul_f64 v[10:11], v[10:11], v[20:21]
	v_add_f64 v[34:35], v[34:35], v[42:43]
	v_fma_f64 v[10:11], v[12:13], v[18:19], v[10:11]
	v_add_f64 v[32:33], v[10:11], v[32:33]
	ds_read_b128 v[10:13], v31 offset:2128
	s_waitcnt lgkmcnt(0)
	v_mul_f64 v[42:43], v[12:13], v[16:17]
	v_mul_f64 v[16:17], v[10:11], v[16:17]
	v_fma_f64 v[42:43], v[10:11], v[14:15], -v[42:43]
	v_fma_f64 v[14:15], v[12:13], v[14:15], v[16:17]
	v_add_f64 v[36:37], v[36:37], v[42:43]
	v_add_f64 v[38:39], v[14:15], v[38:39]
	v_mul_f64 v[14:15], v[12:13], v[20:21]
	v_fma_f64 v[14:15], v[10:11], v[18:19], -v[14:15]
	v_mul_f64 v[10:11], v[10:11], v[20:21]
	v_add_f64 v[22:23], v[22:23], v[14:15]
	v_fma_f64 v[10:11], v[12:13], v[18:19], v[10:11]
	;; [unrolled: 31-line block ×3, first 2 shown]
	v_add_f64 v[48:49], v[10:11], v[24:25]
	ds_read_b128 v[10:13], v31 offset:112
	ds_read_b128 v[18:21], v30 offset:3584
	ds_read_b128 v[32:35], v30 offset:3840
	s_waitcnt lgkmcnt(1)
	v_mul_f64 v[14:15], v[12:13], v[20:21]
	v_mul_f64 v[16:17], v[10:11], v[20:21]
	v_fma_f64 v[14:15], v[10:11], v[18:19], -v[14:15]
	v_fma_f64 v[16:17], v[12:13], v[18:19], v[16:17]
	v_add_f64 v[22:23], v[3:4], v[14:15]
	s_waitcnt lgkmcnt(0)
	v_mul_f64 v[3:4], v[12:13], v[34:35]
	v_add_f64 v[24:25], v[16:17], v[40:41]
	v_fma_f64 v[3:4], v[10:11], v[32:33], -v[3:4]
	v_mul_f64 v[10:11], v[10:11], v[34:35]
	v_add_f64 v[14:15], v[42:43], v[3:4]
	v_fma_f64 v[10:11], v[12:13], v[32:33], v[10:11]
	v_add_f64 v[16:17], v[10:11], v[44:45]
	ds_read_b128 v[10:13], v31 offset:2160
	s_waitcnt lgkmcnt(0)
	s_barrier
	buffer_gl0_inv
	v_mul_f64 v[3:4], v[12:13], v[20:21]
	v_mul_f64 v[20:21], v[10:11], v[20:21]
	v_fma_f64 v[3:4], v[10:11], v[18:19], -v[3:4]
	v_fma_f64 v[20:21], v[12:13], v[18:19], v[20:21]
	v_add_f64 v[18:19], v[36:37], v[3:4]
	v_mul_f64 v[3:4], v[12:13], v[34:35]
	v_add_f64 v[20:21], v[20:21], v[38:39]
	v_fma_f64 v[3:4], v[10:11], v[32:33], -v[3:4]
	v_mul_f64 v[10:11], v[10:11], v[34:35]
	v_fma_f64 v[10:11], v[12:13], v[32:33], v[10:11]
	v_add_f64 v[12:13], v[46:47], v[3:4]
	v_add_f64 v[10:11], v[10:11], v[48:49]
	s_cbranch_scc0 .LBB109_15
.LBB109_7:                              ; =>This Inner Loop Header: Depth=1
	v_add_nc_u32_e32 v3, s30, v27
	v_cmp_le_i32_e32 vcc_lo, s11, v3
	s_or_b32 s20, s1, vcc_lo
	s_and_saveexec_b32 s21, s20
	s_xor_b32 s20, exec_lo, s21
	s_cbranch_execz .LBB109_9
; %bb.8:                                ;   in Loop: Header=BB109_7 Depth=1
	v_mov_b32_e32 v3, v2
	v_mov_b32_e32 v4, v2
	;; [unrolled: 1-line block ×3, first 2 shown]
	ds_write_b128 v28, v[2:5]
.LBB109_9:                              ;   in Loop: Header=BB109_7 Depth=1
	s_andn2_saveexec_b32 s20, s20
	s_cbranch_execz .LBB109_11
; %bb.10:                               ;   in Loop: Header=BB109_7 Depth=1
	global_load_dwordx4 v[32:35], v[6:7], off
	s_waitcnt vmcnt(0)
	ds_write2_b64 v28, v[32:33], v[34:35] offset1:1
.LBB109_11:                             ;   in Loop: Header=BB109_7 Depth=1
	s_or_b32 exec_lo, exec_lo, s20
	v_add_nc_u32_e32 v3, s30, v26
	v_cmp_le_i32_e32 vcc_lo, s11, v3
	s_or_b32 s20, vcc_lo, s0
	s_and_saveexec_b32 s21, s20
	s_xor_b32 s20, exec_lo, s21
	s_cbranch_execz .LBB109_13
; %bb.12:                               ;   in Loop: Header=BB109_7 Depth=1
	v_mov_b32_e32 v3, v2
	v_mov_b32_e32 v4, v2
	;; [unrolled: 1-line block ×3, first 2 shown]
	ds_write_b128 v29, v[2:5]
.LBB109_13:                             ;   in Loop: Header=BB109_7 Depth=1
	s_andn2_saveexec_b32 s20, s20
	s_cbranch_execz .LBB109_6
; %bb.14:                               ;   in Loop: Header=BB109_7 Depth=1
	global_load_dwordx4 v[32:35], v[8:9], off
	s_waitcnt vmcnt(0)
	ds_write2_b64 v29, v[32:33], v[34:35] offset1:1
	s_branch .LBB109_6
.LBB109_15:
	s_clause 0x1
	s_load_dword s2, s[4:5], 0x50
	s_load_dwordx2 s[4:5], s[4:5], 0x58
	v_cmp_neq_f64_e64 s6, s[12:13], 0
	v_add_nc_u32_e32 v27, s29, v1
	v_add_nc_u32_e32 v4, s28, v0
	v_cmp_gt_i32_e64 s0, s10, v27
	v_cmp_le_i32_e32 vcc_lo, v4, v27
	v_ashrrev_i32_e32 v5, 31, v4
	s_waitcnt lgkmcnt(0)
	v_mad_i64_i32 v[0:1], null, v27, s2, 0
	s_mul_i32 s1, s5, s8
	s_mul_hi_u32 s3, s4, s8
	s_mul_i32 s4, s4, s8
	s_add_i32 s5, s3, s1
	s_lshl_b64 s[4:5], s[4:5], 4
	v_lshlrev_b64 v[0:1], 4, v[0:1]
	s_add_u32 s3, s22, s4
	s_addc_u32 s4, s23, s5
	s_xor_b32 s5, s9, -1
	s_or_b32 s5, s6, s5
	v_add_co_u32 v8, s1, s3, v0
	v_add_co_ci_u32_e64 v9, null, s4, v1, s1
	v_cndmask_b32_e64 v26, 0, 1, s5
	s_and_b32 s6, s0, vcc_lo
	s_and_saveexec_b32 s1, s6
	s_cbranch_execz .LBB109_19
; %bb.16:
	v_mul_f64 v[0:1], s[18:19], v[24:25]
	v_mul_f64 v[2:3], s[16:17], v[24:25]
	v_lshlrev_b64 v[6:7], 4, v[4:5]
	v_add_co_u32 v6, vcc_lo, v8, v6
	v_add_co_ci_u32_e64 v7, null, v9, v7, vcc_lo
	s_andn2_b32 vcc_lo, exec_lo, s5
	v_fma_f64 v[0:1], s[16:17], v[22:23], -v[0:1]
	v_fma_f64 v[2:3], s[18:19], v[22:23], v[2:3]
	s_cbranch_vccnz .LBB109_18
; %bb.17:
	global_load_dwordx4 v[22:25], v[6:7], off
	s_waitcnt vmcnt(0)
	v_mul_f64 v[28:29], s[14:15], v[24:25]
	v_mul_f64 v[24:25], s[12:13], v[24:25]
	v_fma_f64 v[28:29], s[12:13], v[22:23], -v[28:29]
	v_fma_f64 v[22:23], s[14:15], v[22:23], v[24:25]
	v_add_f64 v[0:1], v[0:1], v[28:29]
	v_add_f64 v[2:3], v[2:3], v[22:23]
.LBB109_18:
	global_store_dwordx4 v[6:7], v[0:3], off
.LBB109_19:
	s_or_b32 exec_lo, exec_lo, s1
	v_add_nc_u32_e32 v6, 16, v4
	v_cmp_le_i32_e32 vcc_lo, v6, v27
	v_ashrrev_i32_e32 v7, 31, v6
	s_and_b32 s0, s0, vcc_lo
	s_and_saveexec_b32 s1, s0
	s_cbranch_execz .LBB109_23
; %bb.20:
	v_mul_f64 v[0:1], s[18:19], v[16:17]
	v_mul_f64 v[2:3], s[16:17], v[16:17]
	v_cmp_ne_u32_e32 vcc_lo, 1, v26
	s_and_b32 vcc_lo, exec_lo, vcc_lo
	v_fma_f64 v[0:1], s[16:17], v[14:15], -v[0:1]
	v_fma_f64 v[2:3], s[18:19], v[14:15], v[2:3]
	v_lshlrev_b64 v[14:15], 4, v[6:7]
	v_add_co_u32 v8, s0, v8, v14
	v_add_co_ci_u32_e64 v9, null, v9, v15, s0
	s_cbranch_vccnz .LBB109_22
; %bb.21:
	global_load_dwordx4 v[14:17], v[8:9], off
	s_waitcnt vmcnt(0)
	v_mul_f64 v[22:23], s[14:15], v[16:17]
	v_mul_f64 v[16:17], s[12:13], v[16:17]
	v_fma_f64 v[22:23], s[12:13], v[14:15], -v[22:23]
	v_fma_f64 v[14:15], s[14:15], v[14:15], v[16:17]
	v_add_f64 v[0:1], v[0:1], v[22:23]
	v_add_f64 v[2:3], v[2:3], v[14:15]
.LBB109_22:
	global_store_dwordx4 v[8:9], v[0:3], off
.LBB109_23:
	s_or_b32 exec_lo, exec_lo, s1
	v_add_nc_u32_e32 v14, 16, v27
	v_mad_i64_i32 v[0:1], null, v14, s2, 0
	v_cmp_gt_i32_e64 s0, s10, v14
	v_cmp_le_i32_e32 vcc_lo, v4, v14
	v_lshlrev_b64 v[0:1], 4, v[0:1]
	v_add_co_u32 v8, s1, s3, v0
	v_add_co_ci_u32_e64 v9, null, s4, v1, s1
	s_and_b32 s1, s0, vcc_lo
	s_and_saveexec_b32 s2, s1
	s_cbranch_execz .LBB109_27
; %bb.24:
	v_mul_f64 v[0:1], s[18:19], v[20:21]
	v_mul_f64 v[2:3], s[16:17], v[20:21]
	v_lshlrev_b64 v[4:5], 4, v[4:5]
	v_cmp_ne_u32_e32 vcc_lo, 1, v26
	s_and_b32 vcc_lo, exec_lo, vcc_lo
	v_add_co_u32 v4, s1, v8, v4
	v_add_co_ci_u32_e64 v5, null, v9, v5, s1
	v_fma_f64 v[0:1], s[16:17], v[18:19], -v[0:1]
	v_fma_f64 v[2:3], s[18:19], v[18:19], v[2:3]
	s_cbranch_vccnz .LBB109_26
; %bb.25:
	global_load_dwordx4 v[15:18], v[4:5], off
	s_waitcnt vmcnt(0)
	v_mul_f64 v[19:20], s[14:15], v[17:18]
	v_mul_f64 v[17:18], s[12:13], v[17:18]
	v_fma_f64 v[19:20], s[12:13], v[15:16], -v[19:20]
	v_fma_f64 v[15:16], s[14:15], v[15:16], v[17:18]
	v_add_f64 v[0:1], v[0:1], v[19:20]
	v_add_f64 v[2:3], v[2:3], v[15:16]
.LBB109_26:
	global_store_dwordx4 v[4:5], v[0:3], off
.LBB109_27:
	s_or_b32 exec_lo, exec_lo, s2
	v_cmp_le_i32_e32 vcc_lo, v6, v14
	s_and_b32 s0, s0, vcc_lo
	s_and_saveexec_b32 s1, s0
	s_cbranch_execz .LBB109_32
; %bb.28:
	v_mul_f64 v[0:1], s[18:19], v[10:11]
	v_mul_f64 v[2:3], s[16:17], v[10:11]
	v_lshlrev_b64 v[4:5], 4, v[6:7]
	v_cmp_ne_u32_e32 vcc_lo, 1, v26
	s_and_b32 vcc_lo, exec_lo, vcc_lo
	v_add_co_u32 v4, s0, v8, v4
	v_add_co_ci_u32_e64 v5, null, v9, v5, s0
	v_fma_f64 v[0:1], s[16:17], v[12:13], -v[0:1]
	v_fma_f64 v[2:3], s[18:19], v[12:13], v[2:3]
	s_cbranch_vccnz .LBB109_30
; %bb.29:
	global_load_dwordx4 v[6:9], v[4:5], off
	s_waitcnt vmcnt(0)
	v_mul_f64 v[10:11], s[14:15], v[8:9]
	v_mul_f64 v[8:9], s[12:13], v[8:9]
	v_fma_f64 v[10:11], s[12:13], v[6:7], -v[10:11]
	v_fma_f64 v[6:7], s[14:15], v[6:7], v[8:9]
	v_add_f64 v[0:1], v[0:1], v[10:11]
	v_add_f64 v[2:3], v[2:3], v[6:7]
.LBB109_30:
	global_store_dwordx4 v[4:5], v[0:3], off
	s_endpgm
.LBB109_31:
.LBB109_32:
	s_endpgm
	.section	.rodata,"a",@progbits
	.p2align	6, 0x0
	.amdhsa_kernel _ZL29rocblas_internal_gemmt_kernelIiLi16ELi32ELi8ELc78ELc84ELc85ELb0ELb0E19rocblas_complex_numIdEPKS1_S3_PS1_EviT_T9_T10_S5_lS7_S5_lS6_T11_S5_li
		.amdhsa_group_segment_fixed_size 8192
		.amdhsa_private_segment_fixed_size 0
		.amdhsa_kernarg_size 100
		.amdhsa_user_sgpr_count 6
		.amdhsa_user_sgpr_private_segment_buffer 1
		.amdhsa_user_sgpr_dispatch_ptr 0
		.amdhsa_user_sgpr_queue_ptr 0
		.amdhsa_user_sgpr_kernarg_segment_ptr 1
		.amdhsa_user_sgpr_dispatch_id 0
		.amdhsa_user_sgpr_flat_scratch_init 0
		.amdhsa_user_sgpr_private_segment_size 0
		.amdhsa_wavefront_size32 1
		.amdhsa_uses_dynamic_stack 0
		.amdhsa_system_sgpr_private_segment_wavefront_offset 0
		.amdhsa_system_sgpr_workgroup_id_x 1
		.amdhsa_system_sgpr_workgroup_id_y 1
		.amdhsa_system_sgpr_workgroup_id_z 1
		.amdhsa_system_sgpr_workgroup_info 0
		.amdhsa_system_vgpr_workitem_id 1
		.amdhsa_next_free_vgpr 56
		.amdhsa_next_free_sgpr 36
		.amdhsa_reserve_vcc 1
		.amdhsa_reserve_flat_scratch 0
		.amdhsa_float_round_mode_32 0
		.amdhsa_float_round_mode_16_64 0
		.amdhsa_float_denorm_mode_32 3
		.amdhsa_float_denorm_mode_16_64 3
		.amdhsa_dx10_clamp 1
		.amdhsa_ieee_mode 1
		.amdhsa_fp16_overflow 0
		.amdhsa_workgroup_processor_mode 1
		.amdhsa_memory_ordered 1
		.amdhsa_forward_progress 1
		.amdhsa_shared_vgpr_count 0
		.amdhsa_exception_fp_ieee_invalid_op 0
		.amdhsa_exception_fp_denorm_src 0
		.amdhsa_exception_fp_ieee_div_zero 0
		.amdhsa_exception_fp_ieee_overflow 0
		.amdhsa_exception_fp_ieee_underflow 0
		.amdhsa_exception_fp_ieee_inexact 0
		.amdhsa_exception_int_div_zero 0
	.end_amdhsa_kernel
	.section	.text._ZL29rocblas_internal_gemmt_kernelIiLi16ELi32ELi8ELc78ELc84ELc85ELb0ELb0E19rocblas_complex_numIdEPKS1_S3_PS1_EviT_T9_T10_S5_lS7_S5_lS6_T11_S5_li,"axG",@progbits,_ZL29rocblas_internal_gemmt_kernelIiLi16ELi32ELi8ELc78ELc84ELc85ELb0ELb0E19rocblas_complex_numIdEPKS1_S3_PS1_EviT_T9_T10_S5_lS7_S5_lS6_T11_S5_li,comdat
.Lfunc_end109:
	.size	_ZL29rocblas_internal_gemmt_kernelIiLi16ELi32ELi8ELc78ELc84ELc85ELb0ELb0E19rocblas_complex_numIdEPKS1_S3_PS1_EviT_T9_T10_S5_lS7_S5_lS6_T11_S5_li, .Lfunc_end109-_ZL29rocblas_internal_gemmt_kernelIiLi16ELi32ELi8ELc78ELc84ELc85ELb0ELb0E19rocblas_complex_numIdEPKS1_S3_PS1_EviT_T9_T10_S5_lS7_S5_lS6_T11_S5_li
                                        ; -- End function
	.set _ZL29rocblas_internal_gemmt_kernelIiLi16ELi32ELi8ELc78ELc84ELc85ELb0ELb0E19rocblas_complex_numIdEPKS1_S3_PS1_EviT_T9_T10_S5_lS7_S5_lS6_T11_S5_li.num_vgpr, 56
	.set _ZL29rocblas_internal_gemmt_kernelIiLi16ELi32ELi8ELc78ELc84ELc85ELb0ELb0E19rocblas_complex_numIdEPKS1_S3_PS1_EviT_T9_T10_S5_lS7_S5_lS6_T11_S5_li.num_agpr, 0
	.set _ZL29rocblas_internal_gemmt_kernelIiLi16ELi32ELi8ELc78ELc84ELc85ELb0ELb0E19rocblas_complex_numIdEPKS1_S3_PS1_EviT_T9_T10_S5_lS7_S5_lS6_T11_S5_li.numbered_sgpr, 36
	.set _ZL29rocblas_internal_gemmt_kernelIiLi16ELi32ELi8ELc78ELc84ELc85ELb0ELb0E19rocblas_complex_numIdEPKS1_S3_PS1_EviT_T9_T10_S5_lS7_S5_lS6_T11_S5_li.num_named_barrier, 0
	.set _ZL29rocblas_internal_gemmt_kernelIiLi16ELi32ELi8ELc78ELc84ELc85ELb0ELb0E19rocblas_complex_numIdEPKS1_S3_PS1_EviT_T9_T10_S5_lS7_S5_lS6_T11_S5_li.private_seg_size, 0
	.set _ZL29rocblas_internal_gemmt_kernelIiLi16ELi32ELi8ELc78ELc84ELc85ELb0ELb0E19rocblas_complex_numIdEPKS1_S3_PS1_EviT_T9_T10_S5_lS7_S5_lS6_T11_S5_li.uses_vcc, 1
	.set _ZL29rocblas_internal_gemmt_kernelIiLi16ELi32ELi8ELc78ELc84ELc85ELb0ELb0E19rocblas_complex_numIdEPKS1_S3_PS1_EviT_T9_T10_S5_lS7_S5_lS6_T11_S5_li.uses_flat_scratch, 0
	.set _ZL29rocblas_internal_gemmt_kernelIiLi16ELi32ELi8ELc78ELc84ELc85ELb0ELb0E19rocblas_complex_numIdEPKS1_S3_PS1_EviT_T9_T10_S5_lS7_S5_lS6_T11_S5_li.has_dyn_sized_stack, 0
	.set _ZL29rocblas_internal_gemmt_kernelIiLi16ELi32ELi8ELc78ELc84ELc85ELb0ELb0E19rocblas_complex_numIdEPKS1_S3_PS1_EviT_T9_T10_S5_lS7_S5_lS6_T11_S5_li.has_recursion, 0
	.set _ZL29rocblas_internal_gemmt_kernelIiLi16ELi32ELi8ELc78ELc84ELc85ELb0ELb0E19rocblas_complex_numIdEPKS1_S3_PS1_EviT_T9_T10_S5_lS7_S5_lS6_T11_S5_li.has_indirect_call, 0
	.section	.AMDGPU.csdata,"",@progbits
; Kernel info:
; codeLenInByte = 3588
; TotalNumSgprs: 38
; NumVgprs: 56
; ScratchSize: 0
; MemoryBound: 0
; FloatMode: 240
; IeeeMode: 1
; LDSByteSize: 8192 bytes/workgroup (compile time only)
; SGPRBlocks: 0
; VGPRBlocks: 6
; NumSGPRsForWavesPerEU: 38
; NumVGPRsForWavesPerEU: 56
; Occupancy: 16
; WaveLimiterHint : 0
; COMPUTE_PGM_RSRC2:SCRATCH_EN: 0
; COMPUTE_PGM_RSRC2:USER_SGPR: 6
; COMPUTE_PGM_RSRC2:TRAP_HANDLER: 0
; COMPUTE_PGM_RSRC2:TGID_X_EN: 1
; COMPUTE_PGM_RSRC2:TGID_Y_EN: 1
; COMPUTE_PGM_RSRC2:TGID_Z_EN: 1
; COMPUTE_PGM_RSRC2:TIDIG_COMP_CNT: 1
	.section	.text._ZL29rocblas_internal_gemmt_kernelIiLi16ELi32ELi8ELc78ELc67ELc85ELb0ELb1E19rocblas_complex_numIdEPKS1_S3_PS1_EviT_T9_T10_S5_lS7_S5_lS6_T11_S5_li,"axG",@progbits,_ZL29rocblas_internal_gemmt_kernelIiLi16ELi32ELi8ELc78ELc67ELc85ELb0ELb1E19rocblas_complex_numIdEPKS1_S3_PS1_EviT_T9_T10_S5_lS7_S5_lS6_T11_S5_li,comdat
	.globl	_ZL29rocblas_internal_gemmt_kernelIiLi16ELi32ELi8ELc78ELc67ELc85ELb0ELb1E19rocblas_complex_numIdEPKS1_S3_PS1_EviT_T9_T10_S5_lS7_S5_lS6_T11_S5_li ; -- Begin function _ZL29rocblas_internal_gemmt_kernelIiLi16ELi32ELi8ELc78ELc67ELc85ELb0ELb1E19rocblas_complex_numIdEPKS1_S3_PS1_EviT_T9_T10_S5_lS7_S5_lS6_T11_S5_li
	.p2align	8
	.type	_ZL29rocblas_internal_gemmt_kernelIiLi16ELi32ELi8ELc78ELc67ELc85ELb0ELb1E19rocblas_complex_numIdEPKS1_S3_PS1_EviT_T9_T10_S5_lS7_S5_lS6_T11_S5_li,@function
_ZL29rocblas_internal_gemmt_kernelIiLi16ELi32ELi8ELc78ELc67ELc85ELb0ELb1E19rocblas_complex_numIdEPKS1_S3_PS1_EviT_T9_T10_S5_lS7_S5_lS6_T11_S5_li: ; @_ZL29rocblas_internal_gemmt_kernelIiLi16ELi32ELi8ELc78ELc67ELc85ELb0ELb1E19rocblas_complex_numIdEPKS1_S3_PS1_EviT_T9_T10_S5_lS7_S5_lS6_T11_S5_li
; %bb.0:
	s_load_dwordx4 s[20:23], s[4:5], 0x38
	s_waitcnt lgkmcnt(0)
	s_load_dwordx4 s[12:15], s[22:23], 0x0
	s_clause 0x1
	s_load_dwordx4 s[0:3], s[4:5], 0x8
	s_load_dwordx2 s[10:11], s[4:5], 0x0
	s_waitcnt lgkmcnt(0)
	s_load_dwordx4 s[16:19], s[0:1], 0x0
	v_cmp_eq_f64_e64 s22, s[12:13], 1.0
	v_cmp_eq_f64_e64 s9, s[14:15], 0
	s_and_b32 s0, s22, s9
	s_andn2_b32 vcc_lo, exec_lo, s0
	s_mov_b32 s0, -1
	s_cbranch_vccnz .LBB110_3
; %bb.1:
	s_cmp_lg_u32 s11, 0
	s_cbranch_scc0 .LBB110_29
; %bb.2:
	s_waitcnt lgkmcnt(0)
	v_cmp_neq_f64_e64 s0, s[16:17], 0
	v_cmp_neq_f64_e64 s1, s[18:19], 0
	s_or_b32 s0, s0, s1
.LBB110_3:
	s_and_b32 vcc_lo, exec_lo, s0
	s_cbranch_vccz .LBB110_30
; %bb.4:
	s_waitcnt lgkmcnt(0)
	v_cmp_eq_f64_e64 s0, s[16:17], 0
	v_cmp_eq_f64_e64 s1, s[18:19], 0
	s_load_dwordx2 s[22:23], s[4:5], 0x48
	s_lshl_b32 s30, s6, 5
	s_lshl_b32 s31, s7, 5
	v_mov_b32_e32 v23, 0
	v_mov_b32_e32 v25, 0
	;; [unrolled: 1-line block ×16, first 2 shown]
	s_mov_b32 s33, 0
	s_and_b32 s0, s0, s1
	s_cmp_lt_i32 s11, 1
	s_cselect_b32 s1, -1, 0
	s_or_b32 s0, s0, s1
	s_and_b32 vcc_lo, exec_lo, s0
	s_cbranch_vccnz .LBB110_13
; %bb.5:
	s_load_dword s6, s[4:5], 0x18
	v_lshl_add_u32 v2, v1, 4, v0
	s_clause 0x1
	s_load_dword s28, s[4:5], 0x30
	s_load_dwordx4 s[24:27], s[4:5], 0x20
	v_and_b32_e32 v27, 7, v0
	s_mul_i32 s21, s21, s8
	s_mul_hi_u32 s34, s20, s8
	v_and_b32_e32 v6, 31, v2
	v_lshrrev_b32_e32 v3, 3, v2
	v_lshlrev_b32_e32 v4, 4, v27
	v_lshrrev_b32_e32 v29, 5, v2
	s_add_i32 s21, s34, s21
	v_or_b32_e32 v5, s30, v6
	v_add_nc_u32_e32 v2, s31, v3
	v_lshl_or_b32 v3, v3, 7, v4
	v_lshlrev_b32_e32 v7, 4, v6
	v_add_nc_u32_e32 v6, s30, v6
	v_cmp_gt_i32_e64 s0, s10, v5
	s_mul_i32 s20, s20, s8
	v_add_nc_u32_e32 v32, 0x1000, v3
	v_lshl_or_b32 v31, v29, 9, v7
	s_waitcnt lgkmcnt(0)
	v_mad_i64_i32 v[4:5], null, v29, s6, 0
	s_mul_i32 s1, s25, s8
	s_mul_hi_u32 s25, s24, s8
	v_mad_i64_i32 v[7:8], null, s28, v27, 0
	s_mul_i32 s24, s24, s8
	s_add_i32 s25, s25, s1
	v_lshlrev_b64 v[4:5], 4, v[4:5]
	s_lshl_b64 s[24:25], s[24:25], 4
	v_ashrrev_i32_e32 v3, 31, v2
	s_lshl_b64 s[20:21], s[20:21], 4
	v_cmp_gt_i32_e32 vcc_lo, s10, v2
	v_mov_b32_e32 v17, 0
	v_add_co_u32 v9, s1, v4, s24
	v_add_co_ci_u32_e64 v10, null, s25, v5, s1
	v_lshlrev_b64 v[4:5], 4, v[7:8]
	v_ashrrev_i32_e32 v7, 31, v6
	v_lshlrev_b64 v[2:3], 4, v[2:3]
	v_mov_b32_e32 v15, 0
	v_mov_b32_e32 v21, 0
	;; [unrolled: 1-line block ×3, first 2 shown]
	v_add_co_u32 v8, s1, s20, v4
	v_add_co_ci_u32_e64 v11, null, s21, v5, s1
	v_lshlrev_b64 v[4:5], 4, v[6:7]
	v_add_co_u32 v2, s1, v8, v2
	v_add_co_ci_u32_e64 v3, null, v11, v3, s1
	v_mov_b32_e32 v7, 0
	v_add_co_u32 v4, s1, v9, v4
	v_add_co_ci_u32_e64 v5, null, v10, v5, s1
	v_add_co_u32 v2, s1, s26, v2
	v_add_co_ci_u32_e64 v3, null, s27, v3, s1
	;; [unrolled: 2-line block ×3, first 2 shown]
	v_add_co_u32 v13, s1, v2, 8
	v_mov_b32_e32 v9, 0
	v_mov_b32_e32 v25, 0
	;; [unrolled: 1-line block ×3, first 2 shown]
	v_lshlrev_b32_e32 v28, 4, v0
	v_lshl_add_u32 v30, v1, 7, 0x1000
	v_add_co_ci_u32_e64 v14, null, 0, v3, s1
	v_mov_b32_e32 v8, 0
	v_mov_b32_e32 v10, 0
	v_mov_b32_e32 v18, 0
	v_mov_b32_e32 v16, 0
	v_mov_b32_e32 v22, 0
	v_mov_b32_e32 v20, 0
	v_mov_b32_e32 v26, 0
	v_mov_b32_e32 v24, 0
	v_mov_b32_e32 v2, 0
	s_ashr_i32 s7, s6, 31
	s_ashr_i32 s29, s28, 31
	s_lshl_b64 s[2:3], s[6:7], 7
	s_lshl_b64 s[6:7], s[28:29], 7
	s_xor_b32 s1, s0, -1
	s_branch .LBB110_7
.LBB110_6:                              ;   in Loop: Header=BB110_7 Depth=1
	s_or_b32 exec_lo, exec_lo, s0
	ds_write_b128 v32, v[3:6]
	s_waitcnt lgkmcnt(0)
	s_barrier
	buffer_gl0_inv
	ds_read_b128 v[3:6], v30
	ds_read_b128 v[33:36], v28
	ds_read_b128 v[37:40], v28 offset:256
	ds_read_b128 v[41:44], v30 offset:2048
	ds_read_b128 v[45:48], v30 offset:16
	ds_read_b128 v[49:52], v28 offset:512
	ds_read_b128 v[53:56], v28 offset:768
	ds_read_b128 v[57:60], v30 offset:2064
	ds_read_b128 v[61:64], v30 offset:32
	ds_read_b128 v[65:68], v28 offset:1024
	ds_read_b128 v[69:72], v28 offset:1280
	ds_read_b128 v[73:76], v30 offset:2080
	ds_read_b128 v[77:80], v30 offset:48
	ds_read_b128 v[81:84], v30 offset:2096
	v_add_co_u32 v11, s0, v11, s2
	v_add_co_ci_u32_e64 v12, null, s3, v12, s0
	v_add_co_u32 v13, s0, v13, s6
	v_add_co_ci_u32_e64 v14, null, s7, v14, s0
	s_waitcnt lgkmcnt(12)
	v_mul_f64 v[85:86], v[5:6], v[35:36]
	v_mul_f64 v[87:88], v[3:4], v[35:36]
	s_waitcnt lgkmcnt(11)
	v_mul_f64 v[89:90], v[5:6], v[39:40]
	v_mul_f64 v[91:92], v[3:4], v[39:40]
	;; [unrolled: 3-line block ×3, first 2 shown]
	v_mul_f64 v[95:96], v[43:44], v[39:40]
	v_mul_f64 v[39:40], v[41:42], v[39:40]
	s_waitcnt lgkmcnt(8)
	v_mul_f64 v[97:98], v[47:48], v[51:52]
	v_mul_f64 v[99:100], v[45:46], v[51:52]
	s_waitcnt lgkmcnt(7)
	;; [unrolled: 3-line block ×3, first 2 shown]
	v_mul_f64 v[105:106], v[59:60], v[51:52]
	v_mul_f64 v[51:52], v[57:58], v[51:52]
	;; [unrolled: 1-line block ×4, first 2 shown]
	s_waitcnt lgkmcnt(4)
	v_mul_f64 v[109:110], v[63:64], v[67:68]
	v_mul_f64 v[111:112], v[61:62], v[67:68]
	s_waitcnt lgkmcnt(3)
	v_mul_f64 v[113:114], v[63:64], v[71:72]
	v_mul_f64 v[115:116], v[61:62], v[71:72]
	;; [unrolled: 3-line block ×3, first 2 shown]
	v_fma_f64 v[85:86], v[3:4], v[33:34], -v[85:86]
	v_fma_f64 v[87:88], v[5:6], v[33:34], v[87:88]
	v_fma_f64 v[89:90], v[3:4], v[37:38], -v[89:90]
	v_fma_f64 v[91:92], v[5:6], v[37:38], v[91:92]
	v_fma_f64 v[93:94], v[41:42], v[33:34], -v[93:94]
	v_fma_f64 v[119:120], v[43:44], v[33:34], v[35:36]
	v_fma_f64 v[95:96], v[41:42], v[37:38], -v[95:96]
	v_fma_f64 v[121:122], v[43:44], v[37:38], v[39:40]
	v_mul_f64 v[123:124], v[75:76], v[71:72]
	v_mul_f64 v[71:72], v[73:74], v[71:72]
	v_fma_f64 v[97:98], v[45:46], v[49:50], -v[97:98]
	v_fma_f64 v[99:100], v[47:48], v[49:50], v[99:100]
	v_fma_f64 v[101:102], v[45:46], v[53:54], -v[101:102]
	v_fma_f64 v[103:104], v[47:48], v[53:54], v[103:104]
	;; [unrolled: 2-line block ×7, first 2 shown]
	v_add_f64 v[23:24], v[23:24], v[85:86]
	v_add_f64 v[25:26], v[87:88], v[25:26]
	;; [unrolled: 1-line block ×6, first 2 shown]
	v_fma_f64 v[73:74], v[73:74], v[69:70], -v[123:124]
	v_fma_f64 v[69:70], v[75:76], v[69:70], v[71:72]
	v_add_f64 v[71:72], v[15:16], v[93:94]
	v_add_f64 v[75:76], v[119:120], v[17:18]
	ds_read_b128 v[3:6], v28 offset:1536
	ds_read_b128 v[33:36], v28 offset:1792
	;; [unrolled: 1-line block ×7, first 2 shown]
	s_add_i32 s33, s33, 8
	s_cmp_lt_i32 s33, s11
	v_add_f64 v[97:98], v[23:24], v[97:98]
	v_add_f64 v[99:100], v[99:100], v[25:26]
	;; [unrolled: 1-line block ×6, first 2 shown]
	ds_read_b128 v[19:22], v28 offset:2560
	ds_read_b128 v[23:26], v28 offset:2816
	s_waitcnt lgkmcnt(8)
	v_mul_f64 v[109:110], v[79:80], v[5:6]
	v_mul_f64 v[111:112], v[77:78], v[5:6]
	s_waitcnt lgkmcnt(7)
	v_mul_f64 v[67:68], v[79:80], v[35:36]
	v_mul_f64 v[113:114], v[77:78], v[35:36]
	;; [unrolled: 1-line block ×6, first 2 shown]
	s_waitcnt lgkmcnt(4)
	v_mul_f64 v[95:96], v[39:40], v[47:48]
	v_add_f64 v[71:72], v[71:72], v[105:106]
	v_add_f64 v[75:76], v[125:126], v[75:76]
	v_mul_f64 v[93:94], v[37:38], v[43:44]
	ds_read_b128 v[5:8], v30 offset:80
	v_add_f64 v[55:56], v[97:98], v[55:56]
	v_add_f64 v[59:60], v[59:60], v[99:100]
	;; [unrolled: 1-line block ×6, first 2 shown]
	s_waitcnt lgkmcnt(2)
	v_mul_f64 v[99:100], v[17:18], v[21:22]
	s_waitcnt lgkmcnt(1)
	v_mul_f64 v[101:102], v[17:18], v[25:26]
	v_fma_f64 v[89:90], v[77:78], v[3:4], -v[109:110]
	v_fma_f64 v[91:92], v[79:80], v[3:4], v[111:112]
	v_fma_f64 v[67:68], v[77:78], v[33:34], -v[67:68]
	v_mul_f64 v[77:78], v[39:40], v[43:44]
	v_mul_f64 v[109:110], v[37:38], v[47:48]
	v_fma_f64 v[79:80], v[79:80], v[33:34], v[113:114]
	v_mul_f64 v[111:112], v[51:52], v[43:44]
	v_mul_f64 v[43:44], v[49:50], v[43:44]
	v_fma_f64 v[57:58], v[81:82], v[3:4], -v[115:116]
	v_fma_f64 v[3:4], v[83:84], v[3:4], v[117:118]
	v_fma_f64 v[81:82], v[81:82], v[33:34], -v[87:88]
	v_fma_f64 v[83:84], v[83:84], v[33:34], v[35:36]
	v_fma_f64 v[87:88], v[37:38], v[45:46], -v[95:96]
	v_mul_f64 v[95:96], v[51:52], v[47:48]
	v_mul_f64 v[47:48], v[49:50], v[47:48]
	v_add_f64 v[71:72], v[71:72], v[107:108]
	v_add_f64 v[65:66], v[65:66], v[75:76]
	v_fma_f64 v[85:86], v[39:40], v[41:42], v[93:94]
	s_waitcnt lgkmcnt(0)
	v_mul_f64 v[69:70], v[7:8], v[21:22]
	v_mul_f64 v[73:74], v[5:6], v[21:22]
	;; [unrolled: 1-line block ×6, first 2 shown]
	v_add_f64 v[55:56], v[55:56], v[89:90]
	v_fma_f64 v[77:78], v[37:38], v[41:42], -v[77:78]
	v_fma_f64 v[93:94], v[39:40], v[45:46], v[109:110]
	v_add_f64 v[59:60], v[91:92], v[59:60]
	v_fma_f64 v[105:106], v[49:50], v[41:42], -v[111:112]
	v_fma_f64 v[109:110], v[51:52], v[41:42], v[43:44]
	v_add_f64 v[61:62], v[61:62], v[67:68]
	v_add_f64 v[63:64], v[79:80], v[63:64]
	;; [unrolled: 1-line block ×4, first 2 shown]
	ds_read_b128 v[33:36], v30 offset:96
	ds_read_b128 v[37:40], v28 offset:3072
	v_fma_f64 v[49:50], v[49:50], v[45:46], -v[95:96]
	v_fma_f64 v[51:52], v[51:52], v[45:46], v[47:48]
	v_add_f64 v[57:58], v[71:72], v[57:58]
	v_add_f64 v[65:66], v[3:4], v[65:66]
	ds_read_b128 v[41:44], v28 offset:3328
	ds_read_b128 v[45:48], v30 offset:2144
	v_fma_f64 v[69:70], v[5:6], v[19:20], -v[69:70]
	v_fma_f64 v[71:72], v[7:8], v[19:20], v[73:74]
	v_fma_f64 v[73:74], v[5:6], v[23:24], -v[75:76]
	v_fma_f64 v[75:76], v[7:8], v[23:24], v[97:98]
	;; [unrolled: 2-line block ×4, first 2 shown]
	v_add_f64 v[55:56], v[55:56], v[77:78]
	v_add_f64 v[59:60], v[85:86], v[59:60]
	ds_read_b128 v[3:6], v30 offset:112
	ds_read_b128 v[7:10], v30 offset:2160
	v_add_f64 v[61:62], v[61:62], v[87:88]
	v_add_f64 v[63:64], v[93:94], v[63:64]
	s_waitcnt lgkmcnt(4)
	v_mul_f64 v[89:90], v[35:36], v[39:40]
	v_mul_f64 v[25:26], v[33:34], v[39:40]
	ds_read_b128 v[15:18], v28 offset:3584
	ds_read_b128 v[19:22], v28 offset:3840
	v_add_f64 v[49:50], v[67:68], v[49:50]
	s_waitcnt lgkmcnt(5)
	v_mul_f64 v[91:92], v[35:36], v[43:44]
	v_mul_f64 v[95:96], v[33:34], v[43:44]
	s_waitcnt lgkmcnt(4)
	v_mul_f64 v[97:98], v[47:48], v[39:40]
	v_mul_f64 v[39:40], v[45:46], v[39:40]
	v_add_f64 v[57:58], v[57:58], v[105:106]
	v_add_f64 v[65:66], v[109:110], v[65:66]
	;; [unrolled: 1-line block ×3, first 2 shown]
	v_mul_f64 v[53:54], v[47:48], v[43:44]
	v_mul_f64 v[43:44], v[45:46], v[43:44]
	s_waitcnt lgkmcnt(0)
	s_barrier
	buffer_gl0_inv
	v_fma_f64 v[67:68], v[33:34], v[37:38], -v[89:90]
	v_fma_f64 v[25:26], v[35:36], v[37:38], v[25:26]
	v_add_f64 v[49:50], v[49:50], v[83:84]
	v_fma_f64 v[33:34], v[33:34], v[41:42], -v[91:92]
	v_fma_f64 v[35:36], v[35:36], v[41:42], v[95:96]
	v_fma_f64 v[77:78], v[45:46], v[37:38], -v[97:98]
	v_fma_f64 v[37:38], v[47:48], v[37:38], v[39:40]
	v_add_f64 v[39:40], v[55:56], v[69:70]
	v_add_f64 v[55:56], v[71:72], v[59:60]
	;; [unrolled: 1-line block ×7, first 2 shown]
	v_fma_f64 v[45:46], v[45:46], v[41:42], -v[53:54]
	v_fma_f64 v[41:42], v[47:48], v[41:42], v[43:44]
	v_mul_f64 v[43:44], v[5:6], v[17:18]
	v_mul_f64 v[47:48], v[3:4], v[17:18]
	;; [unrolled: 1-line block ×8, first 2 shown]
	v_add_f64 v[39:40], v[39:40], v[67:68]
	v_add_f64 v[25:26], v[25:26], v[55:56]
	;; [unrolled: 1-line block ×8, first 2 shown]
	v_fma_f64 v[23:24], v[3:4], v[15:16], -v[43:44]
	v_fma_f64 v[43:44], v[5:6], v[15:16], v[47:48]
	v_fma_f64 v[3:4], v[3:4], v[19:20], -v[51:52]
	v_fma_f64 v[5:6], v[5:6], v[19:20], v[53:54]
	v_fma_f64 v[47:48], v[7:8], v[15:16], -v[65:66]
	v_fma_f64 v[17:18], v[9:10], v[15:16], v[17:18]
	v_fma_f64 v[7:8], v[7:8], v[19:20], -v[69:70]
	v_fma_f64 v[49:50], v[9:10], v[19:20], v[21:22]
	v_add_f64 v[23:24], v[39:40], v[23:24]
	v_add_f64 v[25:26], v[43:44], v[25:26]
	;; [unrolled: 1-line block ×8, first 2 shown]
	s_cbranch_scc0 .LBB110_13
.LBB110_7:                              ; =>This Inner Loop Header: Depth=1
	v_add_nc_u32_e32 v3, s33, v29
	v_cmp_le_i32_e64 s0, s11, v3
	s_or_b32 s0, s1, s0
	s_and_saveexec_b32 s20, s0
	s_xor_b32 s0, exec_lo, s20
	s_cbranch_execz .LBB110_9
; %bb.8:                                ;   in Loop: Header=BB110_7 Depth=1
	v_mov_b32_e32 v3, v2
	v_mov_b32_e32 v4, v2
	;; [unrolled: 1-line block ×3, first 2 shown]
	ds_write_b128 v31, v[2:5]
.LBB110_9:                              ;   in Loop: Header=BB110_7 Depth=1
	s_andn2_saveexec_b32 s0, s0
	s_cbranch_execz .LBB110_11
; %bb.10:                               ;   in Loop: Header=BB110_7 Depth=1
	global_load_dwordx4 v[3:6], v[11:12], off
	s_waitcnt vmcnt(0)
	ds_write2_b64 v31, v[3:4], v[5:6] offset1:1
.LBB110_11:                             ;   in Loop: Header=BB110_7 Depth=1
	s_or_b32 exec_lo, exec_lo, s0
	v_add_nc_u32_e32 v3, s33, v27
	v_mov_b32_e32 v5, 0
	v_mov_b32_e32 v6, 0
	v_cmp_gt_i32_e64 s0, s11, v3
	v_mov_b32_e32 v3, 0
	v_mov_b32_e32 v4, 0
	s_and_b32 s20, s0, vcc_lo
	s_and_saveexec_b32 s0, s20
	s_cbranch_execz .LBB110_6
; %bb.12:                               ;   in Loop: Header=BB110_7 Depth=1
	global_load_dwordx4 v[3:6], v[13:14], off offset:-8
	s_waitcnt vmcnt(0)
	v_xor_b32_e32 v6, 0x80000000, v6
	s_branch .LBB110_6
.LBB110_13:
	s_clause 0x1
	s_load_dword s2, s[4:5], 0x50
	s_load_dwordx2 s[4:5], s[4:5], 0x58
	v_cmp_neq_f64_e64 s6, s[12:13], 0
	v_add_nc_u32_e32 v27, s31, v1
	v_add_nc_u32_e32 v4, s30, v0
	v_cmp_gt_i32_e64 s0, s10, v27
	v_cmp_le_i32_e32 vcc_lo, v4, v27
	v_ashrrev_i32_e32 v5, 31, v4
	s_waitcnt lgkmcnt(0)
	v_mad_i64_i32 v[0:1], null, v27, s2, 0
	s_mul_i32 s1, s5, s8
	s_mul_hi_u32 s3, s4, s8
	s_mul_i32 s4, s4, s8
	s_add_i32 s5, s3, s1
	s_lshl_b64 s[4:5], s[4:5], 4
	v_lshlrev_b64 v[0:1], 4, v[0:1]
	s_add_u32 s3, s22, s4
	s_addc_u32 s4, s23, s5
	s_xor_b32 s5, s9, -1
	s_or_b32 s5, s6, s5
	v_add_co_u32 v13, s1, s3, v0
	v_add_co_ci_u32_e64 v14, null, s4, v1, s1
	v_cndmask_b32_e64 v6, 0, 1, s5
	s_and_b32 s6, s0, vcc_lo
	s_and_saveexec_b32 s1, s6
	s_cbranch_execz .LBB110_17
; %bb.14:
	v_mul_f64 v[0:1], s[18:19], v[25:26]
	v_mul_f64 v[2:3], s[16:17], v[25:26]
	v_lshlrev_b64 v[11:12], 4, v[4:5]
	v_add_co_u32 v11, vcc_lo, v13, v11
	v_add_co_ci_u32_e64 v12, null, v14, v12, vcc_lo
	s_andn2_b32 vcc_lo, exec_lo, s5
	v_fma_f64 v[0:1], s[16:17], v[23:24], -v[0:1]
	v_fma_f64 v[2:3], s[18:19], v[23:24], v[2:3]
	s_cbranch_vccnz .LBB110_16
; %bb.15:
	global_load_dwordx4 v[23:26], v[11:12], off
	s_waitcnt vmcnt(0)
	v_mul_f64 v[28:29], s[14:15], v[25:26]
	v_mul_f64 v[25:26], s[12:13], v[25:26]
	v_fma_f64 v[28:29], s[12:13], v[23:24], -v[28:29]
	v_fma_f64 v[23:24], s[14:15], v[23:24], v[25:26]
	v_add_f64 v[0:1], v[0:1], v[28:29]
	v_add_f64 v[2:3], v[2:3], v[23:24]
.LBB110_16:
	global_store_dwordx4 v[11:12], v[0:3], off
.LBB110_17:
	s_or_b32 exec_lo, exec_lo, s1
	v_add_nc_u32_e32 v11, 16, v4
	v_cmp_le_i32_e32 vcc_lo, v11, v27
	v_ashrrev_i32_e32 v12, 31, v11
	s_and_b32 s0, s0, vcc_lo
	s_and_saveexec_b32 s1, s0
	s_cbranch_execz .LBB110_21
; %bb.18:
	v_mul_f64 v[0:1], s[18:19], v[21:22]
	v_mul_f64 v[2:3], s[16:17], v[21:22]
	v_cmp_ne_u32_e32 vcc_lo, 1, v6
	s_and_b32 vcc_lo, exec_lo, vcc_lo
	v_fma_f64 v[0:1], s[16:17], v[19:20], -v[0:1]
	v_fma_f64 v[2:3], s[18:19], v[19:20], v[2:3]
	v_lshlrev_b64 v[19:20], 4, v[11:12]
	v_add_co_u32 v13, s0, v13, v19
	v_add_co_ci_u32_e64 v14, null, v14, v20, s0
	s_cbranch_vccnz .LBB110_20
; %bb.19:
	global_load_dwordx4 v[19:22], v[13:14], off
	s_waitcnt vmcnt(0)
	v_mul_f64 v[23:24], s[14:15], v[21:22]
	v_mul_f64 v[21:22], s[12:13], v[21:22]
	v_fma_f64 v[23:24], s[12:13], v[19:20], -v[23:24]
	v_fma_f64 v[19:20], s[14:15], v[19:20], v[21:22]
	v_add_f64 v[0:1], v[0:1], v[23:24]
	v_add_f64 v[2:3], v[2:3], v[19:20]
.LBB110_20:
	global_store_dwordx4 v[13:14], v[0:3], off
.LBB110_21:
	s_or_b32 exec_lo, exec_lo, s1
	v_add_nc_u32_e32 v19, 16, v27
	v_mad_i64_i32 v[0:1], null, v19, s2, 0
	v_cmp_gt_i32_e64 s0, s10, v19
	v_cmp_le_i32_e32 vcc_lo, v4, v19
	v_lshlrev_b64 v[0:1], 4, v[0:1]
	v_add_co_u32 v13, s1, s3, v0
	v_add_co_ci_u32_e64 v14, null, s4, v1, s1
	s_and_b32 s1, s0, vcc_lo
	s_and_saveexec_b32 s2, s1
	s_cbranch_execz .LBB110_25
; %bb.22:
	v_mul_f64 v[0:1], s[18:19], v[17:18]
	v_mul_f64 v[2:3], s[16:17], v[17:18]
	v_lshlrev_b64 v[4:5], 4, v[4:5]
	v_cmp_ne_u32_e32 vcc_lo, 1, v6
	s_and_b32 vcc_lo, exec_lo, vcc_lo
	v_add_co_u32 v4, s1, v13, v4
	v_add_co_ci_u32_e64 v5, null, v14, v5, s1
	v_fma_f64 v[0:1], s[16:17], v[15:16], -v[0:1]
	v_fma_f64 v[2:3], s[18:19], v[15:16], v[2:3]
	s_cbranch_vccnz .LBB110_24
; %bb.23:
	global_load_dwordx4 v[15:18], v[4:5], off
	s_waitcnt vmcnt(0)
	v_mul_f64 v[20:21], s[14:15], v[17:18]
	v_mul_f64 v[17:18], s[12:13], v[17:18]
	v_fma_f64 v[20:21], s[12:13], v[15:16], -v[20:21]
	v_fma_f64 v[15:16], s[14:15], v[15:16], v[17:18]
	v_add_f64 v[0:1], v[0:1], v[20:21]
	v_add_f64 v[2:3], v[2:3], v[15:16]
.LBB110_24:
	global_store_dwordx4 v[4:5], v[0:3], off
.LBB110_25:
	s_or_b32 exec_lo, exec_lo, s2
	v_cmp_le_i32_e32 vcc_lo, v11, v19
	s_and_b32 s0, s0, vcc_lo
	s_and_saveexec_b32 s1, s0
	s_cbranch_execz .LBB110_30
; %bb.26:
	v_mul_f64 v[0:1], s[18:19], v[7:8]
	v_mul_f64 v[2:3], s[16:17], v[7:8]
	v_lshlrev_b64 v[4:5], 4, v[11:12]
	v_cmp_ne_u32_e32 vcc_lo, 1, v6
	s_and_b32 vcc_lo, exec_lo, vcc_lo
	v_add_co_u32 v4, s0, v13, v4
	v_add_co_ci_u32_e64 v5, null, v14, v5, s0
	v_fma_f64 v[0:1], s[16:17], v[9:10], -v[0:1]
	v_fma_f64 v[2:3], s[18:19], v[9:10], v[2:3]
	s_cbranch_vccnz .LBB110_28
; %bb.27:
	global_load_dwordx4 v[6:9], v[4:5], off
	s_waitcnt vmcnt(0)
	v_mul_f64 v[10:11], s[14:15], v[8:9]
	v_mul_f64 v[8:9], s[12:13], v[8:9]
	v_fma_f64 v[10:11], s[12:13], v[6:7], -v[10:11]
	v_fma_f64 v[6:7], s[14:15], v[6:7], v[8:9]
	v_add_f64 v[0:1], v[0:1], v[10:11]
	v_add_f64 v[2:3], v[2:3], v[6:7]
.LBB110_28:
	global_store_dwordx4 v[4:5], v[0:3], off
	s_endpgm
.LBB110_29:
.LBB110_30:
	s_endpgm
	.section	.rodata,"a",@progbits
	.p2align	6, 0x0
	.amdhsa_kernel _ZL29rocblas_internal_gemmt_kernelIiLi16ELi32ELi8ELc78ELc67ELc85ELb0ELb1E19rocblas_complex_numIdEPKS1_S3_PS1_EviT_T9_T10_S5_lS7_S5_lS6_T11_S5_li
		.amdhsa_group_segment_fixed_size 8192
		.amdhsa_private_segment_fixed_size 0
		.amdhsa_kernarg_size 100
		.amdhsa_user_sgpr_count 6
		.amdhsa_user_sgpr_private_segment_buffer 1
		.amdhsa_user_sgpr_dispatch_ptr 0
		.amdhsa_user_sgpr_queue_ptr 0
		.amdhsa_user_sgpr_kernarg_segment_ptr 1
		.amdhsa_user_sgpr_dispatch_id 0
		.amdhsa_user_sgpr_flat_scratch_init 0
		.amdhsa_user_sgpr_private_segment_size 0
		.amdhsa_wavefront_size32 1
		.amdhsa_uses_dynamic_stack 0
		.amdhsa_system_sgpr_private_segment_wavefront_offset 0
		.amdhsa_system_sgpr_workgroup_id_x 1
		.amdhsa_system_sgpr_workgroup_id_y 1
		.amdhsa_system_sgpr_workgroup_id_z 1
		.amdhsa_system_sgpr_workgroup_info 0
		.amdhsa_system_vgpr_workitem_id 1
		.amdhsa_next_free_vgpr 127
		.amdhsa_next_free_sgpr 35
		.amdhsa_reserve_vcc 1
		.amdhsa_reserve_flat_scratch 0
		.amdhsa_float_round_mode_32 0
		.amdhsa_float_round_mode_16_64 0
		.amdhsa_float_denorm_mode_32 3
		.amdhsa_float_denorm_mode_16_64 3
		.amdhsa_dx10_clamp 1
		.amdhsa_ieee_mode 1
		.amdhsa_fp16_overflow 0
		.amdhsa_workgroup_processor_mode 1
		.amdhsa_memory_ordered 1
		.amdhsa_forward_progress 1
		.amdhsa_shared_vgpr_count 0
		.amdhsa_exception_fp_ieee_invalid_op 0
		.amdhsa_exception_fp_denorm_src 0
		.amdhsa_exception_fp_ieee_div_zero 0
		.amdhsa_exception_fp_ieee_overflow 0
		.amdhsa_exception_fp_ieee_underflow 0
		.amdhsa_exception_fp_ieee_inexact 0
		.amdhsa_exception_int_div_zero 0
	.end_amdhsa_kernel
	.section	.text._ZL29rocblas_internal_gemmt_kernelIiLi16ELi32ELi8ELc78ELc67ELc85ELb0ELb1E19rocblas_complex_numIdEPKS1_S3_PS1_EviT_T9_T10_S5_lS7_S5_lS6_T11_S5_li,"axG",@progbits,_ZL29rocblas_internal_gemmt_kernelIiLi16ELi32ELi8ELc78ELc67ELc85ELb0ELb1E19rocblas_complex_numIdEPKS1_S3_PS1_EviT_T9_T10_S5_lS7_S5_lS6_T11_S5_li,comdat
.Lfunc_end110:
	.size	_ZL29rocblas_internal_gemmt_kernelIiLi16ELi32ELi8ELc78ELc67ELc85ELb0ELb1E19rocblas_complex_numIdEPKS1_S3_PS1_EviT_T9_T10_S5_lS7_S5_lS6_T11_S5_li, .Lfunc_end110-_ZL29rocblas_internal_gemmt_kernelIiLi16ELi32ELi8ELc78ELc67ELc85ELb0ELb1E19rocblas_complex_numIdEPKS1_S3_PS1_EviT_T9_T10_S5_lS7_S5_lS6_T11_S5_li
                                        ; -- End function
	.set _ZL29rocblas_internal_gemmt_kernelIiLi16ELi32ELi8ELc78ELc67ELc85ELb0ELb1E19rocblas_complex_numIdEPKS1_S3_PS1_EviT_T9_T10_S5_lS7_S5_lS6_T11_S5_li.num_vgpr, 127
	.set _ZL29rocblas_internal_gemmt_kernelIiLi16ELi32ELi8ELc78ELc67ELc85ELb0ELb1E19rocblas_complex_numIdEPKS1_S3_PS1_EviT_T9_T10_S5_lS7_S5_lS6_T11_S5_li.num_agpr, 0
	.set _ZL29rocblas_internal_gemmt_kernelIiLi16ELi32ELi8ELc78ELc67ELc85ELb0ELb1E19rocblas_complex_numIdEPKS1_S3_PS1_EviT_T9_T10_S5_lS7_S5_lS6_T11_S5_li.numbered_sgpr, 35
	.set _ZL29rocblas_internal_gemmt_kernelIiLi16ELi32ELi8ELc78ELc67ELc85ELb0ELb1E19rocblas_complex_numIdEPKS1_S3_PS1_EviT_T9_T10_S5_lS7_S5_lS6_T11_S5_li.num_named_barrier, 0
	.set _ZL29rocblas_internal_gemmt_kernelIiLi16ELi32ELi8ELc78ELc67ELc85ELb0ELb1E19rocblas_complex_numIdEPKS1_S3_PS1_EviT_T9_T10_S5_lS7_S5_lS6_T11_S5_li.private_seg_size, 0
	.set _ZL29rocblas_internal_gemmt_kernelIiLi16ELi32ELi8ELc78ELc67ELc85ELb0ELb1E19rocblas_complex_numIdEPKS1_S3_PS1_EviT_T9_T10_S5_lS7_S5_lS6_T11_S5_li.uses_vcc, 1
	.set _ZL29rocblas_internal_gemmt_kernelIiLi16ELi32ELi8ELc78ELc67ELc85ELb0ELb1E19rocblas_complex_numIdEPKS1_S3_PS1_EviT_T9_T10_S5_lS7_S5_lS6_T11_S5_li.uses_flat_scratch, 0
	.set _ZL29rocblas_internal_gemmt_kernelIiLi16ELi32ELi8ELc78ELc67ELc85ELb0ELb1E19rocblas_complex_numIdEPKS1_S3_PS1_EviT_T9_T10_S5_lS7_S5_lS6_T11_S5_li.has_dyn_sized_stack, 0
	.set _ZL29rocblas_internal_gemmt_kernelIiLi16ELi32ELi8ELc78ELc67ELc85ELb0ELb1E19rocblas_complex_numIdEPKS1_S3_PS1_EviT_T9_T10_S5_lS7_S5_lS6_T11_S5_li.has_recursion, 0
	.set _ZL29rocblas_internal_gemmt_kernelIiLi16ELi32ELi8ELc78ELc67ELc85ELb0ELb1E19rocblas_complex_numIdEPKS1_S3_PS1_EviT_T9_T10_S5_lS7_S5_lS6_T11_S5_li.has_indirect_call, 0
	.section	.AMDGPU.csdata,"",@progbits
; Kernel info:
; codeLenInByte = 3580
; TotalNumSgprs: 37
; NumVgprs: 127
; ScratchSize: 0
; MemoryBound: 1
; FloatMode: 240
; IeeeMode: 1
; LDSByteSize: 8192 bytes/workgroup (compile time only)
; SGPRBlocks: 0
; VGPRBlocks: 15
; NumSGPRsForWavesPerEU: 37
; NumVGPRsForWavesPerEU: 127
; Occupancy: 8
; WaveLimiterHint : 0
; COMPUTE_PGM_RSRC2:SCRATCH_EN: 0
; COMPUTE_PGM_RSRC2:USER_SGPR: 6
; COMPUTE_PGM_RSRC2:TRAP_HANDLER: 0
; COMPUTE_PGM_RSRC2:TGID_X_EN: 1
; COMPUTE_PGM_RSRC2:TGID_Y_EN: 1
; COMPUTE_PGM_RSRC2:TGID_Z_EN: 1
; COMPUTE_PGM_RSRC2:TIDIG_COMP_CNT: 1
	.section	.text._ZL29rocblas_internal_gemmt_kernelIiLi16ELi32ELi8ELc84ELc78ELc85ELb0ELb0E19rocblas_complex_numIdEPKS1_S3_PS1_EviT_T9_T10_S5_lS7_S5_lS6_T11_S5_li,"axG",@progbits,_ZL29rocblas_internal_gemmt_kernelIiLi16ELi32ELi8ELc84ELc78ELc85ELb0ELb0E19rocblas_complex_numIdEPKS1_S3_PS1_EviT_T9_T10_S5_lS7_S5_lS6_T11_S5_li,comdat
	.globl	_ZL29rocblas_internal_gemmt_kernelIiLi16ELi32ELi8ELc84ELc78ELc85ELb0ELb0E19rocblas_complex_numIdEPKS1_S3_PS1_EviT_T9_T10_S5_lS7_S5_lS6_T11_S5_li ; -- Begin function _ZL29rocblas_internal_gemmt_kernelIiLi16ELi32ELi8ELc84ELc78ELc85ELb0ELb0E19rocblas_complex_numIdEPKS1_S3_PS1_EviT_T9_T10_S5_lS7_S5_lS6_T11_S5_li
	.p2align	8
	.type	_ZL29rocblas_internal_gemmt_kernelIiLi16ELi32ELi8ELc84ELc78ELc85ELb0ELb0E19rocblas_complex_numIdEPKS1_S3_PS1_EviT_T9_T10_S5_lS7_S5_lS6_T11_S5_li,@function
_ZL29rocblas_internal_gemmt_kernelIiLi16ELi32ELi8ELc84ELc78ELc85ELb0ELb0E19rocblas_complex_numIdEPKS1_S3_PS1_EviT_T9_T10_S5_lS7_S5_lS6_T11_S5_li: ; @_ZL29rocblas_internal_gemmt_kernelIiLi16ELi32ELi8ELc84ELc78ELc85ELb0ELb0E19rocblas_complex_numIdEPKS1_S3_PS1_EviT_T9_T10_S5_lS7_S5_lS6_T11_S5_li
; %bb.0:
	s_load_dwordx4 s[20:23], s[4:5], 0x38
	s_waitcnt lgkmcnt(0)
	s_load_dwordx4 s[12:15], s[22:23], 0x0
	s_clause 0x1
	s_load_dwordx4 s[0:3], s[4:5], 0x8
	s_load_dwordx2 s[10:11], s[4:5], 0x0
	s_waitcnt lgkmcnt(0)
	s_load_dwordx4 s[16:19], s[0:1], 0x0
	v_cmp_eq_f64_e64 s22, s[12:13], 1.0
	v_cmp_eq_f64_e64 s9, s[14:15], 0
	s_and_b32 s0, s22, s9
	s_andn2_b32 vcc_lo, exec_lo, s0
	s_mov_b32 s0, -1
	s_cbranch_vccnz .LBB111_3
; %bb.1:
	s_cmp_lg_u32 s11, 0
	s_cbranch_scc0 .LBB111_31
; %bb.2:
	s_waitcnt lgkmcnt(0)
	v_cmp_neq_f64_e64 s0, s[16:17], 0
	v_cmp_neq_f64_e64 s1, s[18:19], 0
	s_or_b32 s0, s0, s1
.LBB111_3:
	s_and_b32 vcc_lo, exec_lo, s0
	s_cbranch_vccz .LBB111_32
; %bb.4:
	s_waitcnt lgkmcnt(0)
	v_cmp_eq_f64_e64 s0, s[16:17], 0
	v_cmp_eq_f64_e64 s1, s[18:19], 0
	s_load_dwordx2 s[22:23], s[4:5], 0x48
	s_lshl_b32 s6, s6, 5
	s_lshl_b32 s7, s7, 5
	v_mov_b32_e32 v22, 0
	v_mov_b32_e32 v24, 0
	;; [unrolled: 1-line block ×16, first 2 shown]
	s_mov_b32 s28, 0
	s_and_b32 s0, s0, s1
	s_cmp_lt_i32 s11, 1
	s_cselect_b32 s1, -1, 0
	s_or_b32 s0, s0, s1
	s_and_b32 vcc_lo, exec_lo, s0
	s_cbranch_vccnz .LBB111_15
; %bb.5:
	s_clause 0x2
	s_load_dword s0, s[4:5], 0x18
	s_load_dwordx4 s[24:27], s[4:5], 0x20
	s_load_dword s1, s[4:5], 0x30
	v_lshl_add_u32 v2, v1, 4, v0
	v_and_b32_e32 v26, 7, v0
	s_mul_i32 s21, s21, s8
	v_mov_b32_e32 v10, 0
	v_mov_b32_e32 v12, 0
	v_and_b32_e32 v3, 31, v2
	v_lshrrev_b32_e32 v4, 3, v2
	v_lshrrev_b32_e32 v29, 5, v2
	v_lshlrev_b32_e32 v6, 4, v26
	v_mov_b32_e32 v20, 0
	v_add_nc_u32_e32 v2, s6, v3
	v_or_b32_e32 v7, s6, v3
	v_lshlrev_b32_e32 v8, 4, v3
	v_add_nc_u32_e32 v5, s7, v4
	v_lshl_or_b32 v9, v4, 7, v6
	v_mov_b32_e32 v18, 0
	v_cmp_gt_i32_e32 vcc_lo, s10, v7
	s_waitcnt lgkmcnt(0)
	v_mad_i64_i32 v[2:3], null, s0, v2, 0
	v_cmp_gt_i32_e64 s0, s10, v5
	s_mul_i32 s25, s25, s8
	s_mul_hi_u32 s29, s24, s8
	v_mad_i64_i32 v[4:5], null, s1, v5, 0
	s_mul_i32 s24, s24, s8
	v_lshlrev_b64 v[2:3], 4, v[2:3]
	s_add_i32 s25, s29, s25
	v_lshl_or_b32 v30, v29, 9, v8
	s_lshl_b64 s[24:25], s[24:25], 4
	v_mov_b32_e32 v16, 0
	v_mov_b32_e32 v14, 0
	v_add_co_u32 v7, s1, v2, s24
	v_add_co_ci_u32_e64 v8, null, s25, v3, s1
	s_mul_hi_u32 s1, s20, s8
	v_lshlrev_b64 v[2:3], 4, v[4:5]
	s_add_i32 s21, s1, s21
	s_mul_i32 s20, s20, s8
	v_lshlrev_b32_e32 v4, 4, v29
	s_lshl_b64 s[20:21], s[20:21], 4
	v_mov_b32_e32 v24, 0
	v_add_co_u32 v2, s1, v2, s20
	v_add_co_ci_u32_e64 v3, null, s21, v3, s1
	v_add_co_u32 v4, s1, v7, v4
	v_add_co_ci_u32_e64 v5, null, 0, v8, s1
	;; [unrolled: 2-line block ×4, first 2 shown]
	v_add_co_u32 v8, s1, s26, v2
	v_mov_b32_e32 v22, 0
	v_lshlrev_b32_e32 v27, 4, v0
	v_lshl_add_u32 v28, v1, 7, 0x1000
	v_add_nc_u32_e32 v31, 0x1000, v9
	v_add_co_ci_u32_e64 v9, null, s27, v3, s1
	v_mov_b32_e32 v11, 0
	v_mov_b32_e32 v13, 0
	;; [unrolled: 1-line block ×9, first 2 shown]
	s_xor_b32 s1, vcc_lo, -1
	s_xor_b32 s0, s0, -1
	s_branch .LBB111_7
.LBB111_6:                              ;   in Loop: Header=BB111_7 Depth=1
	s_or_b32 exec_lo, exec_lo, s2
	s_waitcnt lgkmcnt(0)
	s_barrier
	buffer_gl0_inv
	ds_read_b128 v[32:35], v28
	ds_read_b128 v[36:39], v28 offset:16
	ds_read_b128 v[40:43], v28 offset:32
	;; [unrolled: 1-line block ×3, first 2 shown]
	ds_read_b128 v[48:51], v27
	v_add_co_u32 v6, vcc_lo, 0x80, v6
	v_add_co_ci_u32_e64 v7, null, 0, v7, vcc_lo
	v_add_co_u32 v8, vcc_lo, 0x80, v8
	v_add_co_ci_u32_e64 v9, null, 0, v9, vcc_lo
	s_add_i32 s28, s28, 8
	s_cmp_lt_i32 s28, s11
	s_waitcnt lgkmcnt(0)
	v_mul_f64 v[3:4], v[34:35], v[50:51]
	v_mul_f64 v[52:53], v[32:33], v[50:51]
	v_fma_f64 v[3:4], v[32:33], v[48:49], -v[3:4]
	v_fma_f64 v[52:53], v[34:35], v[48:49], v[52:53]
	v_add_f64 v[3:4], v[22:23], v[3:4]
	v_add_f64 v[52:53], v[52:53], v[24:25]
	ds_read_b128 v[22:25], v27 offset:256
	s_waitcnt lgkmcnt(0)
	v_mul_f64 v[54:55], v[34:35], v[24:25]
	v_fma_f64 v[54:55], v[32:33], v[22:23], -v[54:55]
	v_mul_f64 v[32:33], v[32:33], v[24:25]
	v_fma_f64 v[32:33], v[34:35], v[22:23], v[32:33]
	v_add_f64 v[34:35], v[14:15], v[54:55]
	v_add_f64 v[32:33], v[32:33], v[16:17]
	ds_read_b128 v[14:17], v28 offset:2048
	s_waitcnt lgkmcnt(0)
	v_mul_f64 v[54:55], v[16:17], v[50:51]
	v_mul_f64 v[50:51], v[14:15], v[50:51]
	v_fma_f64 v[54:55], v[14:15], v[48:49], -v[54:55]
	v_fma_f64 v[48:49], v[16:17], v[48:49], v[50:51]
	v_add_f64 v[50:51], v[18:19], v[54:55]
	v_mul_f64 v[18:19], v[16:17], v[24:25]
	v_add_f64 v[48:49], v[48:49], v[20:21]
	v_fma_f64 v[18:19], v[14:15], v[22:23], -v[18:19]
	v_mul_f64 v[14:15], v[14:15], v[24:25]
	v_fma_f64 v[14:15], v[16:17], v[22:23], v[14:15]
	v_add_f64 v[22:23], v[12:13], v[18:19]
	v_add_f64 v[24:25], v[14:15], v[10:11]
	ds_read_b128 v[10:13], v27 offset:512
	s_waitcnt lgkmcnt(0)
	v_mul_f64 v[14:15], v[38:39], v[12:13]
	v_mul_f64 v[16:17], v[36:37], v[12:13]
	v_fma_f64 v[14:15], v[36:37], v[10:11], -v[14:15]
	v_fma_f64 v[16:17], v[38:39], v[10:11], v[16:17]
	v_add_f64 v[3:4], v[3:4], v[14:15]
	v_add_f64 v[52:53], v[16:17], v[52:53]
	ds_read_b128 v[14:17], v27 offset:768
	s_waitcnt lgkmcnt(0)
	v_mul_f64 v[18:19], v[38:39], v[16:17]
	v_mul_f64 v[20:21], v[36:37], v[16:17]
	v_fma_f64 v[18:19], v[36:37], v[14:15], -v[18:19]
	;; [unrolled: 8-line block ×3, first 2 shown]
	v_fma_f64 v[10:11], v[20:21], v[10:11], v[12:13]
	v_mul_f64 v[12:13], v[18:19], v[16:17]
	v_add_f64 v[36:37], v[50:51], v[36:37]
	v_add_f64 v[38:39], v[10:11], v[48:49]
	v_mul_f64 v[10:11], v[20:21], v[16:17]
	v_fma_f64 v[12:13], v[20:21], v[14:15], v[12:13]
	v_fma_f64 v[10:11], v[18:19], v[14:15], -v[10:11]
	v_add_f64 v[24:25], v[12:13], v[24:25]
	v_add_f64 v[22:23], v[22:23], v[10:11]
	ds_read_b128 v[10:13], v27 offset:1024
	s_waitcnt lgkmcnt(0)
	v_mul_f64 v[14:15], v[42:43], v[12:13]
	v_mul_f64 v[16:17], v[40:41], v[12:13]
	v_fma_f64 v[14:15], v[40:41], v[10:11], -v[14:15]
	v_fma_f64 v[16:17], v[42:43], v[10:11], v[16:17]
	v_add_f64 v[3:4], v[3:4], v[14:15]
	v_add_f64 v[48:49], v[16:17], v[52:53]
	ds_read_b128 v[14:17], v27 offset:1280
	s_waitcnt lgkmcnt(0)
	v_mul_f64 v[18:19], v[42:43], v[16:17]
	v_mul_f64 v[20:21], v[40:41], v[16:17]
	v_fma_f64 v[18:19], v[40:41], v[14:15], -v[18:19]
	v_fma_f64 v[20:21], v[42:43], v[14:15], v[20:21]
	;; [unrolled: 8-line block ×3, first 2 shown]
	v_mul_f64 v[12:13], v[18:19], v[16:17]
	v_add_f64 v[36:37], v[36:37], v[40:41]
	v_add_f64 v[38:39], v[10:11], v[38:39]
	v_mul_f64 v[10:11], v[20:21], v[16:17]
	v_fma_f64 v[12:13], v[20:21], v[14:15], v[12:13]
	v_fma_f64 v[10:11], v[18:19], v[14:15], -v[10:11]
	v_add_f64 v[24:25], v[12:13], v[24:25]
	v_add_f64 v[22:23], v[22:23], v[10:11]
	ds_read_b128 v[10:13], v27 offset:1536
	s_waitcnt lgkmcnt(0)
	v_mul_f64 v[14:15], v[46:47], v[12:13]
	v_mul_f64 v[16:17], v[44:45], v[12:13]
	v_fma_f64 v[14:15], v[44:45], v[10:11], -v[14:15]
	v_fma_f64 v[16:17], v[46:47], v[10:11], v[16:17]
	v_add_f64 v[3:4], v[3:4], v[14:15]
	v_add_f64 v[40:41], v[16:17], v[48:49]
	ds_read_b128 v[14:17], v27 offset:1792
	s_waitcnt lgkmcnt(0)
	v_mul_f64 v[18:19], v[46:47], v[16:17]
	v_mul_f64 v[20:21], v[44:45], v[16:17]
	v_fma_f64 v[18:19], v[44:45], v[14:15], -v[18:19]
	v_fma_f64 v[20:21], v[46:47], v[14:15], v[20:21]
	;; [unrolled: 8-line block ×3, first 2 shown]
	v_mul_f64 v[12:13], v[18:19], v[16:17]
	v_add_f64 v[36:37], v[36:37], v[42:43]
	v_add_f64 v[38:39], v[10:11], v[38:39]
	v_mul_f64 v[10:11], v[20:21], v[16:17]
	v_fma_f64 v[12:13], v[20:21], v[14:15], v[12:13]
	v_fma_f64 v[10:11], v[18:19], v[14:15], -v[10:11]
	v_add_f64 v[24:25], v[12:13], v[24:25]
	v_add_f64 v[22:23], v[22:23], v[10:11]
	ds_read_b128 v[10:13], v28 offset:64
	ds_read_b128 v[14:17], v27 offset:2048
	s_waitcnt lgkmcnt(0)
	v_mul_f64 v[18:19], v[12:13], v[16:17]
	v_mul_f64 v[20:21], v[10:11], v[16:17]
	v_fma_f64 v[18:19], v[10:11], v[14:15], -v[18:19]
	v_fma_f64 v[20:21], v[12:13], v[14:15], v[20:21]
	v_add_f64 v[3:4], v[3:4], v[18:19]
	v_add_f64 v[40:41], v[20:21], v[40:41]
	ds_read_b128 v[18:21], v27 offset:2304
	s_waitcnt lgkmcnt(0)
	v_mul_f64 v[42:43], v[12:13], v[20:21]
	v_fma_f64 v[42:43], v[10:11], v[18:19], -v[42:43]
	v_mul_f64 v[10:11], v[10:11], v[20:21]
	v_add_f64 v[34:35], v[34:35], v[42:43]
	v_fma_f64 v[10:11], v[12:13], v[18:19], v[10:11]
	v_add_f64 v[32:33], v[10:11], v[32:33]
	ds_read_b128 v[10:13], v28 offset:2112
	s_waitcnt lgkmcnt(0)
	v_mul_f64 v[42:43], v[12:13], v[16:17]
	v_mul_f64 v[16:17], v[10:11], v[16:17]
	v_fma_f64 v[42:43], v[10:11], v[14:15], -v[42:43]
	v_fma_f64 v[14:15], v[12:13], v[14:15], v[16:17]
	v_add_f64 v[36:37], v[36:37], v[42:43]
	v_add_f64 v[38:39], v[14:15], v[38:39]
	v_mul_f64 v[14:15], v[12:13], v[20:21]
	v_fma_f64 v[14:15], v[10:11], v[18:19], -v[14:15]
	v_mul_f64 v[10:11], v[10:11], v[20:21]
	v_add_f64 v[22:23], v[22:23], v[14:15]
	v_fma_f64 v[10:11], v[12:13], v[18:19], v[10:11]
	v_add_f64 v[24:25], v[10:11], v[24:25]
	ds_read_b128 v[10:13], v28 offset:80
	ds_read_b128 v[14:17], v27 offset:2560
	s_waitcnt lgkmcnt(0)
	v_mul_f64 v[18:19], v[12:13], v[16:17]
	v_mul_f64 v[20:21], v[10:11], v[16:17]
	v_fma_f64 v[18:19], v[10:11], v[14:15], -v[18:19]
	v_fma_f64 v[20:21], v[12:13], v[14:15], v[20:21]
	v_add_f64 v[3:4], v[3:4], v[18:19]
	v_add_f64 v[40:41], v[20:21], v[40:41]
	ds_read_b128 v[18:21], v27 offset:2816
	s_waitcnt lgkmcnt(0)
	v_mul_f64 v[42:43], v[12:13], v[20:21]
	v_fma_f64 v[42:43], v[10:11], v[18:19], -v[42:43]
	v_mul_f64 v[10:11], v[10:11], v[20:21]
	v_add_f64 v[34:35], v[34:35], v[42:43]
	v_fma_f64 v[10:11], v[12:13], v[18:19], v[10:11]
	v_add_f64 v[32:33], v[10:11], v[32:33]
	ds_read_b128 v[10:13], v28 offset:2128
	s_waitcnt lgkmcnt(0)
	v_mul_f64 v[42:43], v[12:13], v[16:17]
	v_mul_f64 v[16:17], v[10:11], v[16:17]
	v_fma_f64 v[42:43], v[10:11], v[14:15], -v[42:43]
	v_fma_f64 v[14:15], v[12:13], v[14:15], v[16:17]
	v_add_f64 v[36:37], v[36:37], v[42:43]
	v_add_f64 v[38:39], v[14:15], v[38:39]
	v_mul_f64 v[14:15], v[12:13], v[20:21]
	v_fma_f64 v[14:15], v[10:11], v[18:19], -v[14:15]
	v_mul_f64 v[10:11], v[10:11], v[20:21]
	v_add_f64 v[22:23], v[22:23], v[14:15]
	v_fma_f64 v[10:11], v[12:13], v[18:19], v[10:11]
	;; [unrolled: 31-line block ×3, first 2 shown]
	v_add_f64 v[48:49], v[10:11], v[24:25]
	ds_read_b128 v[10:13], v28 offset:112
	ds_read_b128 v[18:21], v27 offset:3584
	;; [unrolled: 1-line block ×3, first 2 shown]
	s_waitcnt lgkmcnt(1)
	v_mul_f64 v[14:15], v[12:13], v[20:21]
	v_mul_f64 v[16:17], v[10:11], v[20:21]
	v_fma_f64 v[14:15], v[10:11], v[18:19], -v[14:15]
	v_fma_f64 v[16:17], v[12:13], v[18:19], v[16:17]
	v_add_f64 v[22:23], v[3:4], v[14:15]
	s_waitcnt lgkmcnt(0)
	v_mul_f64 v[3:4], v[12:13], v[34:35]
	v_add_f64 v[24:25], v[16:17], v[40:41]
	v_fma_f64 v[3:4], v[10:11], v[32:33], -v[3:4]
	v_mul_f64 v[10:11], v[10:11], v[34:35]
	v_add_f64 v[14:15], v[42:43], v[3:4]
	v_fma_f64 v[10:11], v[12:13], v[32:33], v[10:11]
	v_add_f64 v[16:17], v[10:11], v[44:45]
	ds_read_b128 v[10:13], v28 offset:2160
	s_waitcnt lgkmcnt(0)
	s_barrier
	buffer_gl0_inv
	v_mul_f64 v[3:4], v[12:13], v[20:21]
	v_mul_f64 v[20:21], v[10:11], v[20:21]
	v_fma_f64 v[3:4], v[10:11], v[18:19], -v[3:4]
	v_fma_f64 v[20:21], v[12:13], v[18:19], v[20:21]
	v_add_f64 v[18:19], v[36:37], v[3:4]
	v_mul_f64 v[3:4], v[12:13], v[34:35]
	v_add_f64 v[20:21], v[20:21], v[38:39]
	v_fma_f64 v[3:4], v[10:11], v[32:33], -v[3:4]
	v_mul_f64 v[10:11], v[10:11], v[34:35]
	v_fma_f64 v[10:11], v[12:13], v[32:33], v[10:11]
	v_add_f64 v[12:13], v[46:47], v[3:4]
	v_add_f64 v[10:11], v[10:11], v[48:49]
	s_cbranch_scc0 .LBB111_15
.LBB111_7:                              ; =>This Inner Loop Header: Depth=1
	v_add_nc_u32_e32 v3, s28, v29
	v_cmp_le_i32_e32 vcc_lo, s11, v3
	s_or_b32 s2, s1, vcc_lo
	s_and_saveexec_b32 s3, s2
	s_xor_b32 s2, exec_lo, s3
	s_cbranch_execz .LBB111_9
; %bb.8:                                ;   in Loop: Header=BB111_7 Depth=1
	v_mov_b32_e32 v3, v2
	v_mov_b32_e32 v4, v2
	;; [unrolled: 1-line block ×3, first 2 shown]
	ds_write_b128 v30, v[2:5]
.LBB111_9:                              ;   in Loop: Header=BB111_7 Depth=1
	s_andn2_saveexec_b32 s2, s2
	s_cbranch_execz .LBB111_11
; %bb.10:                               ;   in Loop: Header=BB111_7 Depth=1
	global_load_dwordx4 v[32:35], v[6:7], off
	s_waitcnt vmcnt(0)
	ds_write2_b64 v30, v[32:33], v[34:35] offset1:1
.LBB111_11:                             ;   in Loop: Header=BB111_7 Depth=1
	s_or_b32 exec_lo, exec_lo, s2
	v_add_nc_u32_e32 v3, s28, v26
	v_cmp_le_i32_e32 vcc_lo, s11, v3
	s_or_b32 s2, vcc_lo, s0
	s_and_saveexec_b32 s3, s2
	s_xor_b32 s2, exec_lo, s3
	s_cbranch_execz .LBB111_13
; %bb.12:                               ;   in Loop: Header=BB111_7 Depth=1
	v_mov_b32_e32 v3, v2
	v_mov_b32_e32 v4, v2
	;; [unrolled: 1-line block ×3, first 2 shown]
	ds_write_b128 v31, v[2:5]
.LBB111_13:                             ;   in Loop: Header=BB111_7 Depth=1
	s_andn2_saveexec_b32 s2, s2
	s_cbranch_execz .LBB111_6
; %bb.14:                               ;   in Loop: Header=BB111_7 Depth=1
	global_load_dwordx4 v[32:35], v[8:9], off
	s_waitcnt vmcnt(0)
	ds_write2_b64 v31, v[32:33], v[34:35] offset1:1
	s_branch .LBB111_6
.LBB111_15:
	s_clause 0x1
	s_load_dword s2, s[4:5], 0x50
	s_load_dwordx2 s[4:5], s[4:5], 0x58
	v_cmp_neq_f64_e64 s11, s[12:13], 0
	v_add_nc_u32_e32 v27, s7, v1
	v_add_nc_u32_e32 v4, s6, v0
	v_cmp_gt_i32_e64 s0, s10, v27
	v_cmp_le_i32_e32 vcc_lo, v4, v27
	v_ashrrev_i32_e32 v5, 31, v4
	s_waitcnt lgkmcnt(0)
	v_mad_i64_i32 v[0:1], null, v27, s2, 0
	s_mul_i32 s1, s5, s8
	s_mul_hi_u32 s3, s4, s8
	s_mul_i32 s4, s4, s8
	s_add_i32 s5, s3, s1
	s_lshl_b64 s[4:5], s[4:5], 4
	v_lshlrev_b64 v[0:1], 4, v[0:1]
	s_add_u32 s3, s22, s4
	s_addc_u32 s4, s23, s5
	s_xor_b32 s5, s9, -1
	s_and_b32 s6, s0, vcc_lo
	s_or_b32 s5, s11, s5
	v_add_co_u32 v8, s1, s3, v0
	v_add_co_ci_u32_e64 v9, null, s4, v1, s1
	v_cndmask_b32_e64 v26, 0, 1, s5
	s_and_saveexec_b32 s1, s6
	s_cbranch_execz .LBB111_19
; %bb.16:
	v_mul_f64 v[0:1], s[18:19], v[24:25]
	v_mul_f64 v[2:3], s[16:17], v[24:25]
	v_lshlrev_b64 v[6:7], 4, v[4:5]
	v_add_co_u32 v6, vcc_lo, v8, v6
	v_add_co_ci_u32_e64 v7, null, v9, v7, vcc_lo
	s_andn2_b32 vcc_lo, exec_lo, s5
	v_fma_f64 v[0:1], s[16:17], v[22:23], -v[0:1]
	v_fma_f64 v[2:3], s[18:19], v[22:23], v[2:3]
	s_cbranch_vccnz .LBB111_18
; %bb.17:
	global_load_dwordx4 v[22:25], v[6:7], off
	s_waitcnt vmcnt(0)
	v_mul_f64 v[28:29], s[14:15], v[24:25]
	v_mul_f64 v[24:25], s[12:13], v[24:25]
	v_fma_f64 v[28:29], s[12:13], v[22:23], -v[28:29]
	v_fma_f64 v[22:23], s[14:15], v[22:23], v[24:25]
	v_add_f64 v[0:1], v[0:1], v[28:29]
	v_add_f64 v[2:3], v[2:3], v[22:23]
.LBB111_18:
	global_store_dwordx4 v[6:7], v[0:3], off
.LBB111_19:
	s_or_b32 exec_lo, exec_lo, s1
	v_add_nc_u32_e32 v6, 16, v4
	v_cmp_le_i32_e32 vcc_lo, v6, v27
	v_ashrrev_i32_e32 v7, 31, v6
	s_and_b32 s0, s0, vcc_lo
	s_and_saveexec_b32 s1, s0
	s_cbranch_execz .LBB111_23
; %bb.20:
	v_mul_f64 v[0:1], s[18:19], v[16:17]
	v_mul_f64 v[2:3], s[16:17], v[16:17]
	v_cmp_ne_u32_e32 vcc_lo, 1, v26
	s_and_b32 vcc_lo, exec_lo, vcc_lo
	v_fma_f64 v[0:1], s[16:17], v[14:15], -v[0:1]
	v_fma_f64 v[2:3], s[18:19], v[14:15], v[2:3]
	v_lshlrev_b64 v[14:15], 4, v[6:7]
	v_add_co_u32 v8, s0, v8, v14
	v_add_co_ci_u32_e64 v9, null, v9, v15, s0
	s_cbranch_vccnz .LBB111_22
; %bb.21:
	global_load_dwordx4 v[14:17], v[8:9], off
	s_waitcnt vmcnt(0)
	v_mul_f64 v[22:23], s[14:15], v[16:17]
	v_mul_f64 v[16:17], s[12:13], v[16:17]
	v_fma_f64 v[22:23], s[12:13], v[14:15], -v[22:23]
	v_fma_f64 v[14:15], s[14:15], v[14:15], v[16:17]
	v_add_f64 v[0:1], v[0:1], v[22:23]
	v_add_f64 v[2:3], v[2:3], v[14:15]
.LBB111_22:
	global_store_dwordx4 v[8:9], v[0:3], off
.LBB111_23:
	s_or_b32 exec_lo, exec_lo, s1
	v_add_nc_u32_e32 v14, 16, v27
	v_mad_i64_i32 v[0:1], null, v14, s2, 0
	v_cmp_gt_i32_e64 s0, s10, v14
	v_cmp_le_i32_e32 vcc_lo, v4, v14
	v_lshlrev_b64 v[0:1], 4, v[0:1]
	v_add_co_u32 v8, s1, s3, v0
	v_add_co_ci_u32_e64 v9, null, s4, v1, s1
	s_and_b32 s1, s0, vcc_lo
	s_and_saveexec_b32 s2, s1
	s_cbranch_execz .LBB111_27
; %bb.24:
	v_mul_f64 v[0:1], s[18:19], v[20:21]
	v_mul_f64 v[2:3], s[16:17], v[20:21]
	v_lshlrev_b64 v[4:5], 4, v[4:5]
	v_cmp_ne_u32_e32 vcc_lo, 1, v26
	s_and_b32 vcc_lo, exec_lo, vcc_lo
	v_add_co_u32 v4, s1, v8, v4
	v_add_co_ci_u32_e64 v5, null, v9, v5, s1
	v_fma_f64 v[0:1], s[16:17], v[18:19], -v[0:1]
	v_fma_f64 v[2:3], s[18:19], v[18:19], v[2:3]
	s_cbranch_vccnz .LBB111_26
; %bb.25:
	global_load_dwordx4 v[15:18], v[4:5], off
	s_waitcnt vmcnt(0)
	v_mul_f64 v[19:20], s[14:15], v[17:18]
	v_mul_f64 v[17:18], s[12:13], v[17:18]
	v_fma_f64 v[19:20], s[12:13], v[15:16], -v[19:20]
	v_fma_f64 v[15:16], s[14:15], v[15:16], v[17:18]
	v_add_f64 v[0:1], v[0:1], v[19:20]
	v_add_f64 v[2:3], v[2:3], v[15:16]
.LBB111_26:
	global_store_dwordx4 v[4:5], v[0:3], off
.LBB111_27:
	s_or_b32 exec_lo, exec_lo, s2
	v_cmp_le_i32_e32 vcc_lo, v6, v14
	s_and_b32 s0, s0, vcc_lo
	s_and_saveexec_b32 s1, s0
	s_cbranch_execz .LBB111_32
; %bb.28:
	v_mul_f64 v[0:1], s[18:19], v[10:11]
	v_mul_f64 v[2:3], s[16:17], v[10:11]
	v_lshlrev_b64 v[4:5], 4, v[6:7]
	v_cmp_ne_u32_e32 vcc_lo, 1, v26
	s_and_b32 vcc_lo, exec_lo, vcc_lo
	v_add_co_u32 v4, s0, v8, v4
	v_add_co_ci_u32_e64 v5, null, v9, v5, s0
	v_fma_f64 v[0:1], s[16:17], v[12:13], -v[0:1]
	v_fma_f64 v[2:3], s[18:19], v[12:13], v[2:3]
	s_cbranch_vccnz .LBB111_30
; %bb.29:
	global_load_dwordx4 v[6:9], v[4:5], off
	s_waitcnt vmcnt(0)
	v_mul_f64 v[10:11], s[14:15], v[8:9]
	v_mul_f64 v[8:9], s[12:13], v[8:9]
	v_fma_f64 v[10:11], s[12:13], v[6:7], -v[10:11]
	v_fma_f64 v[6:7], s[14:15], v[6:7], v[8:9]
	v_add_f64 v[0:1], v[0:1], v[10:11]
	v_add_f64 v[2:3], v[2:3], v[6:7]
.LBB111_30:
	global_store_dwordx4 v[4:5], v[0:3], off
	s_endpgm
.LBB111_31:
.LBB111_32:
	s_endpgm
	.section	.rodata,"a",@progbits
	.p2align	6, 0x0
	.amdhsa_kernel _ZL29rocblas_internal_gemmt_kernelIiLi16ELi32ELi8ELc84ELc78ELc85ELb0ELb0E19rocblas_complex_numIdEPKS1_S3_PS1_EviT_T9_T10_S5_lS7_S5_lS6_T11_S5_li
		.amdhsa_group_segment_fixed_size 8192
		.amdhsa_private_segment_fixed_size 0
		.amdhsa_kernarg_size 100
		.amdhsa_user_sgpr_count 6
		.amdhsa_user_sgpr_private_segment_buffer 1
		.amdhsa_user_sgpr_dispatch_ptr 0
		.amdhsa_user_sgpr_queue_ptr 0
		.amdhsa_user_sgpr_kernarg_segment_ptr 1
		.amdhsa_user_sgpr_dispatch_id 0
		.amdhsa_user_sgpr_flat_scratch_init 0
		.amdhsa_user_sgpr_private_segment_size 0
		.amdhsa_wavefront_size32 1
		.amdhsa_uses_dynamic_stack 0
		.amdhsa_system_sgpr_private_segment_wavefront_offset 0
		.amdhsa_system_sgpr_workgroup_id_x 1
		.amdhsa_system_sgpr_workgroup_id_y 1
		.amdhsa_system_sgpr_workgroup_id_z 1
		.amdhsa_system_sgpr_workgroup_info 0
		.amdhsa_system_vgpr_workitem_id 1
		.amdhsa_next_free_vgpr 56
		.amdhsa_next_free_sgpr 30
		.amdhsa_reserve_vcc 1
		.amdhsa_reserve_flat_scratch 0
		.amdhsa_float_round_mode_32 0
		.amdhsa_float_round_mode_16_64 0
		.amdhsa_float_denorm_mode_32 3
		.amdhsa_float_denorm_mode_16_64 3
		.amdhsa_dx10_clamp 1
		.amdhsa_ieee_mode 1
		.amdhsa_fp16_overflow 0
		.amdhsa_workgroup_processor_mode 1
		.amdhsa_memory_ordered 1
		.amdhsa_forward_progress 1
		.amdhsa_shared_vgpr_count 0
		.amdhsa_exception_fp_ieee_invalid_op 0
		.amdhsa_exception_fp_denorm_src 0
		.amdhsa_exception_fp_ieee_div_zero 0
		.amdhsa_exception_fp_ieee_overflow 0
		.amdhsa_exception_fp_ieee_underflow 0
		.amdhsa_exception_fp_ieee_inexact 0
		.amdhsa_exception_int_div_zero 0
	.end_amdhsa_kernel
	.section	.text._ZL29rocblas_internal_gemmt_kernelIiLi16ELi32ELi8ELc84ELc78ELc85ELb0ELb0E19rocblas_complex_numIdEPKS1_S3_PS1_EviT_T9_T10_S5_lS7_S5_lS6_T11_S5_li,"axG",@progbits,_ZL29rocblas_internal_gemmt_kernelIiLi16ELi32ELi8ELc84ELc78ELc85ELb0ELb0E19rocblas_complex_numIdEPKS1_S3_PS1_EviT_T9_T10_S5_lS7_S5_lS6_T11_S5_li,comdat
.Lfunc_end111:
	.size	_ZL29rocblas_internal_gemmt_kernelIiLi16ELi32ELi8ELc84ELc78ELc85ELb0ELb0E19rocblas_complex_numIdEPKS1_S3_PS1_EviT_T9_T10_S5_lS7_S5_lS6_T11_S5_li, .Lfunc_end111-_ZL29rocblas_internal_gemmt_kernelIiLi16ELi32ELi8ELc84ELc78ELc85ELb0ELb0E19rocblas_complex_numIdEPKS1_S3_PS1_EviT_T9_T10_S5_lS7_S5_lS6_T11_S5_li
                                        ; -- End function
	.set _ZL29rocblas_internal_gemmt_kernelIiLi16ELi32ELi8ELc84ELc78ELc85ELb0ELb0E19rocblas_complex_numIdEPKS1_S3_PS1_EviT_T9_T10_S5_lS7_S5_lS6_T11_S5_li.num_vgpr, 56
	.set _ZL29rocblas_internal_gemmt_kernelIiLi16ELi32ELi8ELc84ELc78ELc85ELb0ELb0E19rocblas_complex_numIdEPKS1_S3_PS1_EviT_T9_T10_S5_lS7_S5_lS6_T11_S5_li.num_agpr, 0
	.set _ZL29rocblas_internal_gemmt_kernelIiLi16ELi32ELi8ELc84ELc78ELc85ELb0ELb0E19rocblas_complex_numIdEPKS1_S3_PS1_EviT_T9_T10_S5_lS7_S5_lS6_T11_S5_li.numbered_sgpr, 30
	.set _ZL29rocblas_internal_gemmt_kernelIiLi16ELi32ELi8ELc84ELc78ELc85ELb0ELb0E19rocblas_complex_numIdEPKS1_S3_PS1_EviT_T9_T10_S5_lS7_S5_lS6_T11_S5_li.num_named_barrier, 0
	.set _ZL29rocblas_internal_gemmt_kernelIiLi16ELi32ELi8ELc84ELc78ELc85ELb0ELb0E19rocblas_complex_numIdEPKS1_S3_PS1_EviT_T9_T10_S5_lS7_S5_lS6_T11_S5_li.private_seg_size, 0
	.set _ZL29rocblas_internal_gemmt_kernelIiLi16ELi32ELi8ELc84ELc78ELc85ELb0ELb0E19rocblas_complex_numIdEPKS1_S3_PS1_EviT_T9_T10_S5_lS7_S5_lS6_T11_S5_li.uses_vcc, 1
	.set _ZL29rocblas_internal_gemmt_kernelIiLi16ELi32ELi8ELc84ELc78ELc85ELb0ELb0E19rocblas_complex_numIdEPKS1_S3_PS1_EviT_T9_T10_S5_lS7_S5_lS6_T11_S5_li.uses_flat_scratch, 0
	.set _ZL29rocblas_internal_gemmt_kernelIiLi16ELi32ELi8ELc84ELc78ELc85ELb0ELb0E19rocblas_complex_numIdEPKS1_S3_PS1_EviT_T9_T10_S5_lS7_S5_lS6_T11_S5_li.has_dyn_sized_stack, 0
	.set _ZL29rocblas_internal_gemmt_kernelIiLi16ELi32ELi8ELc84ELc78ELc85ELb0ELb0E19rocblas_complex_numIdEPKS1_S3_PS1_EviT_T9_T10_S5_lS7_S5_lS6_T11_S5_li.has_recursion, 0
	.set _ZL29rocblas_internal_gemmt_kernelIiLi16ELi32ELi8ELc84ELc78ELc85ELb0ELb0E19rocblas_complex_numIdEPKS1_S3_PS1_EviT_T9_T10_S5_lS7_S5_lS6_T11_S5_li.has_indirect_call, 0
	.section	.AMDGPU.csdata,"",@progbits
; Kernel info:
; codeLenInByte = 3560
; TotalNumSgprs: 32
; NumVgprs: 56
; ScratchSize: 0
; MemoryBound: 0
; FloatMode: 240
; IeeeMode: 1
; LDSByteSize: 8192 bytes/workgroup (compile time only)
; SGPRBlocks: 0
; VGPRBlocks: 6
; NumSGPRsForWavesPerEU: 32
; NumVGPRsForWavesPerEU: 56
; Occupancy: 16
; WaveLimiterHint : 0
; COMPUTE_PGM_RSRC2:SCRATCH_EN: 0
; COMPUTE_PGM_RSRC2:USER_SGPR: 6
; COMPUTE_PGM_RSRC2:TRAP_HANDLER: 0
; COMPUTE_PGM_RSRC2:TGID_X_EN: 1
; COMPUTE_PGM_RSRC2:TGID_Y_EN: 1
; COMPUTE_PGM_RSRC2:TGID_Z_EN: 1
; COMPUTE_PGM_RSRC2:TIDIG_COMP_CNT: 1
	.section	.text._ZL29rocblas_internal_gemmt_kernelIiLi16ELi32ELi8ELc84ELc84ELc85ELb0ELb0E19rocblas_complex_numIdEPKS1_S3_PS1_EviT_T9_T10_S5_lS7_S5_lS6_T11_S5_li,"axG",@progbits,_ZL29rocblas_internal_gemmt_kernelIiLi16ELi32ELi8ELc84ELc84ELc85ELb0ELb0E19rocblas_complex_numIdEPKS1_S3_PS1_EviT_T9_T10_S5_lS7_S5_lS6_T11_S5_li,comdat
	.globl	_ZL29rocblas_internal_gemmt_kernelIiLi16ELi32ELi8ELc84ELc84ELc85ELb0ELb0E19rocblas_complex_numIdEPKS1_S3_PS1_EviT_T9_T10_S5_lS7_S5_lS6_T11_S5_li ; -- Begin function _ZL29rocblas_internal_gemmt_kernelIiLi16ELi32ELi8ELc84ELc84ELc85ELb0ELb0E19rocblas_complex_numIdEPKS1_S3_PS1_EviT_T9_T10_S5_lS7_S5_lS6_T11_S5_li
	.p2align	8
	.type	_ZL29rocblas_internal_gemmt_kernelIiLi16ELi32ELi8ELc84ELc84ELc85ELb0ELb0E19rocblas_complex_numIdEPKS1_S3_PS1_EviT_T9_T10_S5_lS7_S5_lS6_T11_S5_li,@function
_ZL29rocblas_internal_gemmt_kernelIiLi16ELi32ELi8ELc84ELc84ELc85ELb0ELb0E19rocblas_complex_numIdEPKS1_S3_PS1_EviT_T9_T10_S5_lS7_S5_lS6_T11_S5_li: ; @_ZL29rocblas_internal_gemmt_kernelIiLi16ELi32ELi8ELc84ELc84ELc85ELb0ELb0E19rocblas_complex_numIdEPKS1_S3_PS1_EviT_T9_T10_S5_lS7_S5_lS6_T11_S5_li
; %bb.0:
	s_load_dwordx4 s[20:23], s[4:5], 0x38
	s_waitcnt lgkmcnt(0)
	s_load_dwordx4 s[12:15], s[22:23], 0x0
	s_clause 0x1
	s_load_dwordx4 s[0:3], s[4:5], 0x8
	s_load_dwordx2 s[10:11], s[4:5], 0x0
	s_waitcnt lgkmcnt(0)
	s_load_dwordx4 s[16:19], s[0:1], 0x0
	v_cmp_eq_f64_e64 s22, s[12:13], 1.0
	v_cmp_eq_f64_e64 s9, s[14:15], 0
	s_and_b32 s0, s22, s9
	s_andn2_b32 vcc_lo, exec_lo, s0
	s_mov_b32 s0, -1
	s_cbranch_vccnz .LBB112_3
; %bb.1:
	s_cmp_lg_u32 s11, 0
	s_cbranch_scc0 .LBB112_31
; %bb.2:
	s_waitcnt lgkmcnt(0)
	v_cmp_neq_f64_e64 s0, s[16:17], 0
	v_cmp_neq_f64_e64 s1, s[18:19], 0
	s_or_b32 s0, s0, s1
.LBB112_3:
	s_and_b32 vcc_lo, exec_lo, s0
	s_cbranch_vccz .LBB112_32
; %bb.4:
	s_waitcnt lgkmcnt(0)
	v_cmp_eq_f64_e64 s0, s[16:17], 0
	v_cmp_eq_f64_e64 s1, s[18:19], 0
	s_load_dwordx2 s[22:23], s[4:5], 0x48
	s_lshl_b32 s28, s6, 5
	s_lshl_b32 s29, s7, 5
	v_mov_b32_e32 v22, 0
	v_mov_b32_e32 v24, 0
	;; [unrolled: 1-line block ×16, first 2 shown]
	s_mov_b32 s30, 0
	s_and_b32 s0, s0, s1
	s_cmp_lt_i32 s11, 1
	s_cselect_b32 s1, -1, 0
	s_or_b32 s0, s0, s1
	s_and_b32 vcc_lo, exec_lo, s0
	s_cbranch_vccnz .LBB112_15
; %bb.5:
	s_load_dword s0, s[4:5], 0x18
	v_lshl_add_u32 v2, v1, 4, v0
	s_clause 0x1
	s_load_dwordx4 s[24:27], s[4:5], 0x20
	s_load_dword s6, s[4:5], 0x30
	v_and_b32_e32 v26, 7, v0
	v_mov_b32_e32 v10, 0
	v_mov_b32_e32 v12, 0
	v_and_b32_e32 v3, 31, v2
	v_lshrrev_b32_e32 v4, 3, v2
	v_lshlrev_b32_e32 v5, 4, v26
	v_lshrrev_b32_e32 v29, 5, v2
	v_mov_b32_e32 v20, 0
	v_or_b32_e32 v6, s28, v3
	v_lshlrev_b32_e32 v7, 4, v3
	v_add_nc_u32_e32 v3, s28, v3
	v_add_nc_u32_e32 v2, s29, v4
	v_lshl_or_b32 v8, v4, 7, v5
	v_cmp_gt_i32_e32 vcc_lo, s10, v6
	v_lshl_or_b32 v30, v29, 9, v7
	v_mov_b32_e32 v18, 0
	v_mov_b32_e32 v16, 0
	s_waitcnt lgkmcnt(0)
	v_mad_i64_i32 v[4:5], null, s0, v3, 0
	s_mul_i32 s1, s25, s8
	s_mul_hi_u32 s25, s24, s8
	v_mad_i64_i32 v[6:7], null, s6, v26, 0
	s_mul_i32 s24, s24, s8
	s_add_i32 s25, s25, s1
	v_lshlrev_b64 v[4:5], 4, v[4:5]
	s_lshl_b64 s[24:25], s[24:25], 4
	v_add_nc_u32_e32 v31, 0x1000, v8
	v_ashrrev_i32_e32 v3, 31, v2
	v_cmp_gt_i32_e64 s0, s10, v2
	v_mov_b32_e32 v14, 0
	v_add_co_u32 v8, s1, v4, s24
	v_add_co_ci_u32_e64 v9, null, s25, v5, s1
	s_mul_i32 s1, s21, s8
	s_mul_hi_u32 s21, s20, s8
	v_lshlrev_b64 v[4:5], 4, v[6:7]
	s_add_i32 s21, s21, s1
	s_mul_i32 s20, s20, s8
	v_lshlrev_b32_e32 v6, 4, v29
	s_lshl_b64 s[20:21], s[20:21], 4
	v_lshlrev_b64 v[2:3], 4, v[2:3]
	v_add_co_u32 v4, s1, s20, v4
	v_add_co_ci_u32_e64 v5, null, s21, v5, s1
	v_add_co_u32 v6, s1, v8, v6
	v_add_co_ci_u32_e64 v7, null, 0, v9, s1
	;; [unrolled: 2-line block ×4, first 2 shown]
	v_add_co_u32 v8, s1, s26, v2
	v_mov_b32_e32 v24, 0
	v_mov_b32_e32 v22, 0
	v_lshlrev_b32_e32 v27, 4, v0
	v_lshl_add_u32 v28, v1, 7, 0x1000
	v_add_co_ci_u32_e64 v9, null, s27, v3, s1
	v_mov_b32_e32 v11, 0
	v_mov_b32_e32 v13, 0
	;; [unrolled: 1-line block ×9, first 2 shown]
	s_ashr_i32 s7, s6, 31
	s_xor_b32 s1, vcc_lo, -1
	s_lshl_b64 s[2:3], s[6:7], 7
	s_xor_b32 s0, s0, -1
	s_branch .LBB112_7
.LBB112_6:                              ;   in Loop: Header=BB112_7 Depth=1
	s_or_b32 exec_lo, exec_lo, s6
	s_waitcnt lgkmcnt(0)
	s_barrier
	buffer_gl0_inv
	ds_read_b128 v[32:35], v28
	ds_read_b128 v[36:39], v28 offset:16
	ds_read_b128 v[40:43], v28 offset:32
	;; [unrolled: 1-line block ×3, first 2 shown]
	ds_read_b128 v[48:51], v27
	v_add_co_u32 v6, vcc_lo, 0x80, v6
	v_add_co_ci_u32_e64 v7, null, 0, v7, vcc_lo
	v_add_co_u32 v8, vcc_lo, v8, s2
	v_add_co_ci_u32_e64 v9, null, s3, v9, vcc_lo
	s_add_i32 s30, s30, 8
	s_cmp_lt_i32 s30, s11
	s_waitcnt lgkmcnt(0)
	v_mul_f64 v[3:4], v[34:35], v[50:51]
	v_mul_f64 v[52:53], v[32:33], v[50:51]
	v_fma_f64 v[3:4], v[32:33], v[48:49], -v[3:4]
	v_fma_f64 v[52:53], v[34:35], v[48:49], v[52:53]
	v_add_f64 v[3:4], v[22:23], v[3:4]
	v_add_f64 v[52:53], v[52:53], v[24:25]
	ds_read_b128 v[22:25], v27 offset:256
	s_waitcnt lgkmcnt(0)
	v_mul_f64 v[54:55], v[34:35], v[24:25]
	v_fma_f64 v[54:55], v[32:33], v[22:23], -v[54:55]
	v_mul_f64 v[32:33], v[32:33], v[24:25]
	v_fma_f64 v[32:33], v[34:35], v[22:23], v[32:33]
	v_add_f64 v[34:35], v[14:15], v[54:55]
	v_add_f64 v[32:33], v[32:33], v[16:17]
	ds_read_b128 v[14:17], v28 offset:2048
	s_waitcnt lgkmcnt(0)
	v_mul_f64 v[54:55], v[16:17], v[50:51]
	v_mul_f64 v[50:51], v[14:15], v[50:51]
	v_fma_f64 v[54:55], v[14:15], v[48:49], -v[54:55]
	v_fma_f64 v[48:49], v[16:17], v[48:49], v[50:51]
	v_add_f64 v[50:51], v[18:19], v[54:55]
	v_mul_f64 v[18:19], v[16:17], v[24:25]
	v_add_f64 v[48:49], v[48:49], v[20:21]
	v_fma_f64 v[18:19], v[14:15], v[22:23], -v[18:19]
	v_mul_f64 v[14:15], v[14:15], v[24:25]
	v_fma_f64 v[14:15], v[16:17], v[22:23], v[14:15]
	v_add_f64 v[22:23], v[12:13], v[18:19]
	v_add_f64 v[24:25], v[14:15], v[10:11]
	ds_read_b128 v[10:13], v27 offset:512
	s_waitcnt lgkmcnt(0)
	v_mul_f64 v[14:15], v[38:39], v[12:13]
	v_mul_f64 v[16:17], v[36:37], v[12:13]
	v_fma_f64 v[14:15], v[36:37], v[10:11], -v[14:15]
	v_fma_f64 v[16:17], v[38:39], v[10:11], v[16:17]
	v_add_f64 v[3:4], v[3:4], v[14:15]
	v_add_f64 v[52:53], v[16:17], v[52:53]
	ds_read_b128 v[14:17], v27 offset:768
	s_waitcnt lgkmcnt(0)
	v_mul_f64 v[18:19], v[38:39], v[16:17]
	v_mul_f64 v[20:21], v[36:37], v[16:17]
	v_fma_f64 v[18:19], v[36:37], v[14:15], -v[18:19]
	;; [unrolled: 8-line block ×3, first 2 shown]
	v_fma_f64 v[10:11], v[20:21], v[10:11], v[12:13]
	v_mul_f64 v[12:13], v[18:19], v[16:17]
	v_add_f64 v[36:37], v[50:51], v[36:37]
	v_add_f64 v[38:39], v[10:11], v[48:49]
	v_mul_f64 v[10:11], v[20:21], v[16:17]
	v_fma_f64 v[12:13], v[20:21], v[14:15], v[12:13]
	v_fma_f64 v[10:11], v[18:19], v[14:15], -v[10:11]
	v_add_f64 v[24:25], v[12:13], v[24:25]
	v_add_f64 v[22:23], v[22:23], v[10:11]
	ds_read_b128 v[10:13], v27 offset:1024
	s_waitcnt lgkmcnt(0)
	v_mul_f64 v[14:15], v[42:43], v[12:13]
	v_mul_f64 v[16:17], v[40:41], v[12:13]
	v_fma_f64 v[14:15], v[40:41], v[10:11], -v[14:15]
	v_fma_f64 v[16:17], v[42:43], v[10:11], v[16:17]
	v_add_f64 v[3:4], v[3:4], v[14:15]
	v_add_f64 v[48:49], v[16:17], v[52:53]
	ds_read_b128 v[14:17], v27 offset:1280
	s_waitcnt lgkmcnt(0)
	v_mul_f64 v[18:19], v[42:43], v[16:17]
	v_mul_f64 v[20:21], v[40:41], v[16:17]
	v_fma_f64 v[18:19], v[40:41], v[14:15], -v[18:19]
	v_fma_f64 v[20:21], v[42:43], v[14:15], v[20:21]
	;; [unrolled: 8-line block ×3, first 2 shown]
	v_mul_f64 v[12:13], v[18:19], v[16:17]
	v_add_f64 v[36:37], v[36:37], v[40:41]
	v_add_f64 v[38:39], v[10:11], v[38:39]
	v_mul_f64 v[10:11], v[20:21], v[16:17]
	v_fma_f64 v[12:13], v[20:21], v[14:15], v[12:13]
	v_fma_f64 v[10:11], v[18:19], v[14:15], -v[10:11]
	v_add_f64 v[24:25], v[12:13], v[24:25]
	v_add_f64 v[22:23], v[22:23], v[10:11]
	ds_read_b128 v[10:13], v27 offset:1536
	s_waitcnt lgkmcnt(0)
	v_mul_f64 v[14:15], v[46:47], v[12:13]
	v_mul_f64 v[16:17], v[44:45], v[12:13]
	v_fma_f64 v[14:15], v[44:45], v[10:11], -v[14:15]
	v_fma_f64 v[16:17], v[46:47], v[10:11], v[16:17]
	v_add_f64 v[3:4], v[3:4], v[14:15]
	v_add_f64 v[40:41], v[16:17], v[48:49]
	ds_read_b128 v[14:17], v27 offset:1792
	s_waitcnt lgkmcnt(0)
	v_mul_f64 v[18:19], v[46:47], v[16:17]
	v_mul_f64 v[20:21], v[44:45], v[16:17]
	v_fma_f64 v[18:19], v[44:45], v[14:15], -v[18:19]
	v_fma_f64 v[20:21], v[46:47], v[14:15], v[20:21]
	;; [unrolled: 8-line block ×3, first 2 shown]
	v_mul_f64 v[12:13], v[18:19], v[16:17]
	v_add_f64 v[36:37], v[36:37], v[42:43]
	v_add_f64 v[38:39], v[10:11], v[38:39]
	v_mul_f64 v[10:11], v[20:21], v[16:17]
	v_fma_f64 v[12:13], v[20:21], v[14:15], v[12:13]
	v_fma_f64 v[10:11], v[18:19], v[14:15], -v[10:11]
	v_add_f64 v[24:25], v[12:13], v[24:25]
	v_add_f64 v[22:23], v[22:23], v[10:11]
	ds_read_b128 v[10:13], v28 offset:64
	ds_read_b128 v[14:17], v27 offset:2048
	s_waitcnt lgkmcnt(0)
	v_mul_f64 v[18:19], v[12:13], v[16:17]
	v_mul_f64 v[20:21], v[10:11], v[16:17]
	v_fma_f64 v[18:19], v[10:11], v[14:15], -v[18:19]
	v_fma_f64 v[20:21], v[12:13], v[14:15], v[20:21]
	v_add_f64 v[3:4], v[3:4], v[18:19]
	v_add_f64 v[40:41], v[20:21], v[40:41]
	ds_read_b128 v[18:21], v27 offset:2304
	s_waitcnt lgkmcnt(0)
	v_mul_f64 v[42:43], v[12:13], v[20:21]
	v_fma_f64 v[42:43], v[10:11], v[18:19], -v[42:43]
	v_mul_f64 v[10:11], v[10:11], v[20:21]
	v_add_f64 v[34:35], v[34:35], v[42:43]
	v_fma_f64 v[10:11], v[12:13], v[18:19], v[10:11]
	v_add_f64 v[32:33], v[10:11], v[32:33]
	ds_read_b128 v[10:13], v28 offset:2112
	s_waitcnt lgkmcnt(0)
	v_mul_f64 v[42:43], v[12:13], v[16:17]
	v_mul_f64 v[16:17], v[10:11], v[16:17]
	v_fma_f64 v[42:43], v[10:11], v[14:15], -v[42:43]
	v_fma_f64 v[14:15], v[12:13], v[14:15], v[16:17]
	v_add_f64 v[36:37], v[36:37], v[42:43]
	v_add_f64 v[38:39], v[14:15], v[38:39]
	v_mul_f64 v[14:15], v[12:13], v[20:21]
	v_fma_f64 v[14:15], v[10:11], v[18:19], -v[14:15]
	v_mul_f64 v[10:11], v[10:11], v[20:21]
	v_add_f64 v[22:23], v[22:23], v[14:15]
	v_fma_f64 v[10:11], v[12:13], v[18:19], v[10:11]
	v_add_f64 v[24:25], v[10:11], v[24:25]
	ds_read_b128 v[10:13], v28 offset:80
	ds_read_b128 v[14:17], v27 offset:2560
	s_waitcnt lgkmcnt(0)
	v_mul_f64 v[18:19], v[12:13], v[16:17]
	v_mul_f64 v[20:21], v[10:11], v[16:17]
	v_fma_f64 v[18:19], v[10:11], v[14:15], -v[18:19]
	v_fma_f64 v[20:21], v[12:13], v[14:15], v[20:21]
	v_add_f64 v[3:4], v[3:4], v[18:19]
	v_add_f64 v[40:41], v[20:21], v[40:41]
	ds_read_b128 v[18:21], v27 offset:2816
	s_waitcnt lgkmcnt(0)
	v_mul_f64 v[42:43], v[12:13], v[20:21]
	v_fma_f64 v[42:43], v[10:11], v[18:19], -v[42:43]
	v_mul_f64 v[10:11], v[10:11], v[20:21]
	v_add_f64 v[34:35], v[34:35], v[42:43]
	v_fma_f64 v[10:11], v[12:13], v[18:19], v[10:11]
	v_add_f64 v[32:33], v[10:11], v[32:33]
	ds_read_b128 v[10:13], v28 offset:2128
	s_waitcnt lgkmcnt(0)
	v_mul_f64 v[42:43], v[12:13], v[16:17]
	v_mul_f64 v[16:17], v[10:11], v[16:17]
	v_fma_f64 v[42:43], v[10:11], v[14:15], -v[42:43]
	v_fma_f64 v[14:15], v[12:13], v[14:15], v[16:17]
	v_add_f64 v[36:37], v[36:37], v[42:43]
	v_add_f64 v[38:39], v[14:15], v[38:39]
	v_mul_f64 v[14:15], v[12:13], v[20:21]
	v_fma_f64 v[14:15], v[10:11], v[18:19], -v[14:15]
	v_mul_f64 v[10:11], v[10:11], v[20:21]
	v_add_f64 v[22:23], v[22:23], v[14:15]
	v_fma_f64 v[10:11], v[12:13], v[18:19], v[10:11]
	;; [unrolled: 31-line block ×3, first 2 shown]
	v_add_f64 v[48:49], v[10:11], v[24:25]
	ds_read_b128 v[10:13], v28 offset:112
	ds_read_b128 v[18:21], v27 offset:3584
	ds_read_b128 v[32:35], v27 offset:3840
	s_waitcnt lgkmcnt(1)
	v_mul_f64 v[14:15], v[12:13], v[20:21]
	v_mul_f64 v[16:17], v[10:11], v[20:21]
	v_fma_f64 v[14:15], v[10:11], v[18:19], -v[14:15]
	v_fma_f64 v[16:17], v[12:13], v[18:19], v[16:17]
	v_add_f64 v[22:23], v[3:4], v[14:15]
	s_waitcnt lgkmcnt(0)
	v_mul_f64 v[3:4], v[12:13], v[34:35]
	v_add_f64 v[24:25], v[16:17], v[40:41]
	v_fma_f64 v[3:4], v[10:11], v[32:33], -v[3:4]
	v_mul_f64 v[10:11], v[10:11], v[34:35]
	v_add_f64 v[14:15], v[42:43], v[3:4]
	v_fma_f64 v[10:11], v[12:13], v[32:33], v[10:11]
	v_add_f64 v[16:17], v[10:11], v[44:45]
	ds_read_b128 v[10:13], v28 offset:2160
	s_waitcnt lgkmcnt(0)
	s_barrier
	buffer_gl0_inv
	v_mul_f64 v[3:4], v[12:13], v[20:21]
	v_mul_f64 v[20:21], v[10:11], v[20:21]
	v_fma_f64 v[3:4], v[10:11], v[18:19], -v[3:4]
	v_fma_f64 v[20:21], v[12:13], v[18:19], v[20:21]
	v_add_f64 v[18:19], v[36:37], v[3:4]
	v_mul_f64 v[3:4], v[12:13], v[34:35]
	v_add_f64 v[20:21], v[20:21], v[38:39]
	v_fma_f64 v[3:4], v[10:11], v[32:33], -v[3:4]
	v_mul_f64 v[10:11], v[10:11], v[34:35]
	v_fma_f64 v[10:11], v[12:13], v[32:33], v[10:11]
	v_add_f64 v[12:13], v[46:47], v[3:4]
	v_add_f64 v[10:11], v[10:11], v[48:49]
	s_cbranch_scc0 .LBB112_15
.LBB112_7:                              ; =>This Inner Loop Header: Depth=1
	v_add_nc_u32_e32 v3, s30, v29
	v_cmp_le_i32_e32 vcc_lo, s11, v3
	s_or_b32 s6, s1, vcc_lo
	s_and_saveexec_b32 s7, s6
	s_xor_b32 s6, exec_lo, s7
	s_cbranch_execz .LBB112_9
; %bb.8:                                ;   in Loop: Header=BB112_7 Depth=1
	v_mov_b32_e32 v3, v2
	v_mov_b32_e32 v4, v2
	;; [unrolled: 1-line block ×3, first 2 shown]
	ds_write_b128 v30, v[2:5]
.LBB112_9:                              ;   in Loop: Header=BB112_7 Depth=1
	s_andn2_saveexec_b32 s6, s6
	s_cbranch_execz .LBB112_11
; %bb.10:                               ;   in Loop: Header=BB112_7 Depth=1
	global_load_dwordx4 v[32:35], v[6:7], off
	s_waitcnt vmcnt(0)
	ds_write2_b64 v30, v[32:33], v[34:35] offset1:1
.LBB112_11:                             ;   in Loop: Header=BB112_7 Depth=1
	s_or_b32 exec_lo, exec_lo, s6
	v_add_nc_u32_e32 v3, s30, v26
	v_cmp_le_i32_e32 vcc_lo, s11, v3
	s_or_b32 s6, vcc_lo, s0
	s_and_saveexec_b32 s7, s6
	s_xor_b32 s6, exec_lo, s7
	s_cbranch_execz .LBB112_13
; %bb.12:                               ;   in Loop: Header=BB112_7 Depth=1
	v_mov_b32_e32 v3, v2
	v_mov_b32_e32 v4, v2
	v_mov_b32_e32 v5, v2
	ds_write_b128 v31, v[2:5]
.LBB112_13:                             ;   in Loop: Header=BB112_7 Depth=1
	s_andn2_saveexec_b32 s6, s6
	s_cbranch_execz .LBB112_6
; %bb.14:                               ;   in Loop: Header=BB112_7 Depth=1
	global_load_dwordx4 v[32:35], v[8:9], off
	s_waitcnt vmcnt(0)
	ds_write2_b64 v31, v[32:33], v[34:35] offset1:1
	s_branch .LBB112_6
.LBB112_15:
	s_clause 0x1
	s_load_dword s2, s[4:5], 0x50
	s_load_dwordx2 s[4:5], s[4:5], 0x58
	v_cmp_neq_f64_e64 s6, s[12:13], 0
	v_add_nc_u32_e32 v27, s29, v1
	v_add_nc_u32_e32 v4, s28, v0
	v_cmp_gt_i32_e64 s0, s10, v27
	v_cmp_le_i32_e32 vcc_lo, v4, v27
	v_ashrrev_i32_e32 v5, 31, v4
	s_waitcnt lgkmcnt(0)
	v_mad_i64_i32 v[0:1], null, v27, s2, 0
	s_mul_i32 s1, s5, s8
	s_mul_hi_u32 s3, s4, s8
	s_mul_i32 s4, s4, s8
	s_add_i32 s5, s3, s1
	s_lshl_b64 s[4:5], s[4:5], 4
	v_lshlrev_b64 v[0:1], 4, v[0:1]
	s_add_u32 s3, s22, s4
	s_addc_u32 s4, s23, s5
	s_xor_b32 s5, s9, -1
	s_or_b32 s5, s6, s5
	v_add_co_u32 v8, s1, s3, v0
	v_add_co_ci_u32_e64 v9, null, s4, v1, s1
	v_cndmask_b32_e64 v26, 0, 1, s5
	s_and_b32 s6, s0, vcc_lo
	s_and_saveexec_b32 s1, s6
	s_cbranch_execz .LBB112_19
; %bb.16:
	v_mul_f64 v[0:1], s[18:19], v[24:25]
	v_mul_f64 v[2:3], s[16:17], v[24:25]
	v_lshlrev_b64 v[6:7], 4, v[4:5]
	v_add_co_u32 v6, vcc_lo, v8, v6
	v_add_co_ci_u32_e64 v7, null, v9, v7, vcc_lo
	s_andn2_b32 vcc_lo, exec_lo, s5
	v_fma_f64 v[0:1], s[16:17], v[22:23], -v[0:1]
	v_fma_f64 v[2:3], s[18:19], v[22:23], v[2:3]
	s_cbranch_vccnz .LBB112_18
; %bb.17:
	global_load_dwordx4 v[22:25], v[6:7], off
	s_waitcnt vmcnt(0)
	v_mul_f64 v[28:29], s[14:15], v[24:25]
	v_mul_f64 v[24:25], s[12:13], v[24:25]
	v_fma_f64 v[28:29], s[12:13], v[22:23], -v[28:29]
	v_fma_f64 v[22:23], s[14:15], v[22:23], v[24:25]
	v_add_f64 v[0:1], v[0:1], v[28:29]
	v_add_f64 v[2:3], v[2:3], v[22:23]
.LBB112_18:
	global_store_dwordx4 v[6:7], v[0:3], off
.LBB112_19:
	s_or_b32 exec_lo, exec_lo, s1
	v_add_nc_u32_e32 v6, 16, v4
	v_cmp_le_i32_e32 vcc_lo, v6, v27
	v_ashrrev_i32_e32 v7, 31, v6
	s_and_b32 s0, s0, vcc_lo
	s_and_saveexec_b32 s1, s0
	s_cbranch_execz .LBB112_23
; %bb.20:
	v_mul_f64 v[0:1], s[18:19], v[16:17]
	v_mul_f64 v[2:3], s[16:17], v[16:17]
	v_cmp_ne_u32_e32 vcc_lo, 1, v26
	s_and_b32 vcc_lo, exec_lo, vcc_lo
	v_fma_f64 v[0:1], s[16:17], v[14:15], -v[0:1]
	v_fma_f64 v[2:3], s[18:19], v[14:15], v[2:3]
	v_lshlrev_b64 v[14:15], 4, v[6:7]
	v_add_co_u32 v8, s0, v8, v14
	v_add_co_ci_u32_e64 v9, null, v9, v15, s0
	s_cbranch_vccnz .LBB112_22
; %bb.21:
	global_load_dwordx4 v[14:17], v[8:9], off
	s_waitcnt vmcnt(0)
	v_mul_f64 v[22:23], s[14:15], v[16:17]
	v_mul_f64 v[16:17], s[12:13], v[16:17]
	v_fma_f64 v[22:23], s[12:13], v[14:15], -v[22:23]
	v_fma_f64 v[14:15], s[14:15], v[14:15], v[16:17]
	v_add_f64 v[0:1], v[0:1], v[22:23]
	v_add_f64 v[2:3], v[2:3], v[14:15]
.LBB112_22:
	global_store_dwordx4 v[8:9], v[0:3], off
.LBB112_23:
	s_or_b32 exec_lo, exec_lo, s1
	v_add_nc_u32_e32 v14, 16, v27
	v_mad_i64_i32 v[0:1], null, v14, s2, 0
	v_cmp_gt_i32_e64 s0, s10, v14
	v_cmp_le_i32_e32 vcc_lo, v4, v14
	v_lshlrev_b64 v[0:1], 4, v[0:1]
	v_add_co_u32 v8, s1, s3, v0
	v_add_co_ci_u32_e64 v9, null, s4, v1, s1
	s_and_b32 s1, s0, vcc_lo
	s_and_saveexec_b32 s2, s1
	s_cbranch_execz .LBB112_27
; %bb.24:
	v_mul_f64 v[0:1], s[18:19], v[20:21]
	v_mul_f64 v[2:3], s[16:17], v[20:21]
	v_lshlrev_b64 v[4:5], 4, v[4:5]
	v_cmp_ne_u32_e32 vcc_lo, 1, v26
	s_and_b32 vcc_lo, exec_lo, vcc_lo
	v_add_co_u32 v4, s1, v8, v4
	v_add_co_ci_u32_e64 v5, null, v9, v5, s1
	v_fma_f64 v[0:1], s[16:17], v[18:19], -v[0:1]
	v_fma_f64 v[2:3], s[18:19], v[18:19], v[2:3]
	s_cbranch_vccnz .LBB112_26
; %bb.25:
	global_load_dwordx4 v[15:18], v[4:5], off
	s_waitcnt vmcnt(0)
	v_mul_f64 v[19:20], s[14:15], v[17:18]
	v_mul_f64 v[17:18], s[12:13], v[17:18]
	v_fma_f64 v[19:20], s[12:13], v[15:16], -v[19:20]
	v_fma_f64 v[15:16], s[14:15], v[15:16], v[17:18]
	v_add_f64 v[0:1], v[0:1], v[19:20]
	v_add_f64 v[2:3], v[2:3], v[15:16]
.LBB112_26:
	global_store_dwordx4 v[4:5], v[0:3], off
.LBB112_27:
	s_or_b32 exec_lo, exec_lo, s2
	v_cmp_le_i32_e32 vcc_lo, v6, v14
	s_and_b32 s0, s0, vcc_lo
	s_and_saveexec_b32 s1, s0
	s_cbranch_execz .LBB112_32
; %bb.28:
	v_mul_f64 v[0:1], s[18:19], v[10:11]
	v_mul_f64 v[2:3], s[16:17], v[10:11]
	v_lshlrev_b64 v[4:5], 4, v[6:7]
	v_cmp_ne_u32_e32 vcc_lo, 1, v26
	s_and_b32 vcc_lo, exec_lo, vcc_lo
	v_add_co_u32 v4, s0, v8, v4
	v_add_co_ci_u32_e64 v5, null, v9, v5, s0
	v_fma_f64 v[0:1], s[16:17], v[12:13], -v[0:1]
	v_fma_f64 v[2:3], s[18:19], v[12:13], v[2:3]
	s_cbranch_vccnz .LBB112_30
; %bb.29:
	global_load_dwordx4 v[6:9], v[4:5], off
	s_waitcnt vmcnt(0)
	v_mul_f64 v[10:11], s[14:15], v[8:9]
	v_mul_f64 v[8:9], s[12:13], v[8:9]
	v_fma_f64 v[10:11], s[12:13], v[6:7], -v[10:11]
	v_fma_f64 v[6:7], s[14:15], v[6:7], v[8:9]
	v_add_f64 v[0:1], v[0:1], v[10:11]
	v_add_f64 v[2:3], v[2:3], v[6:7]
.LBB112_30:
	global_store_dwordx4 v[4:5], v[0:3], off
	s_endpgm
.LBB112_31:
.LBB112_32:
	s_endpgm
	.section	.rodata,"a",@progbits
	.p2align	6, 0x0
	.amdhsa_kernel _ZL29rocblas_internal_gemmt_kernelIiLi16ELi32ELi8ELc84ELc84ELc85ELb0ELb0E19rocblas_complex_numIdEPKS1_S3_PS1_EviT_T9_T10_S5_lS7_S5_lS6_T11_S5_li
		.amdhsa_group_segment_fixed_size 8192
		.amdhsa_private_segment_fixed_size 0
		.amdhsa_kernarg_size 100
		.amdhsa_user_sgpr_count 6
		.amdhsa_user_sgpr_private_segment_buffer 1
		.amdhsa_user_sgpr_dispatch_ptr 0
		.amdhsa_user_sgpr_queue_ptr 0
		.amdhsa_user_sgpr_kernarg_segment_ptr 1
		.amdhsa_user_sgpr_dispatch_id 0
		.amdhsa_user_sgpr_flat_scratch_init 0
		.amdhsa_user_sgpr_private_segment_size 0
		.amdhsa_wavefront_size32 1
		.amdhsa_uses_dynamic_stack 0
		.amdhsa_system_sgpr_private_segment_wavefront_offset 0
		.amdhsa_system_sgpr_workgroup_id_x 1
		.amdhsa_system_sgpr_workgroup_id_y 1
		.amdhsa_system_sgpr_workgroup_id_z 1
		.amdhsa_system_sgpr_workgroup_info 0
		.amdhsa_system_vgpr_workitem_id 1
		.amdhsa_next_free_vgpr 56
		.amdhsa_next_free_sgpr 31
		.amdhsa_reserve_vcc 1
		.amdhsa_reserve_flat_scratch 0
		.amdhsa_float_round_mode_32 0
		.amdhsa_float_round_mode_16_64 0
		.amdhsa_float_denorm_mode_32 3
		.amdhsa_float_denorm_mode_16_64 3
		.amdhsa_dx10_clamp 1
		.amdhsa_ieee_mode 1
		.amdhsa_fp16_overflow 0
		.amdhsa_workgroup_processor_mode 1
		.amdhsa_memory_ordered 1
		.amdhsa_forward_progress 1
		.amdhsa_shared_vgpr_count 0
		.amdhsa_exception_fp_ieee_invalid_op 0
		.amdhsa_exception_fp_denorm_src 0
		.amdhsa_exception_fp_ieee_div_zero 0
		.amdhsa_exception_fp_ieee_overflow 0
		.amdhsa_exception_fp_ieee_underflow 0
		.amdhsa_exception_fp_ieee_inexact 0
		.amdhsa_exception_int_div_zero 0
	.end_amdhsa_kernel
	.section	.text._ZL29rocblas_internal_gemmt_kernelIiLi16ELi32ELi8ELc84ELc84ELc85ELb0ELb0E19rocblas_complex_numIdEPKS1_S3_PS1_EviT_T9_T10_S5_lS7_S5_lS6_T11_S5_li,"axG",@progbits,_ZL29rocblas_internal_gemmt_kernelIiLi16ELi32ELi8ELc84ELc84ELc85ELb0ELb0E19rocblas_complex_numIdEPKS1_S3_PS1_EviT_T9_T10_S5_lS7_S5_lS6_T11_S5_li,comdat
.Lfunc_end112:
	.size	_ZL29rocblas_internal_gemmt_kernelIiLi16ELi32ELi8ELc84ELc84ELc85ELb0ELb0E19rocblas_complex_numIdEPKS1_S3_PS1_EviT_T9_T10_S5_lS7_S5_lS6_T11_S5_li, .Lfunc_end112-_ZL29rocblas_internal_gemmt_kernelIiLi16ELi32ELi8ELc84ELc84ELc85ELb0ELb0E19rocblas_complex_numIdEPKS1_S3_PS1_EviT_T9_T10_S5_lS7_S5_lS6_T11_S5_li
                                        ; -- End function
	.set _ZL29rocblas_internal_gemmt_kernelIiLi16ELi32ELi8ELc84ELc84ELc85ELb0ELb0E19rocblas_complex_numIdEPKS1_S3_PS1_EviT_T9_T10_S5_lS7_S5_lS6_T11_S5_li.num_vgpr, 56
	.set _ZL29rocblas_internal_gemmt_kernelIiLi16ELi32ELi8ELc84ELc84ELc85ELb0ELb0E19rocblas_complex_numIdEPKS1_S3_PS1_EviT_T9_T10_S5_lS7_S5_lS6_T11_S5_li.num_agpr, 0
	.set _ZL29rocblas_internal_gemmt_kernelIiLi16ELi32ELi8ELc84ELc84ELc85ELb0ELb0E19rocblas_complex_numIdEPKS1_S3_PS1_EviT_T9_T10_S5_lS7_S5_lS6_T11_S5_li.numbered_sgpr, 31
	.set _ZL29rocblas_internal_gemmt_kernelIiLi16ELi32ELi8ELc84ELc84ELc85ELb0ELb0E19rocblas_complex_numIdEPKS1_S3_PS1_EviT_T9_T10_S5_lS7_S5_lS6_T11_S5_li.num_named_barrier, 0
	.set _ZL29rocblas_internal_gemmt_kernelIiLi16ELi32ELi8ELc84ELc84ELc85ELb0ELb0E19rocblas_complex_numIdEPKS1_S3_PS1_EviT_T9_T10_S5_lS7_S5_lS6_T11_S5_li.private_seg_size, 0
	.set _ZL29rocblas_internal_gemmt_kernelIiLi16ELi32ELi8ELc84ELc84ELc85ELb0ELb0E19rocblas_complex_numIdEPKS1_S3_PS1_EviT_T9_T10_S5_lS7_S5_lS6_T11_S5_li.uses_vcc, 1
	.set _ZL29rocblas_internal_gemmt_kernelIiLi16ELi32ELi8ELc84ELc84ELc85ELb0ELb0E19rocblas_complex_numIdEPKS1_S3_PS1_EviT_T9_T10_S5_lS7_S5_lS6_T11_S5_li.uses_flat_scratch, 0
	.set _ZL29rocblas_internal_gemmt_kernelIiLi16ELi32ELi8ELc84ELc84ELc85ELb0ELb0E19rocblas_complex_numIdEPKS1_S3_PS1_EviT_T9_T10_S5_lS7_S5_lS6_T11_S5_li.has_dyn_sized_stack, 0
	.set _ZL29rocblas_internal_gemmt_kernelIiLi16ELi32ELi8ELc84ELc84ELc85ELb0ELb0E19rocblas_complex_numIdEPKS1_S3_PS1_EviT_T9_T10_S5_lS7_S5_lS6_T11_S5_li.has_recursion, 0
	.set _ZL29rocblas_internal_gemmt_kernelIiLi16ELi32ELi8ELc84ELc84ELc85ELb0ELb0E19rocblas_complex_numIdEPKS1_S3_PS1_EviT_T9_T10_S5_lS7_S5_lS6_T11_S5_li.has_indirect_call, 0
	.section	.AMDGPU.csdata,"",@progbits
; Kernel info:
; codeLenInByte = 3576
; TotalNumSgprs: 33
; NumVgprs: 56
; ScratchSize: 0
; MemoryBound: 0
; FloatMode: 240
; IeeeMode: 1
; LDSByteSize: 8192 bytes/workgroup (compile time only)
; SGPRBlocks: 0
; VGPRBlocks: 6
; NumSGPRsForWavesPerEU: 33
; NumVGPRsForWavesPerEU: 56
; Occupancy: 16
; WaveLimiterHint : 0
; COMPUTE_PGM_RSRC2:SCRATCH_EN: 0
; COMPUTE_PGM_RSRC2:USER_SGPR: 6
; COMPUTE_PGM_RSRC2:TRAP_HANDLER: 0
; COMPUTE_PGM_RSRC2:TGID_X_EN: 1
; COMPUTE_PGM_RSRC2:TGID_Y_EN: 1
; COMPUTE_PGM_RSRC2:TGID_Z_EN: 1
; COMPUTE_PGM_RSRC2:TIDIG_COMP_CNT: 1
	.section	.text._ZL29rocblas_internal_gemmt_kernelIiLi16ELi32ELi8ELc84ELc67ELc85ELb0ELb1E19rocblas_complex_numIdEPKS1_S3_PS1_EviT_T9_T10_S5_lS7_S5_lS6_T11_S5_li,"axG",@progbits,_ZL29rocblas_internal_gemmt_kernelIiLi16ELi32ELi8ELc84ELc67ELc85ELb0ELb1E19rocblas_complex_numIdEPKS1_S3_PS1_EviT_T9_T10_S5_lS7_S5_lS6_T11_S5_li,comdat
	.globl	_ZL29rocblas_internal_gemmt_kernelIiLi16ELi32ELi8ELc84ELc67ELc85ELb0ELb1E19rocblas_complex_numIdEPKS1_S3_PS1_EviT_T9_T10_S5_lS7_S5_lS6_T11_S5_li ; -- Begin function _ZL29rocblas_internal_gemmt_kernelIiLi16ELi32ELi8ELc84ELc67ELc85ELb0ELb1E19rocblas_complex_numIdEPKS1_S3_PS1_EviT_T9_T10_S5_lS7_S5_lS6_T11_S5_li
	.p2align	8
	.type	_ZL29rocblas_internal_gemmt_kernelIiLi16ELi32ELi8ELc84ELc67ELc85ELb0ELb1E19rocblas_complex_numIdEPKS1_S3_PS1_EviT_T9_T10_S5_lS7_S5_lS6_T11_S5_li,@function
_ZL29rocblas_internal_gemmt_kernelIiLi16ELi32ELi8ELc84ELc67ELc85ELb0ELb1E19rocblas_complex_numIdEPKS1_S3_PS1_EviT_T9_T10_S5_lS7_S5_lS6_T11_S5_li: ; @_ZL29rocblas_internal_gemmt_kernelIiLi16ELi32ELi8ELc84ELc67ELc85ELb0ELb1E19rocblas_complex_numIdEPKS1_S3_PS1_EviT_T9_T10_S5_lS7_S5_lS6_T11_S5_li
; %bb.0:
	s_load_dwordx4 s[20:23], s[4:5], 0x38
	s_waitcnt lgkmcnt(0)
	s_load_dwordx4 s[12:15], s[22:23], 0x0
	s_clause 0x1
	s_load_dwordx4 s[0:3], s[4:5], 0x8
	s_load_dwordx2 s[10:11], s[4:5], 0x0
	s_waitcnt lgkmcnt(0)
	s_load_dwordx4 s[16:19], s[0:1], 0x0
	v_cmp_eq_f64_e64 s22, s[12:13], 1.0
	v_cmp_eq_f64_e64 s9, s[14:15], 0
	s_and_b32 s0, s22, s9
	s_andn2_b32 vcc_lo, exec_lo, s0
	s_mov_b32 s0, -1
	s_cbranch_vccnz .LBB113_3
; %bb.1:
	s_cmp_lg_u32 s11, 0
	s_cbranch_scc0 .LBB113_29
; %bb.2:
	s_waitcnt lgkmcnt(0)
	v_cmp_neq_f64_e64 s0, s[16:17], 0
	v_cmp_neq_f64_e64 s1, s[18:19], 0
	s_or_b32 s0, s0, s1
.LBB113_3:
	s_and_b32 vcc_lo, exec_lo, s0
	s_cbranch_vccz .LBB113_30
; %bb.4:
	s_waitcnt lgkmcnt(0)
	v_cmp_eq_f64_e64 s0, s[16:17], 0
	v_cmp_eq_f64_e64 s1, s[18:19], 0
	s_load_dwordx2 s[22:23], s[4:5], 0x48
	s_lshl_b32 s28, s6, 5
	s_lshl_b32 s29, s7, 5
	v_mov_b32_e32 v23, 0
	v_mov_b32_e32 v25, 0
	;; [unrolled: 1-line block ×16, first 2 shown]
	s_mov_b32 s30, 0
	s_and_b32 s0, s0, s1
	s_cmp_lt_i32 s11, 1
	s_cselect_b32 s1, -1, 0
	s_or_b32 s0, s0, s1
	s_and_b32 vcc_lo, exec_lo, s0
	s_cbranch_vccnz .LBB113_13
; %bb.5:
	s_clause 0x2
	s_load_dword s1, s[4:5], 0x18
	s_load_dwordx4 s[24:27], s[4:5], 0x20
	s_load_dword s6, s[4:5], 0x30
	v_lshl_add_u32 v2, v1, 4, v0
	v_and_b32_e32 v27, 7, v0
	v_mov_b32_e32 v9, 0
	v_mov_b32_e32 v17, 0
	;; [unrolled: 1-line block ×3, first 2 shown]
	v_and_b32_e32 v3, 31, v2
	v_lshrrev_b32_e32 v4, 3, v2
	v_lshlrev_b32_e32 v5, 4, v27
	v_lshrrev_b32_e32 v30, 5, v2
	v_mov_b32_e32 v21, 0
	v_or_b32_e32 v6, s28, v3
	v_lshlrev_b32_e32 v7, 4, v3
	v_add_nc_u32_e32 v3, s28, v3
	v_add_nc_u32_e32 v2, s29, v4
	v_lshl_or_b32 v8, v4, 7, v5
	v_cmp_gt_i32_e64 s0, s10, v6
	v_lshl_or_b32 v31, v30, 9, v7
	v_mov_b32_e32 v19, 0
	s_waitcnt lgkmcnt(0)
	v_mad_i64_i32 v[4:5], null, s1, v3, 0
	v_mad_i64_i32 v[6:7], null, s6, v27, 0
	s_mul_i32 s1, s25, s8
	s_mul_hi_u32 s25, s24, s8
	v_ashrrev_i32_e32 v3, 31, v2
	s_add_i32 s25, s25, s1
	v_lshlrev_b64 v[4:5], 4, v[4:5]
	s_mul_i32 s24, s24, s8
	s_mul_i32 s1, s21, s8
	s_mul_hi_u32 s21, s20, s8
	v_lshlrev_b64 v[6:7], 4, v[6:7]
	s_lshl_b64 s[24:25], s[24:25], 4
	s_add_i32 s21, s21, s1
	s_mul_i32 s20, s20, s8
	v_add_co_u32 v4, s1, v4, s24
	s_lshl_b64 s[20:21], s[20:21], 4
	v_cmp_gt_i32_e32 vcc_lo, s10, v2
	v_lshlrev_b64 v[2:3], 4, v[2:3]
	v_add_co_ci_u32_e64 v5, null, s25, v5, s1
	v_add_co_u32 v6, s1, s20, v6
	v_add_co_ci_u32_e64 v7, null, s21, v7, s1
	v_add_nc_u32_e32 v32, 0x1000, v8
	v_lshlrev_b32_e32 v8, 4, v30
	v_add_co_u32 v2, s1, v6, v2
	v_add_co_ci_u32_e64 v3, null, v7, v3, s1
	v_add_co_u32 v4, s1, v4, v8
	v_add_co_ci_u32_e64 v5, null, 0, v5, s1
	;; [unrolled: 2-line block ×4, first 2 shown]
	v_add_co_u32 v13, s1, v2, 8
	v_mov_b32_e32 v7, 0
	v_mov_b32_e32 v25, 0
	v_mov_b32_e32 v23, 0
	v_lshlrev_b32_e32 v28, 4, v0
	v_lshl_add_u32 v29, v1, 7, 0x1000
	v_add_co_ci_u32_e64 v14, null, 0, v3, s1
	v_mov_b32_e32 v8, 0
	v_mov_b32_e32 v10, 0
	v_mov_b32_e32 v18, 0
	v_mov_b32_e32 v16, 0
	v_mov_b32_e32 v22, 0
	v_mov_b32_e32 v20, 0
	v_mov_b32_e32 v26, 0
	v_mov_b32_e32 v24, 0
	v_mov_b32_e32 v2, 0
	s_ashr_i32 s7, s6, 31
	s_xor_b32 s1, s0, -1
	s_lshl_b64 s[2:3], s[6:7], 7
	s_branch .LBB113_7
.LBB113_6:                              ;   in Loop: Header=BB113_7 Depth=1
	s_or_b32 exec_lo, exec_lo, s0
	ds_write_b128 v32, v[3:6]
	s_waitcnt lgkmcnt(0)
	s_barrier
	buffer_gl0_inv
	ds_read_b128 v[3:6], v29
	ds_read_b128 v[33:36], v28
	ds_read_b128 v[37:40], v28 offset:256
	ds_read_b128 v[41:44], v29 offset:2048
	;; [unrolled: 1-line block ×12, first 2 shown]
	v_add_co_u32 v11, s0, 0x80, v11
	v_add_co_ci_u32_e64 v12, null, 0, v12, s0
	v_add_co_u32 v13, s0, v13, s2
	v_add_co_ci_u32_e64 v14, null, s3, v14, s0
	s_waitcnt lgkmcnt(12)
	v_mul_f64 v[85:86], v[5:6], v[35:36]
	v_mul_f64 v[87:88], v[3:4], v[35:36]
	s_waitcnt lgkmcnt(11)
	v_mul_f64 v[89:90], v[5:6], v[39:40]
	v_mul_f64 v[91:92], v[3:4], v[39:40]
	;; [unrolled: 3-line block ×3, first 2 shown]
	v_mul_f64 v[95:96], v[43:44], v[39:40]
	v_mul_f64 v[39:40], v[41:42], v[39:40]
	s_waitcnt lgkmcnt(8)
	v_mul_f64 v[97:98], v[47:48], v[51:52]
	v_mul_f64 v[99:100], v[45:46], v[51:52]
	s_waitcnt lgkmcnt(7)
	;; [unrolled: 3-line block ×3, first 2 shown]
	v_mul_f64 v[105:106], v[59:60], v[51:52]
	v_mul_f64 v[51:52], v[57:58], v[51:52]
	v_mul_f64 v[107:108], v[59:60], v[55:56]
	v_mul_f64 v[55:56], v[57:58], v[55:56]
	s_waitcnt lgkmcnt(4)
	v_mul_f64 v[109:110], v[63:64], v[67:68]
	v_mul_f64 v[111:112], v[61:62], v[67:68]
	s_waitcnt lgkmcnt(3)
	v_mul_f64 v[113:114], v[63:64], v[71:72]
	v_mul_f64 v[115:116], v[61:62], v[71:72]
	s_waitcnt lgkmcnt(2)
	v_mul_f64 v[117:118], v[75:76], v[67:68]
	v_mul_f64 v[67:68], v[73:74], v[67:68]
	v_fma_f64 v[85:86], v[3:4], v[33:34], -v[85:86]
	v_fma_f64 v[87:88], v[5:6], v[33:34], v[87:88]
	v_fma_f64 v[89:90], v[3:4], v[37:38], -v[89:90]
	v_fma_f64 v[91:92], v[5:6], v[37:38], v[91:92]
	v_fma_f64 v[93:94], v[41:42], v[33:34], -v[93:94]
	v_fma_f64 v[119:120], v[43:44], v[33:34], v[35:36]
	v_fma_f64 v[95:96], v[41:42], v[37:38], -v[95:96]
	v_fma_f64 v[121:122], v[43:44], v[37:38], v[39:40]
	v_mul_f64 v[123:124], v[75:76], v[71:72]
	v_mul_f64 v[71:72], v[73:74], v[71:72]
	v_fma_f64 v[97:98], v[45:46], v[49:50], -v[97:98]
	v_fma_f64 v[99:100], v[47:48], v[49:50], v[99:100]
	v_fma_f64 v[101:102], v[45:46], v[53:54], -v[101:102]
	v_fma_f64 v[103:104], v[47:48], v[53:54], v[103:104]
	;; [unrolled: 2-line block ×7, first 2 shown]
	v_add_f64 v[23:24], v[23:24], v[85:86]
	v_add_f64 v[25:26], v[87:88], v[25:26]
	;; [unrolled: 1-line block ×6, first 2 shown]
	v_fma_f64 v[73:74], v[73:74], v[69:70], -v[123:124]
	v_fma_f64 v[69:70], v[75:76], v[69:70], v[71:72]
	v_add_f64 v[71:72], v[15:16], v[93:94]
	v_add_f64 v[75:76], v[119:120], v[17:18]
	ds_read_b128 v[3:6], v28 offset:1536
	ds_read_b128 v[33:36], v28 offset:1792
	;; [unrolled: 1-line block ×7, first 2 shown]
	s_add_i32 s30, s30, 8
	s_cmp_lt_i32 s30, s11
	v_add_f64 v[97:98], v[23:24], v[97:98]
	v_add_f64 v[99:100], v[99:100], v[25:26]
	;; [unrolled: 1-line block ×6, first 2 shown]
	ds_read_b128 v[19:22], v28 offset:2560
	ds_read_b128 v[23:26], v28 offset:2816
	s_waitcnt lgkmcnt(8)
	v_mul_f64 v[109:110], v[79:80], v[5:6]
	v_mul_f64 v[111:112], v[77:78], v[5:6]
	s_waitcnt lgkmcnt(7)
	v_mul_f64 v[67:68], v[79:80], v[35:36]
	v_mul_f64 v[113:114], v[77:78], v[35:36]
	;; [unrolled: 1-line block ×6, first 2 shown]
	s_waitcnt lgkmcnt(4)
	v_mul_f64 v[95:96], v[39:40], v[47:48]
	v_add_f64 v[71:72], v[71:72], v[105:106]
	v_add_f64 v[75:76], v[125:126], v[75:76]
	v_mul_f64 v[93:94], v[37:38], v[43:44]
	ds_read_b128 v[5:8], v29 offset:80
	v_add_f64 v[55:56], v[97:98], v[55:56]
	v_add_f64 v[59:60], v[59:60], v[99:100]
	;; [unrolled: 1-line block ×6, first 2 shown]
	s_waitcnt lgkmcnt(2)
	v_mul_f64 v[99:100], v[17:18], v[21:22]
	s_waitcnt lgkmcnt(1)
	v_mul_f64 v[101:102], v[17:18], v[25:26]
	v_fma_f64 v[89:90], v[77:78], v[3:4], -v[109:110]
	v_fma_f64 v[91:92], v[79:80], v[3:4], v[111:112]
	v_fma_f64 v[67:68], v[77:78], v[33:34], -v[67:68]
	v_mul_f64 v[77:78], v[39:40], v[43:44]
	v_mul_f64 v[109:110], v[37:38], v[47:48]
	v_fma_f64 v[79:80], v[79:80], v[33:34], v[113:114]
	v_mul_f64 v[111:112], v[51:52], v[43:44]
	v_mul_f64 v[43:44], v[49:50], v[43:44]
	v_fma_f64 v[57:58], v[81:82], v[3:4], -v[115:116]
	v_fma_f64 v[3:4], v[83:84], v[3:4], v[117:118]
	v_fma_f64 v[81:82], v[81:82], v[33:34], -v[87:88]
	v_fma_f64 v[83:84], v[83:84], v[33:34], v[35:36]
	v_fma_f64 v[87:88], v[37:38], v[45:46], -v[95:96]
	v_mul_f64 v[95:96], v[51:52], v[47:48]
	v_mul_f64 v[47:48], v[49:50], v[47:48]
	v_add_f64 v[71:72], v[71:72], v[107:108]
	v_add_f64 v[65:66], v[65:66], v[75:76]
	v_fma_f64 v[85:86], v[39:40], v[41:42], v[93:94]
	s_waitcnt lgkmcnt(0)
	v_mul_f64 v[69:70], v[7:8], v[21:22]
	v_mul_f64 v[73:74], v[5:6], v[21:22]
	;; [unrolled: 1-line block ×6, first 2 shown]
	v_add_f64 v[55:56], v[55:56], v[89:90]
	v_fma_f64 v[77:78], v[37:38], v[41:42], -v[77:78]
	v_fma_f64 v[93:94], v[39:40], v[45:46], v[109:110]
	v_add_f64 v[59:60], v[91:92], v[59:60]
	v_fma_f64 v[105:106], v[49:50], v[41:42], -v[111:112]
	v_fma_f64 v[109:110], v[51:52], v[41:42], v[43:44]
	v_add_f64 v[61:62], v[61:62], v[67:68]
	v_add_f64 v[63:64], v[79:80], v[63:64]
	;; [unrolled: 1-line block ×4, first 2 shown]
	ds_read_b128 v[33:36], v29 offset:96
	ds_read_b128 v[37:40], v28 offset:3072
	v_fma_f64 v[49:50], v[49:50], v[45:46], -v[95:96]
	v_fma_f64 v[51:52], v[51:52], v[45:46], v[47:48]
	v_add_f64 v[57:58], v[71:72], v[57:58]
	v_add_f64 v[65:66], v[3:4], v[65:66]
	ds_read_b128 v[41:44], v28 offset:3328
	ds_read_b128 v[45:48], v29 offset:2144
	v_fma_f64 v[69:70], v[5:6], v[19:20], -v[69:70]
	v_fma_f64 v[71:72], v[7:8], v[19:20], v[73:74]
	v_fma_f64 v[73:74], v[5:6], v[23:24], -v[75:76]
	v_fma_f64 v[75:76], v[7:8], v[23:24], v[97:98]
	;; [unrolled: 2-line block ×4, first 2 shown]
	v_add_f64 v[55:56], v[55:56], v[77:78]
	v_add_f64 v[59:60], v[85:86], v[59:60]
	ds_read_b128 v[3:6], v29 offset:112
	ds_read_b128 v[7:10], v29 offset:2160
	v_add_f64 v[61:62], v[61:62], v[87:88]
	v_add_f64 v[63:64], v[93:94], v[63:64]
	s_waitcnt lgkmcnt(4)
	v_mul_f64 v[89:90], v[35:36], v[39:40]
	v_mul_f64 v[25:26], v[33:34], v[39:40]
	ds_read_b128 v[15:18], v28 offset:3584
	ds_read_b128 v[19:22], v28 offset:3840
	v_add_f64 v[49:50], v[67:68], v[49:50]
	s_waitcnt lgkmcnt(5)
	v_mul_f64 v[91:92], v[35:36], v[43:44]
	v_mul_f64 v[95:96], v[33:34], v[43:44]
	s_waitcnt lgkmcnt(4)
	v_mul_f64 v[97:98], v[47:48], v[39:40]
	v_mul_f64 v[39:40], v[45:46], v[39:40]
	v_add_f64 v[57:58], v[57:58], v[105:106]
	v_add_f64 v[65:66], v[109:110], v[65:66]
	;; [unrolled: 1-line block ×3, first 2 shown]
	v_mul_f64 v[53:54], v[47:48], v[43:44]
	v_mul_f64 v[43:44], v[45:46], v[43:44]
	s_waitcnt lgkmcnt(0)
	s_barrier
	buffer_gl0_inv
	v_fma_f64 v[67:68], v[33:34], v[37:38], -v[89:90]
	v_fma_f64 v[25:26], v[35:36], v[37:38], v[25:26]
	v_add_f64 v[49:50], v[49:50], v[83:84]
	v_fma_f64 v[33:34], v[33:34], v[41:42], -v[91:92]
	v_fma_f64 v[35:36], v[35:36], v[41:42], v[95:96]
	v_fma_f64 v[77:78], v[45:46], v[37:38], -v[97:98]
	v_fma_f64 v[37:38], v[47:48], v[37:38], v[39:40]
	v_add_f64 v[39:40], v[55:56], v[69:70]
	v_add_f64 v[55:56], v[71:72], v[59:60]
	;; [unrolled: 1-line block ×7, first 2 shown]
	v_fma_f64 v[45:46], v[45:46], v[41:42], -v[53:54]
	v_fma_f64 v[41:42], v[47:48], v[41:42], v[43:44]
	v_mul_f64 v[43:44], v[5:6], v[17:18]
	v_mul_f64 v[47:48], v[3:4], v[17:18]
	;; [unrolled: 1-line block ×8, first 2 shown]
	v_add_f64 v[39:40], v[39:40], v[67:68]
	v_add_f64 v[25:26], v[25:26], v[55:56]
	;; [unrolled: 1-line block ×8, first 2 shown]
	v_fma_f64 v[23:24], v[3:4], v[15:16], -v[43:44]
	v_fma_f64 v[43:44], v[5:6], v[15:16], v[47:48]
	v_fma_f64 v[3:4], v[3:4], v[19:20], -v[51:52]
	v_fma_f64 v[5:6], v[5:6], v[19:20], v[53:54]
	;; [unrolled: 2-line block ×4, first 2 shown]
	v_add_f64 v[23:24], v[39:40], v[23:24]
	v_add_f64 v[25:26], v[43:44], v[25:26]
	;; [unrolled: 1-line block ×8, first 2 shown]
	s_cbranch_scc0 .LBB113_13
.LBB113_7:                              ; =>This Inner Loop Header: Depth=1
	v_add_nc_u32_e32 v3, s30, v30
	v_cmp_le_i32_e64 s0, s11, v3
	s_or_b32 s0, s1, s0
	s_and_saveexec_b32 s6, s0
	s_xor_b32 s0, exec_lo, s6
	s_cbranch_execz .LBB113_9
; %bb.8:                                ;   in Loop: Header=BB113_7 Depth=1
	v_mov_b32_e32 v3, v2
	v_mov_b32_e32 v4, v2
	v_mov_b32_e32 v5, v2
	ds_write_b128 v31, v[2:5]
.LBB113_9:                              ;   in Loop: Header=BB113_7 Depth=1
	s_andn2_saveexec_b32 s0, s0
	s_cbranch_execz .LBB113_11
; %bb.10:                               ;   in Loop: Header=BB113_7 Depth=1
	global_load_dwordx4 v[3:6], v[11:12], off
	s_waitcnt vmcnt(0)
	ds_write2_b64 v31, v[3:4], v[5:6] offset1:1
.LBB113_11:                             ;   in Loop: Header=BB113_7 Depth=1
	s_or_b32 exec_lo, exec_lo, s0
	v_add_nc_u32_e32 v3, s30, v27
	v_mov_b32_e32 v5, 0
	v_mov_b32_e32 v6, 0
	v_cmp_gt_i32_e64 s0, s11, v3
	v_mov_b32_e32 v3, 0
	v_mov_b32_e32 v4, 0
	s_and_b32 s6, s0, vcc_lo
	s_and_saveexec_b32 s0, s6
	s_cbranch_execz .LBB113_6
; %bb.12:                               ;   in Loop: Header=BB113_7 Depth=1
	global_load_dwordx4 v[3:6], v[13:14], off offset:-8
	s_waitcnt vmcnt(0)
	v_xor_b32_e32 v6, 0x80000000, v6
	s_branch .LBB113_6
.LBB113_13:
	s_clause 0x1
	s_load_dword s2, s[4:5], 0x50
	s_load_dwordx2 s[4:5], s[4:5], 0x58
	v_cmp_neq_f64_e64 s6, s[12:13], 0
	v_add_nc_u32_e32 v27, s29, v1
	v_add_nc_u32_e32 v4, s28, v0
	v_cmp_gt_i32_e64 s0, s10, v27
	v_cmp_le_i32_e32 vcc_lo, v4, v27
	v_ashrrev_i32_e32 v5, 31, v4
	s_waitcnt lgkmcnt(0)
	v_mad_i64_i32 v[0:1], null, v27, s2, 0
	s_mul_i32 s1, s5, s8
	s_mul_hi_u32 s3, s4, s8
	s_mul_i32 s4, s4, s8
	s_add_i32 s5, s3, s1
	s_lshl_b64 s[4:5], s[4:5], 4
	v_lshlrev_b64 v[0:1], 4, v[0:1]
	s_add_u32 s3, s22, s4
	s_addc_u32 s4, s23, s5
	s_xor_b32 s5, s9, -1
	s_or_b32 s5, s6, s5
	v_add_co_u32 v13, s1, s3, v0
	v_add_co_ci_u32_e64 v14, null, s4, v1, s1
	v_cndmask_b32_e64 v6, 0, 1, s5
	s_and_b32 s6, s0, vcc_lo
	s_and_saveexec_b32 s1, s6
	s_cbranch_execz .LBB113_17
; %bb.14:
	v_mul_f64 v[0:1], s[18:19], v[25:26]
	v_mul_f64 v[2:3], s[16:17], v[25:26]
	v_lshlrev_b64 v[11:12], 4, v[4:5]
	v_add_co_u32 v11, vcc_lo, v13, v11
	v_add_co_ci_u32_e64 v12, null, v14, v12, vcc_lo
	s_andn2_b32 vcc_lo, exec_lo, s5
	v_fma_f64 v[0:1], s[16:17], v[23:24], -v[0:1]
	v_fma_f64 v[2:3], s[18:19], v[23:24], v[2:3]
	s_cbranch_vccnz .LBB113_16
; %bb.15:
	global_load_dwordx4 v[23:26], v[11:12], off
	s_waitcnt vmcnt(0)
	v_mul_f64 v[28:29], s[14:15], v[25:26]
	v_mul_f64 v[25:26], s[12:13], v[25:26]
	v_fma_f64 v[28:29], s[12:13], v[23:24], -v[28:29]
	v_fma_f64 v[23:24], s[14:15], v[23:24], v[25:26]
	v_add_f64 v[0:1], v[0:1], v[28:29]
	v_add_f64 v[2:3], v[2:3], v[23:24]
.LBB113_16:
	global_store_dwordx4 v[11:12], v[0:3], off
.LBB113_17:
	s_or_b32 exec_lo, exec_lo, s1
	v_add_nc_u32_e32 v11, 16, v4
	v_cmp_le_i32_e32 vcc_lo, v11, v27
	v_ashrrev_i32_e32 v12, 31, v11
	s_and_b32 s0, s0, vcc_lo
	s_and_saveexec_b32 s1, s0
	s_cbranch_execz .LBB113_21
; %bb.18:
	v_mul_f64 v[0:1], s[18:19], v[21:22]
	v_mul_f64 v[2:3], s[16:17], v[21:22]
	v_cmp_ne_u32_e32 vcc_lo, 1, v6
	s_and_b32 vcc_lo, exec_lo, vcc_lo
	v_fma_f64 v[0:1], s[16:17], v[19:20], -v[0:1]
	v_fma_f64 v[2:3], s[18:19], v[19:20], v[2:3]
	v_lshlrev_b64 v[19:20], 4, v[11:12]
	v_add_co_u32 v13, s0, v13, v19
	v_add_co_ci_u32_e64 v14, null, v14, v20, s0
	s_cbranch_vccnz .LBB113_20
; %bb.19:
	global_load_dwordx4 v[19:22], v[13:14], off
	s_waitcnt vmcnt(0)
	v_mul_f64 v[23:24], s[14:15], v[21:22]
	v_mul_f64 v[21:22], s[12:13], v[21:22]
	v_fma_f64 v[23:24], s[12:13], v[19:20], -v[23:24]
	v_fma_f64 v[19:20], s[14:15], v[19:20], v[21:22]
	v_add_f64 v[0:1], v[0:1], v[23:24]
	v_add_f64 v[2:3], v[2:3], v[19:20]
.LBB113_20:
	global_store_dwordx4 v[13:14], v[0:3], off
.LBB113_21:
	s_or_b32 exec_lo, exec_lo, s1
	v_add_nc_u32_e32 v19, 16, v27
	v_mad_i64_i32 v[0:1], null, v19, s2, 0
	v_cmp_gt_i32_e64 s0, s10, v19
	v_cmp_le_i32_e32 vcc_lo, v4, v19
	v_lshlrev_b64 v[0:1], 4, v[0:1]
	v_add_co_u32 v13, s1, s3, v0
	v_add_co_ci_u32_e64 v14, null, s4, v1, s1
	s_and_b32 s1, s0, vcc_lo
	s_and_saveexec_b32 s2, s1
	s_cbranch_execz .LBB113_25
; %bb.22:
	v_mul_f64 v[0:1], s[18:19], v[17:18]
	v_mul_f64 v[2:3], s[16:17], v[17:18]
	v_lshlrev_b64 v[4:5], 4, v[4:5]
	v_cmp_ne_u32_e32 vcc_lo, 1, v6
	s_and_b32 vcc_lo, exec_lo, vcc_lo
	v_add_co_u32 v4, s1, v13, v4
	v_add_co_ci_u32_e64 v5, null, v14, v5, s1
	v_fma_f64 v[0:1], s[16:17], v[15:16], -v[0:1]
	v_fma_f64 v[2:3], s[18:19], v[15:16], v[2:3]
	s_cbranch_vccnz .LBB113_24
; %bb.23:
	global_load_dwordx4 v[15:18], v[4:5], off
	s_waitcnt vmcnt(0)
	v_mul_f64 v[20:21], s[14:15], v[17:18]
	v_mul_f64 v[17:18], s[12:13], v[17:18]
	v_fma_f64 v[20:21], s[12:13], v[15:16], -v[20:21]
	v_fma_f64 v[15:16], s[14:15], v[15:16], v[17:18]
	v_add_f64 v[0:1], v[0:1], v[20:21]
	v_add_f64 v[2:3], v[2:3], v[15:16]
.LBB113_24:
	global_store_dwordx4 v[4:5], v[0:3], off
.LBB113_25:
	s_or_b32 exec_lo, exec_lo, s2
	v_cmp_le_i32_e32 vcc_lo, v11, v19
	s_and_b32 s0, s0, vcc_lo
	s_and_saveexec_b32 s1, s0
	s_cbranch_execz .LBB113_30
; %bb.26:
	v_mul_f64 v[0:1], s[18:19], v[7:8]
	v_mul_f64 v[2:3], s[16:17], v[7:8]
	v_lshlrev_b64 v[4:5], 4, v[11:12]
	v_cmp_ne_u32_e32 vcc_lo, 1, v6
	s_and_b32 vcc_lo, exec_lo, vcc_lo
	v_add_co_u32 v4, s0, v13, v4
	v_add_co_ci_u32_e64 v5, null, v14, v5, s0
	v_fma_f64 v[0:1], s[16:17], v[9:10], -v[0:1]
	v_fma_f64 v[2:3], s[18:19], v[9:10], v[2:3]
	s_cbranch_vccnz .LBB113_28
; %bb.27:
	global_load_dwordx4 v[6:9], v[4:5], off
	s_waitcnt vmcnt(0)
	v_mul_f64 v[10:11], s[14:15], v[8:9]
	v_mul_f64 v[8:9], s[12:13], v[8:9]
	v_fma_f64 v[10:11], s[12:13], v[6:7], -v[10:11]
	v_fma_f64 v[6:7], s[14:15], v[6:7], v[8:9]
	v_add_f64 v[0:1], v[0:1], v[10:11]
	v_add_f64 v[2:3], v[2:3], v[6:7]
.LBB113_28:
	global_store_dwordx4 v[4:5], v[0:3], off
	s_endpgm
.LBB113_29:
.LBB113_30:
	s_endpgm
	.section	.rodata,"a",@progbits
	.p2align	6, 0x0
	.amdhsa_kernel _ZL29rocblas_internal_gemmt_kernelIiLi16ELi32ELi8ELc84ELc67ELc85ELb0ELb1E19rocblas_complex_numIdEPKS1_S3_PS1_EviT_T9_T10_S5_lS7_S5_lS6_T11_S5_li
		.amdhsa_group_segment_fixed_size 8192
		.amdhsa_private_segment_fixed_size 0
		.amdhsa_kernarg_size 100
		.amdhsa_user_sgpr_count 6
		.amdhsa_user_sgpr_private_segment_buffer 1
		.amdhsa_user_sgpr_dispatch_ptr 0
		.amdhsa_user_sgpr_queue_ptr 0
		.amdhsa_user_sgpr_kernarg_segment_ptr 1
		.amdhsa_user_sgpr_dispatch_id 0
		.amdhsa_user_sgpr_flat_scratch_init 0
		.amdhsa_user_sgpr_private_segment_size 0
		.amdhsa_wavefront_size32 1
		.amdhsa_uses_dynamic_stack 0
		.amdhsa_system_sgpr_private_segment_wavefront_offset 0
		.amdhsa_system_sgpr_workgroup_id_x 1
		.amdhsa_system_sgpr_workgroup_id_y 1
		.amdhsa_system_sgpr_workgroup_id_z 1
		.amdhsa_system_sgpr_workgroup_info 0
		.amdhsa_system_vgpr_workitem_id 1
		.amdhsa_next_free_vgpr 127
		.amdhsa_next_free_sgpr 31
		.amdhsa_reserve_vcc 1
		.amdhsa_reserve_flat_scratch 0
		.amdhsa_float_round_mode_32 0
		.amdhsa_float_round_mode_16_64 0
		.amdhsa_float_denorm_mode_32 3
		.amdhsa_float_denorm_mode_16_64 3
		.amdhsa_dx10_clamp 1
		.amdhsa_ieee_mode 1
		.amdhsa_fp16_overflow 0
		.amdhsa_workgroup_processor_mode 1
		.amdhsa_memory_ordered 1
		.amdhsa_forward_progress 1
		.amdhsa_shared_vgpr_count 0
		.amdhsa_exception_fp_ieee_invalid_op 0
		.amdhsa_exception_fp_denorm_src 0
		.amdhsa_exception_fp_ieee_div_zero 0
		.amdhsa_exception_fp_ieee_overflow 0
		.amdhsa_exception_fp_ieee_underflow 0
		.amdhsa_exception_fp_ieee_inexact 0
		.amdhsa_exception_int_div_zero 0
	.end_amdhsa_kernel
	.section	.text._ZL29rocblas_internal_gemmt_kernelIiLi16ELi32ELi8ELc84ELc67ELc85ELb0ELb1E19rocblas_complex_numIdEPKS1_S3_PS1_EviT_T9_T10_S5_lS7_S5_lS6_T11_S5_li,"axG",@progbits,_ZL29rocblas_internal_gemmt_kernelIiLi16ELi32ELi8ELc84ELc67ELc85ELb0ELb1E19rocblas_complex_numIdEPKS1_S3_PS1_EviT_T9_T10_S5_lS7_S5_lS6_T11_S5_li,comdat
.Lfunc_end113:
	.size	_ZL29rocblas_internal_gemmt_kernelIiLi16ELi32ELi8ELc84ELc67ELc85ELb0ELb1E19rocblas_complex_numIdEPKS1_S3_PS1_EviT_T9_T10_S5_lS7_S5_lS6_T11_S5_li, .Lfunc_end113-_ZL29rocblas_internal_gemmt_kernelIiLi16ELi32ELi8ELc84ELc67ELc85ELb0ELb1E19rocblas_complex_numIdEPKS1_S3_PS1_EviT_T9_T10_S5_lS7_S5_lS6_T11_S5_li
                                        ; -- End function
	.set _ZL29rocblas_internal_gemmt_kernelIiLi16ELi32ELi8ELc84ELc67ELc85ELb0ELb1E19rocblas_complex_numIdEPKS1_S3_PS1_EviT_T9_T10_S5_lS7_S5_lS6_T11_S5_li.num_vgpr, 127
	.set _ZL29rocblas_internal_gemmt_kernelIiLi16ELi32ELi8ELc84ELc67ELc85ELb0ELb1E19rocblas_complex_numIdEPKS1_S3_PS1_EviT_T9_T10_S5_lS7_S5_lS6_T11_S5_li.num_agpr, 0
	.set _ZL29rocblas_internal_gemmt_kernelIiLi16ELi32ELi8ELc84ELc67ELc85ELb0ELb1E19rocblas_complex_numIdEPKS1_S3_PS1_EviT_T9_T10_S5_lS7_S5_lS6_T11_S5_li.numbered_sgpr, 31
	.set _ZL29rocblas_internal_gemmt_kernelIiLi16ELi32ELi8ELc84ELc67ELc85ELb0ELb1E19rocblas_complex_numIdEPKS1_S3_PS1_EviT_T9_T10_S5_lS7_S5_lS6_T11_S5_li.num_named_barrier, 0
	.set _ZL29rocblas_internal_gemmt_kernelIiLi16ELi32ELi8ELc84ELc67ELc85ELb0ELb1E19rocblas_complex_numIdEPKS1_S3_PS1_EviT_T9_T10_S5_lS7_S5_lS6_T11_S5_li.private_seg_size, 0
	.set _ZL29rocblas_internal_gemmt_kernelIiLi16ELi32ELi8ELc84ELc67ELc85ELb0ELb1E19rocblas_complex_numIdEPKS1_S3_PS1_EviT_T9_T10_S5_lS7_S5_lS6_T11_S5_li.uses_vcc, 1
	.set _ZL29rocblas_internal_gemmt_kernelIiLi16ELi32ELi8ELc84ELc67ELc85ELb0ELb1E19rocblas_complex_numIdEPKS1_S3_PS1_EviT_T9_T10_S5_lS7_S5_lS6_T11_S5_li.uses_flat_scratch, 0
	.set _ZL29rocblas_internal_gemmt_kernelIiLi16ELi32ELi8ELc84ELc67ELc85ELb0ELb1E19rocblas_complex_numIdEPKS1_S3_PS1_EviT_T9_T10_S5_lS7_S5_lS6_T11_S5_li.has_dyn_sized_stack, 0
	.set _ZL29rocblas_internal_gemmt_kernelIiLi16ELi32ELi8ELc84ELc67ELc85ELb0ELb1E19rocblas_complex_numIdEPKS1_S3_PS1_EviT_T9_T10_S5_lS7_S5_lS6_T11_S5_li.has_recursion, 0
	.set _ZL29rocblas_internal_gemmt_kernelIiLi16ELi32ELi8ELc84ELc67ELc85ELb0ELb1E19rocblas_complex_numIdEPKS1_S3_PS1_EviT_T9_T10_S5_lS7_S5_lS6_T11_S5_li.has_indirect_call, 0
	.section	.AMDGPU.csdata,"",@progbits
; Kernel info:
; codeLenInByte = 3568
; TotalNumSgprs: 33
; NumVgprs: 127
; ScratchSize: 0
; MemoryBound: 1
; FloatMode: 240
; IeeeMode: 1
; LDSByteSize: 8192 bytes/workgroup (compile time only)
; SGPRBlocks: 0
; VGPRBlocks: 15
; NumSGPRsForWavesPerEU: 33
; NumVGPRsForWavesPerEU: 127
; Occupancy: 8
; WaveLimiterHint : 0
; COMPUTE_PGM_RSRC2:SCRATCH_EN: 0
; COMPUTE_PGM_RSRC2:USER_SGPR: 6
; COMPUTE_PGM_RSRC2:TRAP_HANDLER: 0
; COMPUTE_PGM_RSRC2:TGID_X_EN: 1
; COMPUTE_PGM_RSRC2:TGID_Y_EN: 1
; COMPUTE_PGM_RSRC2:TGID_Z_EN: 1
; COMPUTE_PGM_RSRC2:TIDIG_COMP_CNT: 1
	.section	.text._ZL29rocblas_internal_gemmt_kernelIiLi16ELi32ELi8ELc67ELc78ELc85ELb1ELb0E19rocblas_complex_numIdEPKS1_S3_PS1_EviT_T9_T10_S5_lS7_S5_lS6_T11_S5_li,"axG",@progbits,_ZL29rocblas_internal_gemmt_kernelIiLi16ELi32ELi8ELc67ELc78ELc85ELb1ELb0E19rocblas_complex_numIdEPKS1_S3_PS1_EviT_T9_T10_S5_lS7_S5_lS6_T11_S5_li,comdat
	.globl	_ZL29rocblas_internal_gemmt_kernelIiLi16ELi32ELi8ELc67ELc78ELc85ELb1ELb0E19rocblas_complex_numIdEPKS1_S3_PS1_EviT_T9_T10_S5_lS7_S5_lS6_T11_S5_li ; -- Begin function _ZL29rocblas_internal_gemmt_kernelIiLi16ELi32ELi8ELc67ELc78ELc85ELb1ELb0E19rocblas_complex_numIdEPKS1_S3_PS1_EviT_T9_T10_S5_lS7_S5_lS6_T11_S5_li
	.p2align	8
	.type	_ZL29rocblas_internal_gemmt_kernelIiLi16ELi32ELi8ELc67ELc78ELc85ELb1ELb0E19rocblas_complex_numIdEPKS1_S3_PS1_EviT_T9_T10_S5_lS7_S5_lS6_T11_S5_li,@function
_ZL29rocblas_internal_gemmt_kernelIiLi16ELi32ELi8ELc67ELc78ELc85ELb1ELb0E19rocblas_complex_numIdEPKS1_S3_PS1_EviT_T9_T10_S5_lS7_S5_lS6_T11_S5_li: ; @_ZL29rocblas_internal_gemmt_kernelIiLi16ELi32ELi8ELc67ELc78ELc85ELb1ELb0E19rocblas_complex_numIdEPKS1_S3_PS1_EviT_T9_T10_S5_lS7_S5_lS6_T11_S5_li
; %bb.0:
	s_load_dwordx4 s[20:23], s[4:5], 0x38
	s_waitcnt lgkmcnt(0)
	s_load_dwordx4 s[12:15], s[22:23], 0x0
	s_clause 0x1
	s_load_dwordx4 s[0:3], s[4:5], 0x8
	s_load_dwordx2 s[10:11], s[4:5], 0x0
	s_waitcnt lgkmcnt(0)
	s_load_dwordx4 s[16:19], s[0:1], 0x0
	v_cmp_eq_f64_e64 s22, s[12:13], 1.0
	v_cmp_eq_f64_e64 s9, s[14:15], 0
	s_and_b32 s0, s22, s9
	s_andn2_b32 vcc_lo, exec_lo, s0
	s_mov_b32 s0, -1
	s_cbranch_vccnz .LBB114_3
; %bb.1:
	s_cmp_lg_u32 s11, 0
	s_cbranch_scc0 .LBB114_29
; %bb.2:
	s_waitcnt lgkmcnt(0)
	v_cmp_neq_f64_e64 s0, s[16:17], 0
	v_cmp_neq_f64_e64 s1, s[18:19], 0
	s_or_b32 s0, s0, s1
.LBB114_3:
	s_and_b32 vcc_lo, exec_lo, s0
	s_cbranch_vccz .LBB114_30
; %bb.4:
	s_waitcnt lgkmcnt(0)
	v_cmp_eq_f64_e64 s0, s[16:17], 0
	v_cmp_eq_f64_e64 s1, s[18:19], 0
	s_load_dwordx2 s[22:23], s[4:5], 0x48
	s_lshl_b32 s6, s6, 5
	s_lshl_b32 s7, s7, 5
	v_mov_b32_e32 v23, 0
	v_mov_b32_e32 v25, 0
	;; [unrolled: 1-line block ×16, first 2 shown]
	s_mov_b32 s28, 0
	s_and_b32 s0, s0, s1
	s_cmp_lt_i32 s11, 1
	s_cselect_b32 s1, -1, 0
	s_or_b32 s0, s0, s1
	s_and_b32 vcc_lo, exec_lo, s0
	s_cbranch_vccnz .LBB114_13
; %bb.5:
	s_load_dword s0, s[4:5], 0x18
	v_lshl_add_u32 v2, v1, 4, v0
	s_clause 0x1
	s_load_dwordx4 s[24:27], s[4:5], 0x20
	s_load_dword s1, s[4:5], 0x30
	v_and_b32_e32 v27, 7, v0
	v_mov_b32_e32 v17, 0
	v_mov_b32_e32 v15, 0
	v_and_b32_e32 v4, 31, v2
	v_lshrrev_b32_e32 v3, 3, v2
	v_lshrrev_b32_e32 v30, 5, v2
	v_lshlrev_b32_e32 v6, 4, v27
	v_mov_b32_e32 v21, 0
	v_add_nc_u32_e32 v2, s6, v4
	v_add_nc_u32_e32 v5, s7, v3
	v_or_b32_e32 v7, s6, v4
	v_lshl_or_b32 v8, v3, 7, v6
	v_lshlrev_b32_e32 v4, 4, v4
	v_lshlrev_b32_e32 v9, 4, v30
	v_mov_b32_e32 v19, 0
	v_cmp_gt_i32_e32 vcc_lo, s10, v7
	v_add_nc_u32_e32 v32, 0x1000, v8
	s_waitcnt lgkmcnt(0)
	v_mad_i64_i32 v[2:3], null, s0, v2, 0
	v_lshl_or_b32 v31, v30, 9, v4
	v_cmp_gt_i32_e64 s0, s10, v5
	s_mul_i32 s25, s25, s8
	s_mul_hi_u32 s29, s24, s8
	v_mad_i64_i32 v[4:5], null, s1, v5, 0
	v_lshlrev_b64 v[2:3], 4, v[2:3]
	s_mul_i32 s24, s24, s8
	s_add_i32 s25, s29, s25
	v_mov_b32_e32 v25, 0
	s_lshl_b64 s[24:25], s[24:25], 4
	v_mov_b32_e32 v23, 0
	v_add_co_u32 v7, s1, v2, s24
	v_add_co_ci_u32_e64 v8, null, s25, v3, s1
	s_mul_i32 s1, s21, s8
	s_mul_hi_u32 s21, s20, s8
	v_lshlrev_b64 v[2:3], 4, v[4:5]
	s_add_i32 s21, s21, s1
	s_mul_i32 s20, s20, s8
	v_add_co_u32 v4, s1, v7, v9
	s_lshl_b64 s[20:21], s[20:21], 4
	v_add_co_ci_u32_e64 v5, null, 0, v8, s1
	v_add_co_u32 v2, s1, v2, s20
	v_add_co_ci_u32_e64 v3, null, s21, v3, s1
	v_add_co_u32 v4, s1, s2, v4
	;; [unrolled: 2-line block ×5, first 2 shown]
	v_mov_b32_e32 v7, 0
	v_mov_b32_e32 v9, 0
	v_lshlrev_b32_e32 v28, 4, v0
	v_lshl_add_u32 v29, v1, 7, 0x1000
	v_add_co_ci_u32_e64 v14, null, s27, v3, s1
	v_mov_b32_e32 v8, 0
	v_mov_b32_e32 v10, 0
	;; [unrolled: 1-line block ×9, first 2 shown]
	s_xor_b32 s1, s0, -1
	s_branch .LBB114_7
.LBB114_6:                              ;   in Loop: Header=BB114_7 Depth=1
	s_or_b32 exec_lo, exec_lo, s0
	s_waitcnt lgkmcnt(0)
	s_barrier
	buffer_gl0_inv
	ds_read_b128 v[3:6], v29
	ds_read_b128 v[33:36], v28
	ds_read_b128 v[37:40], v28 offset:256
	ds_read_b128 v[41:44], v29 offset:2048
	;; [unrolled: 1-line block ×12, first 2 shown]
	v_add_co_u32 v11, s0, 0x80, v11
	v_add_co_ci_u32_e64 v12, null, 0, v12, s0
	v_add_co_u32 v13, s0, 0x80, v13
	v_add_co_ci_u32_e64 v14, null, 0, v14, s0
	s_waitcnt lgkmcnt(12)
	v_mul_f64 v[85:86], v[5:6], v[35:36]
	v_mul_f64 v[87:88], v[3:4], v[35:36]
	s_waitcnt lgkmcnt(11)
	v_mul_f64 v[89:90], v[5:6], v[39:40]
	v_mul_f64 v[91:92], v[3:4], v[39:40]
	;; [unrolled: 3-line block ×3, first 2 shown]
	v_mul_f64 v[95:96], v[43:44], v[39:40]
	v_mul_f64 v[39:40], v[41:42], v[39:40]
	s_waitcnt lgkmcnt(8)
	v_mul_f64 v[97:98], v[47:48], v[51:52]
	v_mul_f64 v[99:100], v[45:46], v[51:52]
	s_waitcnt lgkmcnt(7)
	;; [unrolled: 3-line block ×3, first 2 shown]
	v_mul_f64 v[105:106], v[59:60], v[51:52]
	v_mul_f64 v[51:52], v[57:58], v[51:52]
	;; [unrolled: 1-line block ×4, first 2 shown]
	s_waitcnt lgkmcnt(4)
	v_mul_f64 v[109:110], v[63:64], v[67:68]
	v_mul_f64 v[111:112], v[61:62], v[67:68]
	s_waitcnt lgkmcnt(3)
	v_mul_f64 v[113:114], v[63:64], v[71:72]
	v_mul_f64 v[115:116], v[61:62], v[71:72]
	;; [unrolled: 3-line block ×3, first 2 shown]
	v_fma_f64 v[85:86], v[3:4], v[33:34], -v[85:86]
	v_fma_f64 v[87:88], v[5:6], v[33:34], v[87:88]
	v_fma_f64 v[89:90], v[3:4], v[37:38], -v[89:90]
	v_fma_f64 v[91:92], v[5:6], v[37:38], v[91:92]
	;; [unrolled: 2-line block ×4, first 2 shown]
	v_mul_f64 v[123:124], v[75:76], v[71:72]
	v_mul_f64 v[71:72], v[73:74], v[71:72]
	v_fma_f64 v[97:98], v[45:46], v[49:50], -v[97:98]
	v_fma_f64 v[99:100], v[47:48], v[49:50], v[99:100]
	v_fma_f64 v[101:102], v[45:46], v[53:54], -v[101:102]
	v_fma_f64 v[103:104], v[47:48], v[53:54], v[103:104]
	;; [unrolled: 2-line block ×7, first 2 shown]
	v_add_f64 v[23:24], v[23:24], v[85:86]
	v_add_f64 v[25:26], v[87:88], v[25:26]
	;; [unrolled: 1-line block ×6, first 2 shown]
	v_fma_f64 v[73:74], v[73:74], v[69:70], -v[123:124]
	v_fma_f64 v[69:70], v[75:76], v[69:70], v[71:72]
	v_add_f64 v[71:72], v[15:16], v[93:94]
	v_add_f64 v[75:76], v[119:120], v[17:18]
	ds_read_b128 v[3:6], v28 offset:1536
	ds_read_b128 v[33:36], v28 offset:1792
	;; [unrolled: 1-line block ×7, first 2 shown]
	s_add_i32 s28, s28, 8
	s_cmp_lt_i32 s28, s11
	v_add_f64 v[97:98], v[23:24], v[97:98]
	v_add_f64 v[99:100], v[99:100], v[25:26]
	v_add_f64 v[101:102], v[19:20], v[101:102]
	v_add_f64 v[103:104], v[103:104], v[21:22]
	v_add_f64 v[9:10], v[9:10], v[57:58]
	v_add_f64 v[53:54], v[53:54], v[85:86]
	ds_read_b128 v[19:22], v28 offset:2560
	ds_read_b128 v[23:26], v28 offset:2816
	s_waitcnt lgkmcnt(8)
	v_mul_f64 v[109:110], v[79:80], v[5:6]
	v_mul_f64 v[111:112], v[77:78], v[5:6]
	s_waitcnt lgkmcnt(7)
	v_mul_f64 v[67:68], v[79:80], v[35:36]
	v_mul_f64 v[113:114], v[77:78], v[35:36]
	;; [unrolled: 1-line block ×6, first 2 shown]
	s_waitcnt lgkmcnt(4)
	v_mul_f64 v[95:96], v[39:40], v[47:48]
	v_add_f64 v[71:72], v[71:72], v[105:106]
	v_add_f64 v[75:76], v[125:126], v[75:76]
	v_mul_f64 v[93:94], v[37:38], v[43:44]
	ds_read_b128 v[5:8], v29 offset:80
	v_add_f64 v[55:56], v[97:98], v[55:56]
	v_add_f64 v[59:60], v[59:60], v[99:100]
	;; [unrolled: 1-line block ×6, first 2 shown]
	s_waitcnt lgkmcnt(2)
	v_mul_f64 v[99:100], v[17:18], v[21:22]
	s_waitcnt lgkmcnt(1)
	v_mul_f64 v[101:102], v[17:18], v[25:26]
	v_fma_f64 v[89:90], v[77:78], v[3:4], -v[109:110]
	v_fma_f64 v[91:92], v[79:80], v[3:4], v[111:112]
	v_fma_f64 v[67:68], v[77:78], v[33:34], -v[67:68]
	v_mul_f64 v[77:78], v[39:40], v[43:44]
	v_mul_f64 v[109:110], v[37:38], v[47:48]
	v_fma_f64 v[79:80], v[79:80], v[33:34], v[113:114]
	v_mul_f64 v[111:112], v[51:52], v[43:44]
	v_mul_f64 v[43:44], v[49:50], v[43:44]
	v_fma_f64 v[57:58], v[81:82], v[3:4], -v[115:116]
	v_fma_f64 v[3:4], v[83:84], v[3:4], v[117:118]
	v_fma_f64 v[81:82], v[81:82], v[33:34], -v[87:88]
	v_fma_f64 v[83:84], v[83:84], v[33:34], v[35:36]
	v_fma_f64 v[87:88], v[37:38], v[45:46], -v[95:96]
	v_mul_f64 v[95:96], v[51:52], v[47:48]
	v_mul_f64 v[47:48], v[49:50], v[47:48]
	v_add_f64 v[71:72], v[71:72], v[107:108]
	v_add_f64 v[65:66], v[65:66], v[75:76]
	v_fma_f64 v[85:86], v[39:40], v[41:42], v[93:94]
	s_waitcnt lgkmcnt(0)
	v_mul_f64 v[69:70], v[7:8], v[21:22]
	v_mul_f64 v[73:74], v[5:6], v[21:22]
	;; [unrolled: 1-line block ×6, first 2 shown]
	v_add_f64 v[55:56], v[55:56], v[89:90]
	v_fma_f64 v[77:78], v[37:38], v[41:42], -v[77:78]
	v_fma_f64 v[93:94], v[39:40], v[45:46], v[109:110]
	v_add_f64 v[59:60], v[91:92], v[59:60]
	v_fma_f64 v[105:106], v[49:50], v[41:42], -v[111:112]
	v_fma_f64 v[109:110], v[51:52], v[41:42], v[43:44]
	v_add_f64 v[61:62], v[61:62], v[67:68]
	v_add_f64 v[63:64], v[79:80], v[63:64]
	;; [unrolled: 1-line block ×4, first 2 shown]
	ds_read_b128 v[33:36], v29 offset:96
	ds_read_b128 v[37:40], v28 offset:3072
	v_fma_f64 v[49:50], v[49:50], v[45:46], -v[95:96]
	v_fma_f64 v[51:52], v[51:52], v[45:46], v[47:48]
	v_add_f64 v[57:58], v[71:72], v[57:58]
	v_add_f64 v[65:66], v[3:4], v[65:66]
	ds_read_b128 v[41:44], v28 offset:3328
	ds_read_b128 v[45:48], v29 offset:2144
	v_fma_f64 v[69:70], v[5:6], v[19:20], -v[69:70]
	v_fma_f64 v[71:72], v[7:8], v[19:20], v[73:74]
	v_fma_f64 v[73:74], v[5:6], v[23:24], -v[75:76]
	v_fma_f64 v[75:76], v[7:8], v[23:24], v[97:98]
	;; [unrolled: 2-line block ×4, first 2 shown]
	v_add_f64 v[55:56], v[55:56], v[77:78]
	v_add_f64 v[59:60], v[85:86], v[59:60]
	ds_read_b128 v[3:6], v29 offset:112
	ds_read_b128 v[7:10], v29 offset:2160
	v_add_f64 v[61:62], v[61:62], v[87:88]
	v_add_f64 v[63:64], v[93:94], v[63:64]
	s_waitcnt lgkmcnt(4)
	v_mul_f64 v[89:90], v[35:36], v[39:40]
	v_mul_f64 v[25:26], v[33:34], v[39:40]
	ds_read_b128 v[15:18], v28 offset:3584
	ds_read_b128 v[19:22], v28 offset:3840
	v_add_f64 v[49:50], v[67:68], v[49:50]
	s_waitcnt lgkmcnt(5)
	v_mul_f64 v[91:92], v[35:36], v[43:44]
	v_mul_f64 v[95:96], v[33:34], v[43:44]
	s_waitcnt lgkmcnt(4)
	v_mul_f64 v[97:98], v[47:48], v[39:40]
	v_mul_f64 v[39:40], v[45:46], v[39:40]
	v_add_f64 v[57:58], v[57:58], v[105:106]
	v_add_f64 v[65:66], v[109:110], v[65:66]
	v_add_f64 v[51:52], v[51:52], v[53:54]
	v_mul_f64 v[53:54], v[47:48], v[43:44]
	v_mul_f64 v[43:44], v[45:46], v[43:44]
	s_waitcnt lgkmcnt(0)
	s_barrier
	buffer_gl0_inv
	v_fma_f64 v[67:68], v[33:34], v[37:38], -v[89:90]
	v_fma_f64 v[25:26], v[35:36], v[37:38], v[25:26]
	v_add_f64 v[49:50], v[49:50], v[83:84]
	v_fma_f64 v[33:34], v[33:34], v[41:42], -v[91:92]
	v_fma_f64 v[35:36], v[35:36], v[41:42], v[95:96]
	v_fma_f64 v[77:78], v[45:46], v[37:38], -v[97:98]
	v_fma_f64 v[37:38], v[47:48], v[37:38], v[39:40]
	v_add_f64 v[39:40], v[55:56], v[69:70]
	v_add_f64 v[55:56], v[71:72], v[59:60]
	;; [unrolled: 1-line block ×7, first 2 shown]
	v_fma_f64 v[45:46], v[45:46], v[41:42], -v[53:54]
	v_fma_f64 v[41:42], v[47:48], v[41:42], v[43:44]
	v_mul_f64 v[43:44], v[5:6], v[17:18]
	v_mul_f64 v[47:48], v[3:4], v[17:18]
	;; [unrolled: 1-line block ×8, first 2 shown]
	v_add_f64 v[39:40], v[39:40], v[67:68]
	v_add_f64 v[25:26], v[25:26], v[55:56]
	;; [unrolled: 1-line block ×8, first 2 shown]
	v_fma_f64 v[23:24], v[3:4], v[15:16], -v[43:44]
	v_fma_f64 v[43:44], v[5:6], v[15:16], v[47:48]
	v_fma_f64 v[3:4], v[3:4], v[19:20], -v[51:52]
	v_fma_f64 v[5:6], v[5:6], v[19:20], v[53:54]
	;; [unrolled: 2-line block ×4, first 2 shown]
	v_add_f64 v[23:24], v[39:40], v[23:24]
	v_add_f64 v[25:26], v[43:44], v[25:26]
	;; [unrolled: 1-line block ×8, first 2 shown]
	s_cbranch_scc0 .LBB114_13
.LBB114_7:                              ; =>This Inner Loop Header: Depth=1
	v_add_nc_u32_e32 v3, s28, v30
	v_mov_b32_e32 v5, 0
	v_mov_b32_e32 v6, 0
	v_cmp_gt_i32_e64 s0, s11, v3
	v_mov_b32_e32 v3, 0
	v_mov_b32_e32 v4, 0
	s_and_b32 s2, vcc_lo, s0
	s_and_saveexec_b32 s0, s2
	s_cbranch_execz .LBB114_9
; %bb.8:                                ;   in Loop: Header=BB114_7 Depth=1
	global_load_dwordx4 v[3:6], v[11:12], off offset:-8
	s_waitcnt vmcnt(0)
	v_xor_b32_e32 v6, 0x80000000, v6
.LBB114_9:                              ;   in Loop: Header=BB114_7 Depth=1
	s_or_b32 exec_lo, exec_lo, s0
	v_add_nc_u32_e32 v33, s28, v27
	ds_write_b128 v31, v[3:6]
	v_cmp_le_i32_e64 s0, s11, v33
	s_or_b32 s0, s0, s1
	s_and_saveexec_b32 s2, s0
	s_xor_b32 s0, exec_lo, s2
	s_cbranch_execz .LBB114_11
; %bb.10:                               ;   in Loop: Header=BB114_7 Depth=1
	v_mov_b32_e32 v3, v2
	v_mov_b32_e32 v4, v2
	;; [unrolled: 1-line block ×3, first 2 shown]
	ds_write_b128 v32, v[2:5]
.LBB114_11:                             ;   in Loop: Header=BB114_7 Depth=1
	s_andn2_saveexec_b32 s0, s0
	s_cbranch_execz .LBB114_6
; %bb.12:                               ;   in Loop: Header=BB114_7 Depth=1
	global_load_dwordx4 v[3:6], v[13:14], off
	s_waitcnt vmcnt(0)
	ds_write2_b64 v32, v[3:4], v[5:6] offset1:1
	s_branch .LBB114_6
.LBB114_13:
	s_clause 0x1
	s_load_dword s2, s[4:5], 0x50
	s_load_dwordx2 s[4:5], s[4:5], 0x58
	v_cmp_neq_f64_e64 s11, s[12:13], 0
	v_add_nc_u32_e32 v27, s7, v1
	v_add_nc_u32_e32 v4, s6, v0
	v_cmp_gt_i32_e64 s0, s10, v27
	v_cmp_le_i32_e32 vcc_lo, v4, v27
	v_ashrrev_i32_e32 v5, 31, v4
	s_waitcnt lgkmcnt(0)
	v_mad_i64_i32 v[0:1], null, v27, s2, 0
	s_mul_i32 s1, s5, s8
	s_mul_hi_u32 s3, s4, s8
	s_mul_i32 s4, s4, s8
	s_add_i32 s5, s3, s1
	s_lshl_b64 s[4:5], s[4:5], 4
	v_lshlrev_b64 v[0:1], 4, v[0:1]
	s_add_u32 s3, s22, s4
	s_addc_u32 s4, s23, s5
	s_xor_b32 s5, s9, -1
	s_and_b32 s6, s0, vcc_lo
	s_or_b32 s5, s11, s5
	v_add_co_u32 v13, s1, s3, v0
	v_add_co_ci_u32_e64 v14, null, s4, v1, s1
	v_cndmask_b32_e64 v6, 0, 1, s5
	s_and_saveexec_b32 s1, s6
	s_cbranch_execz .LBB114_17
; %bb.14:
	v_mul_f64 v[0:1], s[18:19], v[25:26]
	v_mul_f64 v[2:3], s[16:17], v[25:26]
	v_lshlrev_b64 v[11:12], 4, v[4:5]
	v_add_co_u32 v11, vcc_lo, v13, v11
	v_add_co_ci_u32_e64 v12, null, v14, v12, vcc_lo
	s_andn2_b32 vcc_lo, exec_lo, s5
	v_fma_f64 v[0:1], s[16:17], v[23:24], -v[0:1]
	v_fma_f64 v[2:3], s[18:19], v[23:24], v[2:3]
	s_cbranch_vccnz .LBB114_16
; %bb.15:
	global_load_dwordx4 v[23:26], v[11:12], off
	s_waitcnt vmcnt(0)
	v_mul_f64 v[28:29], s[14:15], v[25:26]
	v_mul_f64 v[25:26], s[12:13], v[25:26]
	v_fma_f64 v[28:29], s[12:13], v[23:24], -v[28:29]
	v_fma_f64 v[23:24], s[14:15], v[23:24], v[25:26]
	v_add_f64 v[0:1], v[0:1], v[28:29]
	v_add_f64 v[2:3], v[2:3], v[23:24]
.LBB114_16:
	global_store_dwordx4 v[11:12], v[0:3], off
.LBB114_17:
	s_or_b32 exec_lo, exec_lo, s1
	v_add_nc_u32_e32 v11, 16, v4
	v_cmp_le_i32_e32 vcc_lo, v11, v27
	v_ashrrev_i32_e32 v12, 31, v11
	s_and_b32 s0, s0, vcc_lo
	s_and_saveexec_b32 s1, s0
	s_cbranch_execz .LBB114_21
; %bb.18:
	v_mul_f64 v[0:1], s[18:19], v[21:22]
	v_mul_f64 v[2:3], s[16:17], v[21:22]
	v_cmp_ne_u32_e32 vcc_lo, 1, v6
	s_and_b32 vcc_lo, exec_lo, vcc_lo
	v_fma_f64 v[0:1], s[16:17], v[19:20], -v[0:1]
	v_fma_f64 v[2:3], s[18:19], v[19:20], v[2:3]
	v_lshlrev_b64 v[19:20], 4, v[11:12]
	v_add_co_u32 v13, s0, v13, v19
	v_add_co_ci_u32_e64 v14, null, v14, v20, s0
	s_cbranch_vccnz .LBB114_20
; %bb.19:
	global_load_dwordx4 v[19:22], v[13:14], off
	s_waitcnt vmcnt(0)
	v_mul_f64 v[23:24], s[14:15], v[21:22]
	v_mul_f64 v[21:22], s[12:13], v[21:22]
	v_fma_f64 v[23:24], s[12:13], v[19:20], -v[23:24]
	v_fma_f64 v[19:20], s[14:15], v[19:20], v[21:22]
	v_add_f64 v[0:1], v[0:1], v[23:24]
	v_add_f64 v[2:3], v[2:3], v[19:20]
.LBB114_20:
	global_store_dwordx4 v[13:14], v[0:3], off
.LBB114_21:
	s_or_b32 exec_lo, exec_lo, s1
	v_add_nc_u32_e32 v19, 16, v27
	v_mad_i64_i32 v[0:1], null, v19, s2, 0
	v_cmp_gt_i32_e64 s0, s10, v19
	v_cmp_le_i32_e32 vcc_lo, v4, v19
	v_lshlrev_b64 v[0:1], 4, v[0:1]
	v_add_co_u32 v13, s1, s3, v0
	v_add_co_ci_u32_e64 v14, null, s4, v1, s1
	s_and_b32 s1, s0, vcc_lo
	s_and_saveexec_b32 s2, s1
	s_cbranch_execz .LBB114_25
; %bb.22:
	v_mul_f64 v[0:1], s[18:19], v[17:18]
	v_mul_f64 v[2:3], s[16:17], v[17:18]
	v_lshlrev_b64 v[4:5], 4, v[4:5]
	v_cmp_ne_u32_e32 vcc_lo, 1, v6
	s_and_b32 vcc_lo, exec_lo, vcc_lo
	v_add_co_u32 v4, s1, v13, v4
	v_add_co_ci_u32_e64 v5, null, v14, v5, s1
	v_fma_f64 v[0:1], s[16:17], v[15:16], -v[0:1]
	v_fma_f64 v[2:3], s[18:19], v[15:16], v[2:3]
	s_cbranch_vccnz .LBB114_24
; %bb.23:
	global_load_dwordx4 v[15:18], v[4:5], off
	s_waitcnt vmcnt(0)
	v_mul_f64 v[20:21], s[14:15], v[17:18]
	v_mul_f64 v[17:18], s[12:13], v[17:18]
	v_fma_f64 v[20:21], s[12:13], v[15:16], -v[20:21]
	v_fma_f64 v[15:16], s[14:15], v[15:16], v[17:18]
	v_add_f64 v[0:1], v[0:1], v[20:21]
	v_add_f64 v[2:3], v[2:3], v[15:16]
.LBB114_24:
	global_store_dwordx4 v[4:5], v[0:3], off
.LBB114_25:
	s_or_b32 exec_lo, exec_lo, s2
	v_cmp_le_i32_e32 vcc_lo, v11, v19
	s_and_b32 s0, s0, vcc_lo
	s_and_saveexec_b32 s1, s0
	s_cbranch_execz .LBB114_30
; %bb.26:
	v_mul_f64 v[0:1], s[18:19], v[7:8]
	v_mul_f64 v[2:3], s[16:17], v[7:8]
	v_lshlrev_b64 v[4:5], 4, v[11:12]
	v_cmp_ne_u32_e32 vcc_lo, 1, v6
	s_and_b32 vcc_lo, exec_lo, vcc_lo
	v_add_co_u32 v4, s0, v13, v4
	v_add_co_ci_u32_e64 v5, null, v14, v5, s0
	v_fma_f64 v[0:1], s[16:17], v[9:10], -v[0:1]
	v_fma_f64 v[2:3], s[18:19], v[9:10], v[2:3]
	s_cbranch_vccnz .LBB114_28
; %bb.27:
	global_load_dwordx4 v[6:9], v[4:5], off
	s_waitcnt vmcnt(0)
	v_mul_f64 v[10:11], s[14:15], v[8:9]
	v_mul_f64 v[8:9], s[12:13], v[8:9]
	v_fma_f64 v[10:11], s[12:13], v[6:7], -v[10:11]
	v_fma_f64 v[6:7], s[14:15], v[6:7], v[8:9]
	v_add_f64 v[0:1], v[0:1], v[10:11]
	v_add_f64 v[2:3], v[2:3], v[6:7]
.LBB114_28:
	global_store_dwordx4 v[4:5], v[0:3], off
	s_endpgm
.LBB114_29:
.LBB114_30:
	s_endpgm
	.section	.rodata,"a",@progbits
	.p2align	6, 0x0
	.amdhsa_kernel _ZL29rocblas_internal_gemmt_kernelIiLi16ELi32ELi8ELc67ELc78ELc85ELb1ELb0E19rocblas_complex_numIdEPKS1_S3_PS1_EviT_T9_T10_S5_lS7_S5_lS6_T11_S5_li
		.amdhsa_group_segment_fixed_size 8192
		.amdhsa_private_segment_fixed_size 0
		.amdhsa_kernarg_size 100
		.amdhsa_user_sgpr_count 6
		.amdhsa_user_sgpr_private_segment_buffer 1
		.amdhsa_user_sgpr_dispatch_ptr 0
		.amdhsa_user_sgpr_queue_ptr 0
		.amdhsa_user_sgpr_kernarg_segment_ptr 1
		.amdhsa_user_sgpr_dispatch_id 0
		.amdhsa_user_sgpr_flat_scratch_init 0
		.amdhsa_user_sgpr_private_segment_size 0
		.amdhsa_wavefront_size32 1
		.amdhsa_uses_dynamic_stack 0
		.amdhsa_system_sgpr_private_segment_wavefront_offset 0
		.amdhsa_system_sgpr_workgroup_id_x 1
		.amdhsa_system_sgpr_workgroup_id_y 1
		.amdhsa_system_sgpr_workgroup_id_z 1
		.amdhsa_system_sgpr_workgroup_info 0
		.amdhsa_system_vgpr_workitem_id 1
		.amdhsa_next_free_vgpr 127
		.amdhsa_next_free_sgpr 30
		.amdhsa_reserve_vcc 1
		.amdhsa_reserve_flat_scratch 0
		.amdhsa_float_round_mode_32 0
		.amdhsa_float_round_mode_16_64 0
		.amdhsa_float_denorm_mode_32 3
		.amdhsa_float_denorm_mode_16_64 3
		.amdhsa_dx10_clamp 1
		.amdhsa_ieee_mode 1
		.amdhsa_fp16_overflow 0
		.amdhsa_workgroup_processor_mode 1
		.amdhsa_memory_ordered 1
		.amdhsa_forward_progress 1
		.amdhsa_shared_vgpr_count 0
		.amdhsa_exception_fp_ieee_invalid_op 0
		.amdhsa_exception_fp_denorm_src 0
		.amdhsa_exception_fp_ieee_div_zero 0
		.amdhsa_exception_fp_ieee_overflow 0
		.amdhsa_exception_fp_ieee_underflow 0
		.amdhsa_exception_fp_ieee_inexact 0
		.amdhsa_exception_int_div_zero 0
	.end_amdhsa_kernel
	.section	.text._ZL29rocblas_internal_gemmt_kernelIiLi16ELi32ELi8ELc67ELc78ELc85ELb1ELb0E19rocblas_complex_numIdEPKS1_S3_PS1_EviT_T9_T10_S5_lS7_S5_lS6_T11_S5_li,"axG",@progbits,_ZL29rocblas_internal_gemmt_kernelIiLi16ELi32ELi8ELc67ELc78ELc85ELb1ELb0E19rocblas_complex_numIdEPKS1_S3_PS1_EviT_T9_T10_S5_lS7_S5_lS6_T11_S5_li,comdat
.Lfunc_end114:
	.size	_ZL29rocblas_internal_gemmt_kernelIiLi16ELi32ELi8ELc67ELc78ELc85ELb1ELb0E19rocblas_complex_numIdEPKS1_S3_PS1_EviT_T9_T10_S5_lS7_S5_lS6_T11_S5_li, .Lfunc_end114-_ZL29rocblas_internal_gemmt_kernelIiLi16ELi32ELi8ELc67ELc78ELc85ELb1ELb0E19rocblas_complex_numIdEPKS1_S3_PS1_EviT_T9_T10_S5_lS7_S5_lS6_T11_S5_li
                                        ; -- End function
	.set _ZL29rocblas_internal_gemmt_kernelIiLi16ELi32ELi8ELc67ELc78ELc85ELb1ELb0E19rocblas_complex_numIdEPKS1_S3_PS1_EviT_T9_T10_S5_lS7_S5_lS6_T11_S5_li.num_vgpr, 127
	.set _ZL29rocblas_internal_gemmt_kernelIiLi16ELi32ELi8ELc67ELc78ELc85ELb1ELb0E19rocblas_complex_numIdEPKS1_S3_PS1_EviT_T9_T10_S5_lS7_S5_lS6_T11_S5_li.num_agpr, 0
	.set _ZL29rocblas_internal_gemmt_kernelIiLi16ELi32ELi8ELc67ELc78ELc85ELb1ELb0E19rocblas_complex_numIdEPKS1_S3_PS1_EviT_T9_T10_S5_lS7_S5_lS6_T11_S5_li.numbered_sgpr, 30
	.set _ZL29rocblas_internal_gemmt_kernelIiLi16ELi32ELi8ELc67ELc78ELc85ELb1ELb0E19rocblas_complex_numIdEPKS1_S3_PS1_EviT_T9_T10_S5_lS7_S5_lS6_T11_S5_li.num_named_barrier, 0
	.set _ZL29rocblas_internal_gemmt_kernelIiLi16ELi32ELi8ELc67ELc78ELc85ELb1ELb0E19rocblas_complex_numIdEPKS1_S3_PS1_EviT_T9_T10_S5_lS7_S5_lS6_T11_S5_li.private_seg_size, 0
	.set _ZL29rocblas_internal_gemmt_kernelIiLi16ELi32ELi8ELc67ELc78ELc85ELb1ELb0E19rocblas_complex_numIdEPKS1_S3_PS1_EviT_T9_T10_S5_lS7_S5_lS6_T11_S5_li.uses_vcc, 1
	.set _ZL29rocblas_internal_gemmt_kernelIiLi16ELi32ELi8ELc67ELc78ELc85ELb1ELb0E19rocblas_complex_numIdEPKS1_S3_PS1_EviT_T9_T10_S5_lS7_S5_lS6_T11_S5_li.uses_flat_scratch, 0
	.set _ZL29rocblas_internal_gemmt_kernelIiLi16ELi32ELi8ELc67ELc78ELc85ELb1ELb0E19rocblas_complex_numIdEPKS1_S3_PS1_EviT_T9_T10_S5_lS7_S5_lS6_T11_S5_li.has_dyn_sized_stack, 0
	.set _ZL29rocblas_internal_gemmt_kernelIiLi16ELi32ELi8ELc67ELc78ELc85ELb1ELb0E19rocblas_complex_numIdEPKS1_S3_PS1_EviT_T9_T10_S5_lS7_S5_lS6_T11_S5_li.has_recursion, 0
	.set _ZL29rocblas_internal_gemmt_kernelIiLi16ELi32ELi8ELc67ELc78ELc85ELb1ELb0E19rocblas_complex_numIdEPKS1_S3_PS1_EviT_T9_T10_S5_lS7_S5_lS6_T11_S5_li.has_indirect_call, 0
	.section	.AMDGPU.csdata,"",@progbits
; Kernel info:
; codeLenInByte = 3552
; TotalNumSgprs: 32
; NumVgprs: 127
; ScratchSize: 0
; MemoryBound: 1
; FloatMode: 240
; IeeeMode: 1
; LDSByteSize: 8192 bytes/workgroup (compile time only)
; SGPRBlocks: 0
; VGPRBlocks: 15
; NumSGPRsForWavesPerEU: 32
; NumVGPRsForWavesPerEU: 127
; Occupancy: 8
; WaveLimiterHint : 0
; COMPUTE_PGM_RSRC2:SCRATCH_EN: 0
; COMPUTE_PGM_RSRC2:USER_SGPR: 6
; COMPUTE_PGM_RSRC2:TRAP_HANDLER: 0
; COMPUTE_PGM_RSRC2:TGID_X_EN: 1
; COMPUTE_PGM_RSRC2:TGID_Y_EN: 1
; COMPUTE_PGM_RSRC2:TGID_Z_EN: 1
; COMPUTE_PGM_RSRC2:TIDIG_COMP_CNT: 1
	.section	.text._ZL29rocblas_internal_gemmt_kernelIiLi16ELi32ELi8ELc67ELc84ELc85ELb1ELb0E19rocblas_complex_numIdEPKS1_S3_PS1_EviT_T9_T10_S5_lS7_S5_lS6_T11_S5_li,"axG",@progbits,_ZL29rocblas_internal_gemmt_kernelIiLi16ELi32ELi8ELc67ELc84ELc85ELb1ELb0E19rocblas_complex_numIdEPKS1_S3_PS1_EviT_T9_T10_S5_lS7_S5_lS6_T11_S5_li,comdat
	.globl	_ZL29rocblas_internal_gemmt_kernelIiLi16ELi32ELi8ELc67ELc84ELc85ELb1ELb0E19rocblas_complex_numIdEPKS1_S3_PS1_EviT_T9_T10_S5_lS7_S5_lS6_T11_S5_li ; -- Begin function _ZL29rocblas_internal_gemmt_kernelIiLi16ELi32ELi8ELc67ELc84ELc85ELb1ELb0E19rocblas_complex_numIdEPKS1_S3_PS1_EviT_T9_T10_S5_lS7_S5_lS6_T11_S5_li
	.p2align	8
	.type	_ZL29rocblas_internal_gemmt_kernelIiLi16ELi32ELi8ELc67ELc84ELc85ELb1ELb0E19rocblas_complex_numIdEPKS1_S3_PS1_EviT_T9_T10_S5_lS7_S5_lS6_T11_S5_li,@function
_ZL29rocblas_internal_gemmt_kernelIiLi16ELi32ELi8ELc67ELc84ELc85ELb1ELb0E19rocblas_complex_numIdEPKS1_S3_PS1_EviT_T9_T10_S5_lS7_S5_lS6_T11_S5_li: ; @_ZL29rocblas_internal_gemmt_kernelIiLi16ELi32ELi8ELc67ELc84ELc85ELb1ELb0E19rocblas_complex_numIdEPKS1_S3_PS1_EviT_T9_T10_S5_lS7_S5_lS6_T11_S5_li
; %bb.0:
	s_load_dwordx4 s[20:23], s[4:5], 0x38
	s_waitcnt lgkmcnt(0)
	s_load_dwordx4 s[12:15], s[22:23], 0x0
	s_clause 0x1
	s_load_dwordx4 s[0:3], s[4:5], 0x8
	s_load_dwordx2 s[10:11], s[4:5], 0x0
	s_waitcnt lgkmcnt(0)
	s_load_dwordx4 s[16:19], s[0:1], 0x0
	v_cmp_eq_f64_e64 s22, s[12:13], 1.0
	v_cmp_eq_f64_e64 s9, s[14:15], 0
	s_and_b32 s0, s22, s9
	s_andn2_b32 vcc_lo, exec_lo, s0
	s_mov_b32 s0, -1
	s_cbranch_vccnz .LBB115_3
; %bb.1:
	s_cmp_lg_u32 s11, 0
	s_cbranch_scc0 .LBB115_29
; %bb.2:
	s_waitcnt lgkmcnt(0)
	v_cmp_neq_f64_e64 s0, s[16:17], 0
	v_cmp_neq_f64_e64 s1, s[18:19], 0
	s_or_b32 s0, s0, s1
.LBB115_3:
	s_and_b32 vcc_lo, exec_lo, s0
	s_cbranch_vccz .LBB115_30
; %bb.4:
	s_waitcnt lgkmcnt(0)
	v_cmp_eq_f64_e64 s0, s[16:17], 0
	v_cmp_eq_f64_e64 s1, s[18:19], 0
	s_load_dwordx2 s[22:23], s[4:5], 0x48
	s_lshl_b32 s28, s6, 5
	s_lshl_b32 s29, s7, 5
	v_mov_b32_e32 v23, 0
	v_mov_b32_e32 v25, 0
	;; [unrolled: 1-line block ×16, first 2 shown]
	s_mov_b32 s30, 0
	s_and_b32 s0, s0, s1
	s_cmp_lt_i32 s11, 1
	s_cselect_b32 s1, -1, 0
	s_or_b32 s0, s0, s1
	s_and_b32 vcc_lo, exec_lo, s0
	s_cbranch_vccnz .LBB115_13
; %bb.5:
	s_load_dword s0, s[4:5], 0x18
	v_lshl_add_u32 v2, v1, 4, v0
	s_clause 0x1
	s_load_dwordx4 s[24:27], s[4:5], 0x20
	s_load_dword s6, s[4:5], 0x30
	v_and_b32_e32 v27, 7, v0
	v_mov_b32_e32 v17, 0
	v_mov_b32_e32 v15, 0
	v_and_b32_e32 v3, 31, v2
	v_lshrrev_b32_e32 v4, 3, v2
	v_lshlrev_b32_e32 v5, 4, v27
	v_lshrrev_b32_e32 v30, 5, v2
	v_mov_b32_e32 v21, 0
	v_or_b32_e32 v6, s28, v3
	v_lshlrev_b32_e32 v7, 4, v3
	v_add_nc_u32_e32 v3, s28, v3
	v_add_nc_u32_e32 v2, s29, v4
	v_lshl_or_b32 v8, v4, 7, v5
	v_cmp_gt_i32_e32 vcc_lo, s10, v6
	v_lshl_or_b32 v31, v30, 9, v7
	v_lshlrev_b32_e32 v10, 4, v30
	v_mov_b32_e32 v19, 0
	s_waitcnt lgkmcnt(0)
	v_mad_i64_i32 v[4:5], null, s0, v3, 0
	s_mul_i32 s1, s25, s8
	s_mul_hi_u32 s25, s24, s8
	v_mad_i64_i32 v[6:7], null, s6, v27, 0
	s_mul_i32 s24, s24, s8
	s_add_i32 s25, s25, s1
	v_lshlrev_b64 v[4:5], 4, v[4:5]
	s_lshl_b64 s[24:25], s[24:25], 4
	v_add_nc_u32_e32 v32, 0x1000, v8
	v_ashrrev_i32_e32 v3, 31, v2
	v_cmp_gt_i32_e64 s0, s10, v2
	v_mov_b32_e32 v25, 0
	v_add_co_u32 v8, s1, v4, s24
	v_add_co_ci_u32_e64 v9, null, s25, v5, s1
	s_mul_i32 s1, s21, s8
	s_mul_hi_u32 s21, s20, s8
	v_lshlrev_b64 v[4:5], 4, v[6:7]
	s_add_i32 s21, s21, s1
	s_mul_i32 s20, s20, s8
	v_add_co_u32 v6, s1, v8, v10
	s_lshl_b64 s[20:21], s[20:21], 4
	v_lshlrev_b64 v[2:3], 4, v[2:3]
	v_add_co_ci_u32_e64 v7, null, 0, v9, s1
	v_add_co_u32 v4, s1, s20, v4
	v_add_co_ci_u32_e64 v5, null, s21, v5, s1
	v_add_co_u32 v6, s1, s2, v6
	;; [unrolled: 2-line block ×5, first 2 shown]
	v_mov_b32_e32 v7, 0
	v_mov_b32_e32 v9, 0
	v_mov_b32_e32 v23, 0
	v_lshlrev_b32_e32 v28, 4, v0
	v_lshl_add_u32 v29, v1, 7, 0x1000
	v_add_co_ci_u32_e64 v14, null, s27, v3, s1
	v_mov_b32_e32 v8, 0
	v_mov_b32_e32 v10, 0
	;; [unrolled: 1-line block ×9, first 2 shown]
	s_ashr_i32 s7, s6, 31
	s_xor_b32 s1, s0, -1
	s_lshl_b64 s[2:3], s[6:7], 7
	s_branch .LBB115_7
.LBB115_6:                              ;   in Loop: Header=BB115_7 Depth=1
	s_or_b32 exec_lo, exec_lo, s0
	s_waitcnt lgkmcnt(0)
	s_barrier
	buffer_gl0_inv
	ds_read_b128 v[3:6], v29
	ds_read_b128 v[33:36], v28
	ds_read_b128 v[37:40], v28 offset:256
	ds_read_b128 v[41:44], v29 offset:2048
	;; [unrolled: 1-line block ×12, first 2 shown]
	v_add_co_u32 v11, s0, 0x80, v11
	v_add_co_ci_u32_e64 v12, null, 0, v12, s0
	v_add_co_u32 v13, s0, v13, s2
	v_add_co_ci_u32_e64 v14, null, s3, v14, s0
	s_waitcnt lgkmcnt(12)
	v_mul_f64 v[85:86], v[5:6], v[35:36]
	v_mul_f64 v[87:88], v[3:4], v[35:36]
	s_waitcnt lgkmcnt(11)
	v_mul_f64 v[89:90], v[5:6], v[39:40]
	v_mul_f64 v[91:92], v[3:4], v[39:40]
	;; [unrolled: 3-line block ×3, first 2 shown]
	v_mul_f64 v[95:96], v[43:44], v[39:40]
	v_mul_f64 v[39:40], v[41:42], v[39:40]
	s_waitcnt lgkmcnt(8)
	v_mul_f64 v[97:98], v[47:48], v[51:52]
	v_mul_f64 v[99:100], v[45:46], v[51:52]
	s_waitcnt lgkmcnt(7)
	v_mul_f64 v[101:102], v[47:48], v[55:56]
	v_mul_f64 v[103:104], v[45:46], v[55:56]
	s_waitcnt lgkmcnt(6)
	v_mul_f64 v[105:106], v[59:60], v[51:52]
	v_mul_f64 v[51:52], v[57:58], v[51:52]
	;; [unrolled: 1-line block ×4, first 2 shown]
	s_waitcnt lgkmcnt(4)
	v_mul_f64 v[109:110], v[63:64], v[67:68]
	v_mul_f64 v[111:112], v[61:62], v[67:68]
	s_waitcnt lgkmcnt(3)
	v_mul_f64 v[113:114], v[63:64], v[71:72]
	v_mul_f64 v[115:116], v[61:62], v[71:72]
	;; [unrolled: 3-line block ×3, first 2 shown]
	v_fma_f64 v[85:86], v[3:4], v[33:34], -v[85:86]
	v_fma_f64 v[87:88], v[5:6], v[33:34], v[87:88]
	v_fma_f64 v[89:90], v[3:4], v[37:38], -v[89:90]
	v_fma_f64 v[91:92], v[5:6], v[37:38], v[91:92]
	;; [unrolled: 2-line block ×4, first 2 shown]
	v_mul_f64 v[123:124], v[75:76], v[71:72]
	v_mul_f64 v[71:72], v[73:74], v[71:72]
	v_fma_f64 v[97:98], v[45:46], v[49:50], -v[97:98]
	v_fma_f64 v[99:100], v[47:48], v[49:50], v[99:100]
	v_fma_f64 v[101:102], v[45:46], v[53:54], -v[101:102]
	v_fma_f64 v[103:104], v[47:48], v[53:54], v[103:104]
	;; [unrolled: 2-line block ×7, first 2 shown]
	v_add_f64 v[23:24], v[23:24], v[85:86]
	v_add_f64 v[25:26], v[87:88], v[25:26]
	;; [unrolled: 1-line block ×6, first 2 shown]
	v_fma_f64 v[73:74], v[73:74], v[69:70], -v[123:124]
	v_fma_f64 v[69:70], v[75:76], v[69:70], v[71:72]
	v_add_f64 v[71:72], v[15:16], v[93:94]
	v_add_f64 v[75:76], v[119:120], v[17:18]
	ds_read_b128 v[3:6], v28 offset:1536
	ds_read_b128 v[33:36], v28 offset:1792
	ds_read_b128 v[37:40], v29 offset:64
	ds_read_b128 v[41:44], v28 offset:2048
	ds_read_b128 v[45:48], v28 offset:2304
	ds_read_b128 v[49:52], v29 offset:2112
	ds_read_b128 v[15:18], v29 offset:2128
	s_add_i32 s30, s30, 8
	s_cmp_lt_i32 s30, s11
	v_add_f64 v[97:98], v[23:24], v[97:98]
	v_add_f64 v[99:100], v[99:100], v[25:26]
	v_add_f64 v[101:102], v[19:20], v[101:102]
	v_add_f64 v[103:104], v[103:104], v[21:22]
	v_add_f64 v[9:10], v[9:10], v[57:58]
	v_add_f64 v[53:54], v[53:54], v[85:86]
	ds_read_b128 v[19:22], v28 offset:2560
	ds_read_b128 v[23:26], v28 offset:2816
	s_waitcnt lgkmcnt(8)
	v_mul_f64 v[109:110], v[79:80], v[5:6]
	v_mul_f64 v[111:112], v[77:78], v[5:6]
	s_waitcnt lgkmcnt(7)
	v_mul_f64 v[67:68], v[79:80], v[35:36]
	v_mul_f64 v[113:114], v[77:78], v[35:36]
	;; [unrolled: 1-line block ×6, first 2 shown]
	s_waitcnt lgkmcnt(4)
	v_mul_f64 v[95:96], v[39:40], v[47:48]
	v_add_f64 v[71:72], v[71:72], v[105:106]
	v_add_f64 v[75:76], v[125:126], v[75:76]
	v_mul_f64 v[93:94], v[37:38], v[43:44]
	ds_read_b128 v[5:8], v29 offset:80
	v_add_f64 v[55:56], v[97:98], v[55:56]
	v_add_f64 v[59:60], v[59:60], v[99:100]
	;; [unrolled: 1-line block ×6, first 2 shown]
	s_waitcnt lgkmcnt(2)
	v_mul_f64 v[99:100], v[17:18], v[21:22]
	s_waitcnt lgkmcnt(1)
	v_mul_f64 v[101:102], v[17:18], v[25:26]
	v_fma_f64 v[89:90], v[77:78], v[3:4], -v[109:110]
	v_fma_f64 v[91:92], v[79:80], v[3:4], v[111:112]
	v_fma_f64 v[67:68], v[77:78], v[33:34], -v[67:68]
	v_mul_f64 v[77:78], v[39:40], v[43:44]
	v_mul_f64 v[109:110], v[37:38], v[47:48]
	v_fma_f64 v[79:80], v[79:80], v[33:34], v[113:114]
	v_mul_f64 v[111:112], v[51:52], v[43:44]
	v_mul_f64 v[43:44], v[49:50], v[43:44]
	v_fma_f64 v[57:58], v[81:82], v[3:4], -v[115:116]
	v_fma_f64 v[3:4], v[83:84], v[3:4], v[117:118]
	v_fma_f64 v[81:82], v[81:82], v[33:34], -v[87:88]
	v_fma_f64 v[83:84], v[83:84], v[33:34], v[35:36]
	v_fma_f64 v[87:88], v[37:38], v[45:46], -v[95:96]
	v_mul_f64 v[95:96], v[51:52], v[47:48]
	v_mul_f64 v[47:48], v[49:50], v[47:48]
	v_add_f64 v[71:72], v[71:72], v[107:108]
	v_add_f64 v[65:66], v[65:66], v[75:76]
	v_fma_f64 v[85:86], v[39:40], v[41:42], v[93:94]
	s_waitcnt lgkmcnt(0)
	v_mul_f64 v[69:70], v[7:8], v[21:22]
	v_mul_f64 v[73:74], v[5:6], v[21:22]
	;; [unrolled: 1-line block ×6, first 2 shown]
	v_add_f64 v[55:56], v[55:56], v[89:90]
	v_fma_f64 v[77:78], v[37:38], v[41:42], -v[77:78]
	v_fma_f64 v[93:94], v[39:40], v[45:46], v[109:110]
	v_add_f64 v[59:60], v[91:92], v[59:60]
	v_fma_f64 v[105:106], v[49:50], v[41:42], -v[111:112]
	v_fma_f64 v[109:110], v[51:52], v[41:42], v[43:44]
	v_add_f64 v[61:62], v[61:62], v[67:68]
	v_add_f64 v[63:64], v[79:80], v[63:64]
	;; [unrolled: 1-line block ×4, first 2 shown]
	ds_read_b128 v[33:36], v29 offset:96
	ds_read_b128 v[37:40], v28 offset:3072
	v_fma_f64 v[49:50], v[49:50], v[45:46], -v[95:96]
	v_fma_f64 v[51:52], v[51:52], v[45:46], v[47:48]
	v_add_f64 v[57:58], v[71:72], v[57:58]
	v_add_f64 v[65:66], v[3:4], v[65:66]
	ds_read_b128 v[41:44], v28 offset:3328
	ds_read_b128 v[45:48], v29 offset:2144
	v_fma_f64 v[69:70], v[5:6], v[19:20], -v[69:70]
	v_fma_f64 v[71:72], v[7:8], v[19:20], v[73:74]
	v_fma_f64 v[73:74], v[5:6], v[23:24], -v[75:76]
	v_fma_f64 v[75:76], v[7:8], v[23:24], v[97:98]
	v_fma_f64 v[79:80], v[15:16], v[19:20], -v[99:100]
	v_fma_f64 v[81:82], v[17:18], v[19:20], v[21:22]
	v_fma_f64 v[83:84], v[15:16], v[23:24], -v[101:102]
	v_fma_f64 v[23:24], v[17:18], v[23:24], v[25:26]
	v_add_f64 v[55:56], v[55:56], v[77:78]
	v_add_f64 v[59:60], v[85:86], v[59:60]
	ds_read_b128 v[3:6], v29 offset:112
	ds_read_b128 v[7:10], v29 offset:2160
	v_add_f64 v[61:62], v[61:62], v[87:88]
	v_add_f64 v[63:64], v[93:94], v[63:64]
	s_waitcnt lgkmcnt(4)
	v_mul_f64 v[89:90], v[35:36], v[39:40]
	v_mul_f64 v[25:26], v[33:34], v[39:40]
	ds_read_b128 v[15:18], v28 offset:3584
	ds_read_b128 v[19:22], v28 offset:3840
	v_add_f64 v[49:50], v[67:68], v[49:50]
	s_waitcnt lgkmcnt(5)
	v_mul_f64 v[91:92], v[35:36], v[43:44]
	v_mul_f64 v[95:96], v[33:34], v[43:44]
	s_waitcnt lgkmcnt(4)
	v_mul_f64 v[97:98], v[47:48], v[39:40]
	v_mul_f64 v[39:40], v[45:46], v[39:40]
	v_add_f64 v[57:58], v[57:58], v[105:106]
	v_add_f64 v[65:66], v[109:110], v[65:66]
	;; [unrolled: 1-line block ×3, first 2 shown]
	v_mul_f64 v[53:54], v[47:48], v[43:44]
	v_mul_f64 v[43:44], v[45:46], v[43:44]
	s_waitcnt lgkmcnt(0)
	s_barrier
	buffer_gl0_inv
	v_fma_f64 v[67:68], v[33:34], v[37:38], -v[89:90]
	v_fma_f64 v[25:26], v[35:36], v[37:38], v[25:26]
	v_add_f64 v[49:50], v[49:50], v[83:84]
	v_fma_f64 v[33:34], v[33:34], v[41:42], -v[91:92]
	v_fma_f64 v[35:36], v[35:36], v[41:42], v[95:96]
	v_fma_f64 v[77:78], v[45:46], v[37:38], -v[97:98]
	v_fma_f64 v[37:38], v[47:48], v[37:38], v[39:40]
	v_add_f64 v[39:40], v[55:56], v[69:70]
	v_add_f64 v[55:56], v[71:72], v[59:60]
	;; [unrolled: 1-line block ×7, first 2 shown]
	v_fma_f64 v[45:46], v[45:46], v[41:42], -v[53:54]
	v_fma_f64 v[41:42], v[47:48], v[41:42], v[43:44]
	v_mul_f64 v[43:44], v[5:6], v[17:18]
	v_mul_f64 v[47:48], v[3:4], v[17:18]
	v_mul_f64 v[51:52], v[5:6], v[21:22]
	v_mul_f64 v[53:54], v[3:4], v[21:22]
	v_mul_f64 v[65:66], v[9:10], v[17:18]
	v_mul_f64 v[17:18], v[7:8], v[17:18]
	v_mul_f64 v[69:70], v[9:10], v[21:22]
	v_mul_f64 v[21:22], v[7:8], v[21:22]
	v_add_f64 v[39:40], v[39:40], v[67:68]
	v_add_f64 v[25:26], v[25:26], v[55:56]
	;; [unrolled: 1-line block ×8, first 2 shown]
	v_fma_f64 v[23:24], v[3:4], v[15:16], -v[43:44]
	v_fma_f64 v[43:44], v[5:6], v[15:16], v[47:48]
	v_fma_f64 v[3:4], v[3:4], v[19:20], -v[51:52]
	v_fma_f64 v[5:6], v[5:6], v[19:20], v[53:54]
	v_fma_f64 v[47:48], v[7:8], v[15:16], -v[65:66]
	v_fma_f64 v[17:18], v[9:10], v[15:16], v[17:18]
	v_fma_f64 v[7:8], v[7:8], v[19:20], -v[69:70]
	v_fma_f64 v[49:50], v[9:10], v[19:20], v[21:22]
	v_add_f64 v[23:24], v[39:40], v[23:24]
	v_add_f64 v[25:26], v[43:44], v[25:26]
	;; [unrolled: 1-line block ×8, first 2 shown]
	s_cbranch_scc0 .LBB115_13
.LBB115_7:                              ; =>This Inner Loop Header: Depth=1
	v_add_nc_u32_e32 v3, s30, v30
	v_mov_b32_e32 v5, 0
	v_mov_b32_e32 v6, 0
	v_cmp_gt_i32_e64 s0, s11, v3
	v_mov_b32_e32 v3, 0
	v_mov_b32_e32 v4, 0
	s_and_b32 s6, vcc_lo, s0
	s_and_saveexec_b32 s0, s6
	s_cbranch_execz .LBB115_9
; %bb.8:                                ;   in Loop: Header=BB115_7 Depth=1
	global_load_dwordx4 v[3:6], v[11:12], off offset:-8
	s_waitcnt vmcnt(0)
	v_xor_b32_e32 v6, 0x80000000, v6
.LBB115_9:                              ;   in Loop: Header=BB115_7 Depth=1
	s_or_b32 exec_lo, exec_lo, s0
	v_add_nc_u32_e32 v33, s30, v27
	ds_write_b128 v31, v[3:6]
	v_cmp_le_i32_e64 s0, s11, v33
	s_or_b32 s0, s0, s1
	s_and_saveexec_b32 s6, s0
	s_xor_b32 s0, exec_lo, s6
	s_cbranch_execz .LBB115_11
; %bb.10:                               ;   in Loop: Header=BB115_7 Depth=1
	v_mov_b32_e32 v3, v2
	v_mov_b32_e32 v4, v2
	;; [unrolled: 1-line block ×3, first 2 shown]
	ds_write_b128 v32, v[2:5]
.LBB115_11:                             ;   in Loop: Header=BB115_7 Depth=1
	s_andn2_saveexec_b32 s0, s0
	s_cbranch_execz .LBB115_6
; %bb.12:                               ;   in Loop: Header=BB115_7 Depth=1
	global_load_dwordx4 v[3:6], v[13:14], off
	s_waitcnt vmcnt(0)
	ds_write2_b64 v32, v[3:4], v[5:6] offset1:1
	s_branch .LBB115_6
.LBB115_13:
	s_clause 0x1
	s_load_dword s2, s[4:5], 0x50
	s_load_dwordx2 s[4:5], s[4:5], 0x58
	v_cmp_neq_f64_e64 s6, s[12:13], 0
	v_add_nc_u32_e32 v27, s29, v1
	v_add_nc_u32_e32 v4, s28, v0
	v_cmp_gt_i32_e64 s0, s10, v27
	v_cmp_le_i32_e32 vcc_lo, v4, v27
	v_ashrrev_i32_e32 v5, 31, v4
	s_waitcnt lgkmcnt(0)
	v_mad_i64_i32 v[0:1], null, v27, s2, 0
	s_mul_i32 s1, s5, s8
	s_mul_hi_u32 s3, s4, s8
	s_mul_i32 s4, s4, s8
	s_add_i32 s5, s3, s1
	s_lshl_b64 s[4:5], s[4:5], 4
	v_lshlrev_b64 v[0:1], 4, v[0:1]
	s_add_u32 s3, s22, s4
	s_addc_u32 s4, s23, s5
	s_xor_b32 s5, s9, -1
	s_or_b32 s5, s6, s5
	v_add_co_u32 v13, s1, s3, v0
	v_add_co_ci_u32_e64 v14, null, s4, v1, s1
	v_cndmask_b32_e64 v6, 0, 1, s5
	s_and_b32 s6, s0, vcc_lo
	s_and_saveexec_b32 s1, s6
	s_cbranch_execz .LBB115_17
; %bb.14:
	v_mul_f64 v[0:1], s[18:19], v[25:26]
	v_mul_f64 v[2:3], s[16:17], v[25:26]
	v_lshlrev_b64 v[11:12], 4, v[4:5]
	v_add_co_u32 v11, vcc_lo, v13, v11
	v_add_co_ci_u32_e64 v12, null, v14, v12, vcc_lo
	s_andn2_b32 vcc_lo, exec_lo, s5
	v_fma_f64 v[0:1], s[16:17], v[23:24], -v[0:1]
	v_fma_f64 v[2:3], s[18:19], v[23:24], v[2:3]
	s_cbranch_vccnz .LBB115_16
; %bb.15:
	global_load_dwordx4 v[23:26], v[11:12], off
	s_waitcnt vmcnt(0)
	v_mul_f64 v[28:29], s[14:15], v[25:26]
	v_mul_f64 v[25:26], s[12:13], v[25:26]
	v_fma_f64 v[28:29], s[12:13], v[23:24], -v[28:29]
	v_fma_f64 v[23:24], s[14:15], v[23:24], v[25:26]
	v_add_f64 v[0:1], v[0:1], v[28:29]
	v_add_f64 v[2:3], v[2:3], v[23:24]
.LBB115_16:
	global_store_dwordx4 v[11:12], v[0:3], off
.LBB115_17:
	s_or_b32 exec_lo, exec_lo, s1
	v_add_nc_u32_e32 v11, 16, v4
	v_cmp_le_i32_e32 vcc_lo, v11, v27
	v_ashrrev_i32_e32 v12, 31, v11
	s_and_b32 s0, s0, vcc_lo
	s_and_saveexec_b32 s1, s0
	s_cbranch_execz .LBB115_21
; %bb.18:
	v_mul_f64 v[0:1], s[18:19], v[21:22]
	v_mul_f64 v[2:3], s[16:17], v[21:22]
	v_cmp_ne_u32_e32 vcc_lo, 1, v6
	s_and_b32 vcc_lo, exec_lo, vcc_lo
	v_fma_f64 v[0:1], s[16:17], v[19:20], -v[0:1]
	v_fma_f64 v[2:3], s[18:19], v[19:20], v[2:3]
	v_lshlrev_b64 v[19:20], 4, v[11:12]
	v_add_co_u32 v13, s0, v13, v19
	v_add_co_ci_u32_e64 v14, null, v14, v20, s0
	s_cbranch_vccnz .LBB115_20
; %bb.19:
	global_load_dwordx4 v[19:22], v[13:14], off
	s_waitcnt vmcnt(0)
	v_mul_f64 v[23:24], s[14:15], v[21:22]
	v_mul_f64 v[21:22], s[12:13], v[21:22]
	v_fma_f64 v[23:24], s[12:13], v[19:20], -v[23:24]
	v_fma_f64 v[19:20], s[14:15], v[19:20], v[21:22]
	v_add_f64 v[0:1], v[0:1], v[23:24]
	v_add_f64 v[2:3], v[2:3], v[19:20]
.LBB115_20:
	global_store_dwordx4 v[13:14], v[0:3], off
.LBB115_21:
	s_or_b32 exec_lo, exec_lo, s1
	v_add_nc_u32_e32 v19, 16, v27
	v_mad_i64_i32 v[0:1], null, v19, s2, 0
	v_cmp_gt_i32_e64 s0, s10, v19
	v_cmp_le_i32_e32 vcc_lo, v4, v19
	v_lshlrev_b64 v[0:1], 4, v[0:1]
	v_add_co_u32 v13, s1, s3, v0
	v_add_co_ci_u32_e64 v14, null, s4, v1, s1
	s_and_b32 s1, s0, vcc_lo
	s_and_saveexec_b32 s2, s1
	s_cbranch_execz .LBB115_25
; %bb.22:
	v_mul_f64 v[0:1], s[18:19], v[17:18]
	v_mul_f64 v[2:3], s[16:17], v[17:18]
	v_lshlrev_b64 v[4:5], 4, v[4:5]
	v_cmp_ne_u32_e32 vcc_lo, 1, v6
	s_and_b32 vcc_lo, exec_lo, vcc_lo
	v_add_co_u32 v4, s1, v13, v4
	v_add_co_ci_u32_e64 v5, null, v14, v5, s1
	v_fma_f64 v[0:1], s[16:17], v[15:16], -v[0:1]
	v_fma_f64 v[2:3], s[18:19], v[15:16], v[2:3]
	s_cbranch_vccnz .LBB115_24
; %bb.23:
	global_load_dwordx4 v[15:18], v[4:5], off
	s_waitcnt vmcnt(0)
	v_mul_f64 v[20:21], s[14:15], v[17:18]
	v_mul_f64 v[17:18], s[12:13], v[17:18]
	v_fma_f64 v[20:21], s[12:13], v[15:16], -v[20:21]
	v_fma_f64 v[15:16], s[14:15], v[15:16], v[17:18]
	v_add_f64 v[0:1], v[0:1], v[20:21]
	v_add_f64 v[2:3], v[2:3], v[15:16]
.LBB115_24:
	global_store_dwordx4 v[4:5], v[0:3], off
.LBB115_25:
	s_or_b32 exec_lo, exec_lo, s2
	v_cmp_le_i32_e32 vcc_lo, v11, v19
	s_and_b32 s0, s0, vcc_lo
	s_and_saveexec_b32 s1, s0
	s_cbranch_execz .LBB115_30
; %bb.26:
	v_mul_f64 v[0:1], s[18:19], v[7:8]
	v_mul_f64 v[2:3], s[16:17], v[7:8]
	v_lshlrev_b64 v[4:5], 4, v[11:12]
	v_cmp_ne_u32_e32 vcc_lo, 1, v6
	s_and_b32 vcc_lo, exec_lo, vcc_lo
	v_add_co_u32 v4, s0, v13, v4
	v_add_co_ci_u32_e64 v5, null, v14, v5, s0
	v_fma_f64 v[0:1], s[16:17], v[9:10], -v[0:1]
	v_fma_f64 v[2:3], s[18:19], v[9:10], v[2:3]
	s_cbranch_vccnz .LBB115_28
; %bb.27:
	global_load_dwordx4 v[6:9], v[4:5], off
	s_waitcnt vmcnt(0)
	v_mul_f64 v[10:11], s[14:15], v[8:9]
	v_mul_f64 v[8:9], s[12:13], v[8:9]
	v_fma_f64 v[10:11], s[12:13], v[6:7], -v[10:11]
	v_fma_f64 v[6:7], s[14:15], v[6:7], v[8:9]
	v_add_f64 v[0:1], v[0:1], v[10:11]
	v_add_f64 v[2:3], v[2:3], v[6:7]
.LBB115_28:
	global_store_dwordx4 v[4:5], v[0:3], off
	s_endpgm
.LBB115_29:
.LBB115_30:
	s_endpgm
	.section	.rodata,"a",@progbits
	.p2align	6, 0x0
	.amdhsa_kernel _ZL29rocblas_internal_gemmt_kernelIiLi16ELi32ELi8ELc67ELc84ELc85ELb1ELb0E19rocblas_complex_numIdEPKS1_S3_PS1_EviT_T9_T10_S5_lS7_S5_lS6_T11_S5_li
		.amdhsa_group_segment_fixed_size 8192
		.amdhsa_private_segment_fixed_size 0
		.amdhsa_kernarg_size 100
		.amdhsa_user_sgpr_count 6
		.amdhsa_user_sgpr_private_segment_buffer 1
		.amdhsa_user_sgpr_dispatch_ptr 0
		.amdhsa_user_sgpr_queue_ptr 0
		.amdhsa_user_sgpr_kernarg_segment_ptr 1
		.amdhsa_user_sgpr_dispatch_id 0
		.amdhsa_user_sgpr_flat_scratch_init 0
		.amdhsa_user_sgpr_private_segment_size 0
		.amdhsa_wavefront_size32 1
		.amdhsa_uses_dynamic_stack 0
		.amdhsa_system_sgpr_private_segment_wavefront_offset 0
		.amdhsa_system_sgpr_workgroup_id_x 1
		.amdhsa_system_sgpr_workgroup_id_y 1
		.amdhsa_system_sgpr_workgroup_id_z 1
		.amdhsa_system_sgpr_workgroup_info 0
		.amdhsa_system_vgpr_workitem_id 1
		.amdhsa_next_free_vgpr 127
		.amdhsa_next_free_sgpr 31
		.amdhsa_reserve_vcc 1
		.amdhsa_reserve_flat_scratch 0
		.amdhsa_float_round_mode_32 0
		.amdhsa_float_round_mode_16_64 0
		.amdhsa_float_denorm_mode_32 3
		.amdhsa_float_denorm_mode_16_64 3
		.amdhsa_dx10_clamp 1
		.amdhsa_ieee_mode 1
		.amdhsa_fp16_overflow 0
		.amdhsa_workgroup_processor_mode 1
		.amdhsa_memory_ordered 1
		.amdhsa_forward_progress 1
		.amdhsa_shared_vgpr_count 0
		.amdhsa_exception_fp_ieee_invalid_op 0
		.amdhsa_exception_fp_denorm_src 0
		.amdhsa_exception_fp_ieee_div_zero 0
		.amdhsa_exception_fp_ieee_overflow 0
		.amdhsa_exception_fp_ieee_underflow 0
		.amdhsa_exception_fp_ieee_inexact 0
		.amdhsa_exception_int_div_zero 0
	.end_amdhsa_kernel
	.section	.text._ZL29rocblas_internal_gemmt_kernelIiLi16ELi32ELi8ELc67ELc84ELc85ELb1ELb0E19rocblas_complex_numIdEPKS1_S3_PS1_EviT_T9_T10_S5_lS7_S5_lS6_T11_S5_li,"axG",@progbits,_ZL29rocblas_internal_gemmt_kernelIiLi16ELi32ELi8ELc67ELc84ELc85ELb1ELb0E19rocblas_complex_numIdEPKS1_S3_PS1_EviT_T9_T10_S5_lS7_S5_lS6_T11_S5_li,comdat
.Lfunc_end115:
	.size	_ZL29rocblas_internal_gemmt_kernelIiLi16ELi32ELi8ELc67ELc84ELc85ELb1ELb0E19rocblas_complex_numIdEPKS1_S3_PS1_EviT_T9_T10_S5_lS7_S5_lS6_T11_S5_li, .Lfunc_end115-_ZL29rocblas_internal_gemmt_kernelIiLi16ELi32ELi8ELc67ELc84ELc85ELb1ELb0E19rocblas_complex_numIdEPKS1_S3_PS1_EviT_T9_T10_S5_lS7_S5_lS6_T11_S5_li
                                        ; -- End function
	.set _ZL29rocblas_internal_gemmt_kernelIiLi16ELi32ELi8ELc67ELc84ELc85ELb1ELb0E19rocblas_complex_numIdEPKS1_S3_PS1_EviT_T9_T10_S5_lS7_S5_lS6_T11_S5_li.num_vgpr, 127
	.set _ZL29rocblas_internal_gemmt_kernelIiLi16ELi32ELi8ELc67ELc84ELc85ELb1ELb0E19rocblas_complex_numIdEPKS1_S3_PS1_EviT_T9_T10_S5_lS7_S5_lS6_T11_S5_li.num_agpr, 0
	.set _ZL29rocblas_internal_gemmt_kernelIiLi16ELi32ELi8ELc67ELc84ELc85ELb1ELb0E19rocblas_complex_numIdEPKS1_S3_PS1_EviT_T9_T10_S5_lS7_S5_lS6_T11_S5_li.numbered_sgpr, 31
	.set _ZL29rocblas_internal_gemmt_kernelIiLi16ELi32ELi8ELc67ELc84ELc85ELb1ELb0E19rocblas_complex_numIdEPKS1_S3_PS1_EviT_T9_T10_S5_lS7_S5_lS6_T11_S5_li.num_named_barrier, 0
	.set _ZL29rocblas_internal_gemmt_kernelIiLi16ELi32ELi8ELc67ELc84ELc85ELb1ELb0E19rocblas_complex_numIdEPKS1_S3_PS1_EviT_T9_T10_S5_lS7_S5_lS6_T11_S5_li.private_seg_size, 0
	.set _ZL29rocblas_internal_gemmt_kernelIiLi16ELi32ELi8ELc67ELc84ELc85ELb1ELb0E19rocblas_complex_numIdEPKS1_S3_PS1_EviT_T9_T10_S5_lS7_S5_lS6_T11_S5_li.uses_vcc, 1
	.set _ZL29rocblas_internal_gemmt_kernelIiLi16ELi32ELi8ELc67ELc84ELc85ELb1ELb0E19rocblas_complex_numIdEPKS1_S3_PS1_EviT_T9_T10_S5_lS7_S5_lS6_T11_S5_li.uses_flat_scratch, 0
	.set _ZL29rocblas_internal_gemmt_kernelIiLi16ELi32ELi8ELc67ELc84ELc85ELb1ELb0E19rocblas_complex_numIdEPKS1_S3_PS1_EviT_T9_T10_S5_lS7_S5_lS6_T11_S5_li.has_dyn_sized_stack, 0
	.set _ZL29rocblas_internal_gemmt_kernelIiLi16ELi32ELi8ELc67ELc84ELc85ELb1ELb0E19rocblas_complex_numIdEPKS1_S3_PS1_EviT_T9_T10_S5_lS7_S5_lS6_T11_S5_li.has_recursion, 0
	.set _ZL29rocblas_internal_gemmt_kernelIiLi16ELi32ELi8ELc67ELc84ELc85ELb1ELb0E19rocblas_complex_numIdEPKS1_S3_PS1_EviT_T9_T10_S5_lS7_S5_lS6_T11_S5_li.has_indirect_call, 0
	.section	.AMDGPU.csdata,"",@progbits
; Kernel info:
; codeLenInByte = 3568
; TotalNumSgprs: 33
; NumVgprs: 127
; ScratchSize: 0
; MemoryBound: 1
; FloatMode: 240
; IeeeMode: 1
; LDSByteSize: 8192 bytes/workgroup (compile time only)
; SGPRBlocks: 0
; VGPRBlocks: 15
; NumSGPRsForWavesPerEU: 33
; NumVGPRsForWavesPerEU: 127
; Occupancy: 8
; WaveLimiterHint : 0
; COMPUTE_PGM_RSRC2:SCRATCH_EN: 0
; COMPUTE_PGM_RSRC2:USER_SGPR: 6
; COMPUTE_PGM_RSRC2:TRAP_HANDLER: 0
; COMPUTE_PGM_RSRC2:TGID_X_EN: 1
; COMPUTE_PGM_RSRC2:TGID_Y_EN: 1
; COMPUTE_PGM_RSRC2:TGID_Z_EN: 1
; COMPUTE_PGM_RSRC2:TIDIG_COMP_CNT: 1
	.section	.text._ZL29rocblas_internal_gemmt_kernelIiLi16ELi32ELi8ELc67ELc67ELc85ELb1ELb1E19rocblas_complex_numIdEPKS1_S3_PS1_EviT_T9_T10_S5_lS7_S5_lS6_T11_S5_li,"axG",@progbits,_ZL29rocblas_internal_gemmt_kernelIiLi16ELi32ELi8ELc67ELc67ELc85ELb1ELb1E19rocblas_complex_numIdEPKS1_S3_PS1_EviT_T9_T10_S5_lS7_S5_lS6_T11_S5_li,comdat
	.globl	_ZL29rocblas_internal_gemmt_kernelIiLi16ELi32ELi8ELc67ELc67ELc85ELb1ELb1E19rocblas_complex_numIdEPKS1_S3_PS1_EviT_T9_T10_S5_lS7_S5_lS6_T11_S5_li ; -- Begin function _ZL29rocblas_internal_gemmt_kernelIiLi16ELi32ELi8ELc67ELc67ELc85ELb1ELb1E19rocblas_complex_numIdEPKS1_S3_PS1_EviT_T9_T10_S5_lS7_S5_lS6_T11_S5_li
	.p2align	8
	.type	_ZL29rocblas_internal_gemmt_kernelIiLi16ELi32ELi8ELc67ELc67ELc85ELb1ELb1E19rocblas_complex_numIdEPKS1_S3_PS1_EviT_T9_T10_S5_lS7_S5_lS6_T11_S5_li,@function
_ZL29rocblas_internal_gemmt_kernelIiLi16ELi32ELi8ELc67ELc67ELc85ELb1ELb1E19rocblas_complex_numIdEPKS1_S3_PS1_EviT_T9_T10_S5_lS7_S5_lS6_T11_S5_li: ; @_ZL29rocblas_internal_gemmt_kernelIiLi16ELi32ELi8ELc67ELc67ELc85ELb1ELb1E19rocblas_complex_numIdEPKS1_S3_PS1_EviT_T9_T10_S5_lS7_S5_lS6_T11_S5_li
; %bb.0:
	s_load_dwordx4 s[20:23], s[4:5], 0x38
	s_waitcnt lgkmcnt(0)
	s_load_dwordx4 s[12:15], s[22:23], 0x0
	s_clause 0x1
	s_load_dwordx4 s[0:3], s[4:5], 0x8
	s_load_dwordx2 s[10:11], s[4:5], 0x0
	s_waitcnt lgkmcnt(0)
	s_load_dwordx4 s[16:19], s[0:1], 0x0
	v_cmp_eq_f64_e64 s22, s[12:13], 1.0
	v_cmp_eq_f64_e64 s9, s[14:15], 0
	s_and_b32 s0, s22, s9
	s_andn2_b32 vcc_lo, exec_lo, s0
	s_mov_b32 s0, -1
	s_cbranch_vccnz .LBB116_3
; %bb.1:
	s_cmp_lg_u32 s11, 0
	s_cbranch_scc0 .LBB116_27
; %bb.2:
	s_waitcnt lgkmcnt(0)
	v_cmp_neq_f64_e64 s0, s[16:17], 0
	v_cmp_neq_f64_e64 s1, s[18:19], 0
	s_or_b32 s0, s0, s1
.LBB116_3:
	s_and_b32 vcc_lo, exec_lo, s0
	s_cbranch_vccz .LBB116_28
; %bb.4:
	s_waitcnt lgkmcnt(0)
	v_cmp_eq_f64_e64 s0, s[16:17], 0
	v_cmp_eq_f64_e64 s1, s[18:19], 0
	s_load_dwordx2 s[22:23], s[4:5], 0x48
	s_lshl_b32 s28, s6, 5
	s_lshl_b32 s29, s7, 5
	v_mov_b32_e32 v26, 0
	v_mov_b32_e32 v28, 0
	;; [unrolled: 1-line block ×16, first 2 shown]
	s_mov_b32 s30, 0
	s_and_b32 s0, s0, s1
	s_cmp_lt_i32 s11, 1
	s_cselect_b32 s1, -1, 0
	s_or_b32 s0, s0, s1
	s_and_b32 vcc_lo, exec_lo, s0
	s_cbranch_vccnz .LBB116_11
; %bb.5:
	s_load_dword s0, s[4:5], 0x18
	v_lshl_add_u32 v2, v1, 4, v0
	s_clause 0x1
	s_load_dwordx4 s[24:27], s[4:5], 0x20
	s_load_dword s6, s[4:5], 0x30
	v_and_b32_e32 v30, 7, v0
	v_mov_b32_e32 v12, 0
	v_mov_b32_e32 v18, 0
	v_and_b32_e32 v3, 31, v2
	v_lshrrev_b32_e32 v4, 3, v2
	v_lshlrev_b32_e32 v5, 4, v30
	v_lshrrev_b32_e32 v33, 5, v2
	v_mov_b32_e32 v16, 0
	v_add_nc_u32_e32 v7, s28, v3
	v_add_nc_u32_e32 v2, s29, v4
	v_lshl_or_b32 v8, v4, 7, v5
	v_or_b32_e32 v6, s28, v3
	v_lshlrev_b32_e32 v3, 4, v3
	v_lshlrev_b32_e32 v10, 4, v33
	v_mov_b32_e32 v24, 0
	v_add_nc_u32_e32 v35, 0x1000, v8
	v_cmp_gt_i32_e32 vcc_lo, s10, v6
	s_waitcnt lgkmcnt(0)
	v_mad_i64_i32 v[4:5], null, s0, v7, 0
	s_mul_i32 s1, s25, s8
	s_mul_hi_u32 s7, s24, s8
	v_mad_i64_i32 v[6:7], null, s6, v30, 0
	s_mul_i32 s24, s24, s8
	s_add_i32 s25, s7, s1
	v_lshlrev_b64 v[4:5], 4, v[4:5]
	s_lshl_b64 s[24:25], s[24:25], 4
	v_lshl_or_b32 v34, v33, 9, v3
	v_ashrrev_i32_e32 v3, 31, v2
	s_mul_hi_u32 s7, s20, s8
	s_mul_i32 s20, s20, s8
	v_add_co_u32 v8, s1, v4, s24
	v_add_co_ci_u32_e64 v9, null, s25, v5, s1
	s_mul_i32 s1, s21, s8
	v_lshlrev_b64 v[4:5], 4, v[6:7]
	s_add_i32 s21, s7, s1
	v_add_co_u32 v6, s1, v8, v10
	s_lshl_b64 s[20:21], s[20:21], 4
	v_cmp_gt_i32_e64 s0, s10, v2
	v_lshlrev_b64 v[2:3], 4, v[2:3]
	v_add_co_ci_u32_e64 v7, null, 0, v9, s1
	v_add_co_u32 v4, s1, s20, v4
	v_add_co_ci_u32_e64 v5, null, s21, v5, s1
	v_add_co_u32 v6, s1, s2, v6
	;; [unrolled: 2-line block ×5, first 2 shown]
	v_add_co_ci_u32_e64 v3, null, s27, v3, s1
	v_mov_b32_e32 v10, 0
	v_add_co_u32 v20, s1, v2, 8
	v_mov_b32_e32 v22, 0
	v_mov_b32_e32 v28, 0
	;; [unrolled: 1-line block ×3, first 2 shown]
	v_lshlrev_b32_e32 v31, 4, v0
	v_lshl_add_u32 v32, v1, 7, 0x1000
	v_mov_b32_e32 v11, 0
	v_mov_b32_e32 v13, 0
	;; [unrolled: 1-line block ×8, first 2 shown]
	v_add_co_ci_u32_e64 v21, null, 0, v3, s1
	s_ashr_i32 s7, s6, 31
	s_lshl_b64 s[2:3], s[6:7], 7
	s_branch .LBB116_7
.LBB116_6:                              ;   in Loop: Header=BB116_7 Depth=1
	s_or_b32 exec_lo, exec_lo, s1
	ds_write_b128 v35, v[6:9]
	s_waitcnt lgkmcnt(0)
	s_barrier
	buffer_gl0_inv
	ds_read_b128 v[2:5], v32
	ds_read_b128 v[6:9], v31
	ds_read_b128 v[36:39], v31 offset:256
	ds_read_b128 v[40:43], v32 offset:2048
	;; [unrolled: 1-line block ×12, first 2 shown]
	v_add_co_u32 v14, s1, 0x80, v14
	v_add_co_ci_u32_e64 v15, null, 0, v15, s1
	v_add_co_u32 v20, s1, v20, s2
	v_add_co_ci_u32_e64 v21, null, s3, v21, s1
	s_waitcnt lgkmcnt(12)
	v_mul_f64 v[84:85], v[4:5], v[8:9]
	v_mul_f64 v[86:87], v[2:3], v[8:9]
	s_waitcnt lgkmcnt(11)
	v_mul_f64 v[88:89], v[4:5], v[38:39]
	v_mul_f64 v[90:91], v[2:3], v[38:39]
	s_waitcnt lgkmcnt(10)
	v_mul_f64 v[92:93], v[42:43], v[8:9]
	v_mul_f64 v[8:9], v[40:41], v[8:9]
	v_mul_f64 v[94:95], v[42:43], v[38:39]
	v_mul_f64 v[38:39], v[40:41], v[38:39]
	s_waitcnt lgkmcnt(8)
	v_mul_f64 v[96:97], v[46:47], v[50:51]
	v_mul_f64 v[98:99], v[44:45], v[50:51]
	s_waitcnt lgkmcnt(7)
	;; [unrolled: 3-line block ×3, first 2 shown]
	v_mul_f64 v[104:105], v[58:59], v[50:51]
	v_mul_f64 v[50:51], v[56:57], v[50:51]
	v_mul_f64 v[106:107], v[58:59], v[54:55]
	v_mul_f64 v[54:55], v[56:57], v[54:55]
	s_waitcnt lgkmcnt(4)
	v_mul_f64 v[108:109], v[62:63], v[66:67]
	v_mul_f64 v[110:111], v[60:61], v[66:67]
	s_waitcnt lgkmcnt(3)
	v_mul_f64 v[112:113], v[62:63], v[70:71]
	v_mul_f64 v[114:115], v[60:61], v[70:71]
	;; [unrolled: 3-line block ×3, first 2 shown]
	v_fma_f64 v[84:85], v[2:3], v[6:7], -v[84:85]
	v_fma_f64 v[86:87], v[4:5], v[6:7], v[86:87]
	v_fma_f64 v[88:89], v[2:3], v[36:37], -v[88:89]
	v_fma_f64 v[90:91], v[4:5], v[36:37], v[90:91]
	;; [unrolled: 2-line block ×4, first 2 shown]
	v_mul_f64 v[122:123], v[74:75], v[70:71]
	v_mul_f64 v[70:71], v[72:73], v[70:71]
	ds_read_b128 v[2:5], v31 offset:1536
	ds_read_b128 v[6:9], v31 offset:1792
	v_fma_f64 v[96:97], v[44:45], v[48:49], -v[96:97]
	v_fma_f64 v[98:99], v[46:47], v[48:49], v[98:99]
	v_fma_f64 v[100:101], v[44:45], v[52:53], -v[100:101]
	v_fma_f64 v[102:103], v[46:47], v[52:53], v[102:103]
	;; [unrolled: 2-line block ×7, first 2 shown]
	v_add_f64 v[26:27], v[26:27], v[84:85]
	v_add_f64 v[28:29], v[86:87], v[28:29]
	;; [unrolled: 1-line block ×4, first 2 shown]
	s_waitcnt lgkmcnt(1)
	v_mul_f64 v[108:109], v[78:79], v[4:5]
	v_mul_f64 v[110:111], v[76:77], v[4:5]
	s_waitcnt lgkmcnt(0)
	v_mul_f64 v[66:67], v[78:79], v[8:9]
	v_fma_f64 v[72:73], v[72:73], v[68:69], -v[122:123]
	v_mul_f64 v[114:115], v[82:83], v[4:5]
	v_mul_f64 v[4:5], v[80:81], v[4:5]
	v_fma_f64 v[68:69], v[74:75], v[68:69], v[70:71]
	v_add_f64 v[70:71], v[16:17], v[92:93]
	v_add_f64 v[74:75], v[118:119], v[18:19]
	;; [unrolled: 1-line block ×4, first 2 shown]
	ds_read_b128 v[36:39], v32 offset:64
	ds_read_b128 v[40:43], v31 offset:2048
	;; [unrolled: 1-line block ×3, first 2 shown]
	v_mul_f64 v[112:113], v[76:77], v[8:9]
	v_mul_f64 v[86:87], v[82:83], v[8:9]
	;; [unrolled: 1-line block ×3, first 2 shown]
	ds_read_b128 v[48:51], v32 offset:2112
	ds_read_b128 v[16:19], v32 offset:2128
	v_add_f64 v[26:27], v[26:27], v[96:97]
	v_add_f64 v[28:29], v[98:99], v[28:29]
	v_add_f64 v[96:97], v[22:23], v[100:101]
	v_add_f64 v[98:99], v[102:103], v[24:25]
	v_fma_f64 v[88:89], v[76:77], v[2:3], -v[108:109]
	v_fma_f64 v[90:91], v[78:79], v[2:3], v[110:111]
	v_fma_f64 v[66:67], v[76:77], v[6:7], -v[66:67]
	ds_read_b128 v[8:11], v32 offset:80
	ds_read_b128 v[22:25], v31 offset:2816
	s_add_i32 s30, s30, 8
	v_add_f64 v[70:71], v[70:71], v[104:105]
	v_add_f64 v[74:75], v[124:125], v[74:75]
	s_waitcnt lgkmcnt(5)
	v_mul_f64 v[76:77], v[38:39], v[42:43]
	v_mul_f64 v[94:95], v[36:37], v[42:43]
	v_add_f64 v[12:13], v[12:13], v[56:57]
	v_add_f64 v[52:53], v[52:53], v[84:85]
	v_fma_f64 v[56:57], v[80:81], v[2:3], -v[114:115]
	v_fma_f64 v[84:85], v[82:83], v[2:3], v[4:5]
	ds_read_b128 v[2:5], v31 offset:2560
	s_waitcnt lgkmcnt(5)
	v_mul_f64 v[108:109], v[38:39], v[46:47]
	v_mul_f64 v[110:111], v[36:37], v[46:47]
	v_fma_f64 v[78:79], v[78:79], v[6:7], v[112:113]
	s_waitcnt lgkmcnt(4)
	v_mul_f64 v[112:113], v[50:51], v[42:43]
	v_mul_f64 v[42:43], v[48:49], v[42:43]
	v_fma_f64 v[80:81], v[80:81], v[6:7], -v[86:87]
	v_fma_f64 v[82:83], v[82:83], v[6:7], v[92:93]
	v_add_f64 v[54:55], v[26:27], v[54:55]
	v_add_f64 v[28:29], v[58:59], v[28:29]
	;; [unrolled: 1-line block ×4, first 2 shown]
	s_waitcnt lgkmcnt(1)
	v_mul_f64 v[102:103], v[18:19], v[24:25]
	v_mul_f64 v[104:105], v[16:17], v[24:25]
	v_add_f64 v[62:63], v[70:71], v[106:107]
	v_add_f64 v[64:65], v[64:65], v[74:75]
	v_fma_f64 v[76:77], v[36:37], v[40:41], -v[76:77]
	v_fma_f64 v[86:87], v[38:39], v[40:41], v[94:95]
	v_add_f64 v[12:13], v[12:13], v[72:73]
	v_add_f64 v[52:53], v[68:69], v[52:53]
	s_waitcnt lgkmcnt(0)
	v_mul_f64 v[68:69], v[10:11], v[4:5]
	v_mul_f64 v[70:71], v[8:9], v[4:5]
	;; [unrolled: 1-line block ×3, first 2 shown]
	v_fma_f64 v[92:93], v[36:37], v[44:45], -v[108:109]
	v_fma_f64 v[94:95], v[38:39], v[44:45], v[110:111]
	v_mul_f64 v[36:37], v[50:51], v[46:47]
	v_mul_f64 v[38:39], v[48:49], v[46:47]
	v_fma_f64 v[46:47], v[48:49], v[40:41], -v[112:113]
	v_fma_f64 v[100:101], v[50:51], v[40:41], v[42:43]
	v_mul_f64 v[74:75], v[8:9], v[24:25]
	v_mul_f64 v[96:97], v[18:19], v[4:5]
	;; [unrolled: 1-line block ×3, first 2 shown]
	v_add_f64 v[28:29], v[90:91], v[28:29]
	ds_read_b128 v[4:7], v32 offset:96
	ds_read_b128 v[24:27], v31 offset:3072
	s_cmp_lt_i32 s30, s11
	v_add_f64 v[56:57], v[62:63], v[56:57]
	v_add_f64 v[12:13], v[12:13], v[80:81]
	;; [unrolled: 1-line block ×3, first 2 shown]
	v_fma_f64 v[62:63], v[8:9], v[2:3], -v[68:69]
	v_fma_f64 v[48:49], v[48:49], v[44:45], -v[36:37]
	v_fma_f64 v[44:45], v[50:51], v[44:45], v[38:39]
	v_add_f64 v[50:51], v[54:55], v[88:89]
	v_add_f64 v[54:55], v[58:59], v[66:67]
	;; [unrolled: 1-line block ×4, first 2 shown]
	ds_read_b128 v[36:39], v31 offset:3328
	ds_read_b128 v[40:43], v32 offset:2144
	v_fma_f64 v[64:65], v[10:11], v[2:3], v[70:71]
	v_fma_f64 v[66:67], v[8:9], v[22:23], -v[72:73]
	v_fma_f64 v[68:69], v[10:11], v[22:23], v[74:75]
	v_fma_f64 v[70:71], v[16:17], v[2:3], -v[96:97]
	;; [unrolled: 2-line block ×3, first 2 shown]
	s_waitcnt lgkmcnt(2)
	v_mul_f64 v[74:75], v[6:7], v[26:27]
	v_fma_f64 v[22:23], v[18:19], v[22:23], v[104:105]
	v_mul_f64 v[78:79], v[4:5], v[26:27]
	v_add_f64 v[56:57], v[56:57], v[46:47]
	ds_read_b128 v[8:11], v32 offset:112
	ds_read_b128 v[16:19], v32 offset:2160
	v_add_f64 v[12:13], v[12:13], v[48:49]
	v_add_f64 v[48:49], v[44:45], v[52:53]
	;; [unrolled: 1-line block ×3, first 2 shown]
	s_waitcnt lgkmcnt(3)
	v_mul_f64 v[80:81], v[6:7], v[38:39]
	v_mul_f64 v[82:83], v[4:5], v[38:39]
	s_waitcnt lgkmcnt(2)
	v_mul_f64 v[84:85], v[42:43], v[26:27]
	v_mul_f64 v[88:89], v[40:41], v[26:27]
	v_add_f64 v[76:77], v[86:87], v[28:29]
	v_add_f64 v[54:55], v[54:55], v[92:93]
	;; [unrolled: 1-line block ×4, first 2 shown]
	v_mul_f64 v[52:53], v[42:43], v[38:39]
	v_mul_f64 v[38:39], v[40:41], v[38:39]
	ds_read_b128 v[26:29], v31 offset:3584
	ds_read_b128 v[44:47], v31 offset:3840
	v_fma_f64 v[74:75], v[4:5], v[24:25], -v[74:75]
	v_fma_f64 v[78:79], v[6:7], v[24:25], v[78:79]
	v_add_f64 v[56:57], v[56:57], v[70:71]
	s_waitcnt lgkmcnt(0)
	s_barrier
	buffer_gl0_inv
	v_add_f64 v[12:13], v[12:13], v[72:73]
	v_add_f64 v[22:23], v[22:23], v[48:49]
	;; [unrolled: 1-line block ×3, first 2 shown]
	v_fma_f64 v[4:5], v[4:5], v[36:37], -v[80:81]
	v_fma_f64 v[6:7], v[6:7], v[36:37], v[82:83]
	v_fma_f64 v[80:81], v[40:41], v[24:25], -v[84:85]
	v_fma_f64 v[24:25], v[42:43], v[24:25], v[88:89]
	v_add_f64 v[62:63], v[64:65], v[76:77]
	v_add_f64 v[54:55], v[54:55], v[66:67]
	;; [unrolled: 1-line block ×4, first 2 shown]
	v_fma_f64 v[40:41], v[40:41], v[36:37], -v[52:53]
	v_fma_f64 v[36:37], v[42:43], v[36:37], v[38:39]
	v_mul_f64 v[38:39], v[10:11], v[28:29]
	v_mul_f64 v[42:43], v[8:9], v[28:29]
	;; [unrolled: 1-line block ×8, first 2 shown]
	v_add_f64 v[50:51], v[50:51], v[74:75]
	v_add_f64 v[62:63], v[78:79], v[62:63]
	;; [unrolled: 1-line block ×8, first 2 shown]
	v_fma_f64 v[22:23], v[8:9], v[26:27], -v[38:39]
	v_fma_f64 v[24:25], v[10:11], v[26:27], v[42:43]
	v_fma_f64 v[8:9], v[8:9], v[44:45], -v[48:49]
	v_fma_f64 v[10:11], v[10:11], v[44:45], v[52:53]
	;; [unrolled: 2-line block ×4, first 2 shown]
	v_add_f64 v[26:27], v[50:51], v[22:23]
	v_add_f64 v[28:29], v[24:25], v[62:63]
	;; [unrolled: 1-line block ×8, first 2 shown]
	s_cbranch_scc0 .LBB116_11
.LBB116_7:                              ; =>This Inner Loop Header: Depth=1
	v_add_nc_u32_e32 v2, s30, v33
	v_mov_b32_e32 v4, 0
	v_mov_b32_e32 v5, 0
	v_cmp_gt_i32_e64 s1, s11, v2
	v_mov_b32_e32 v2, 0
	v_mov_b32_e32 v3, 0
	s_and_b32 s6, vcc_lo, s1
	s_and_saveexec_b32 s1, s6
	s_cbranch_execz .LBB116_9
; %bb.8:                                ;   in Loop: Header=BB116_7 Depth=1
	global_load_dwordx4 v[2:5], v[14:15], off offset:-8
	s_waitcnt vmcnt(0)
	v_xor_b32_e32 v5, 0x80000000, v5
.LBB116_9:                              ;   in Loop: Header=BB116_7 Depth=1
	s_or_b32 exec_lo, exec_lo, s1
	v_add_nc_u32_e32 v6, s30, v30
	v_mov_b32_e32 v8, 0
	v_mov_b32_e32 v9, 0
	ds_write_b128 v34, v[2:5]
	v_cmp_gt_i32_e64 s1, s11, v6
	v_mov_b32_e32 v6, 0
	v_mov_b32_e32 v7, 0
	s_and_b32 s6, s1, s0
	s_and_saveexec_b32 s1, s6
	s_cbranch_execz .LBB116_6
; %bb.10:                               ;   in Loop: Header=BB116_7 Depth=1
	global_load_dwordx4 v[6:9], v[20:21], off offset:-8
	s_waitcnt vmcnt(0)
	v_xor_b32_e32 v9, 0x80000000, v9
	s_branch .LBB116_6
.LBB116_11:
	s_clause 0x1
	s_load_dword s2, s[4:5], 0x50
	s_load_dwordx2 s[4:5], s[4:5], 0x58
	v_cmp_neq_f64_e64 s6, s[12:13], 0
	v_add_nc_u32_e32 v15, s29, v1
	v_add_nc_u32_e32 v4, s28, v0
	v_cmp_gt_i32_e64 s0, s10, v15
	v_cmp_le_i32_e32 vcc_lo, v4, v15
	v_ashrrev_i32_e32 v5, 31, v4
	s_waitcnt lgkmcnt(0)
	v_mad_i64_i32 v[0:1], null, v15, s2, 0
	s_mul_i32 s1, s5, s8
	s_mul_hi_u32 s3, s4, s8
	s_mul_i32 s4, s4, s8
	s_add_i32 s5, s3, s1
	s_lshl_b64 s[4:5], s[4:5], 4
	v_lshlrev_b64 v[0:1], 4, v[0:1]
	s_add_u32 s3, s22, s4
	s_addc_u32 s4, s23, s5
	s_xor_b32 s5, s9, -1
	s_or_b32 s5, s6, s5
	v_add_co_u32 v8, s1, s3, v0
	v_add_co_ci_u32_e64 v9, null, s4, v1, s1
	v_cndmask_b32_e64 v14, 0, 1, s5
	s_and_b32 s6, s0, vcc_lo
	s_and_saveexec_b32 s1, s6
	s_cbranch_execz .LBB116_15
; %bb.12:
	v_mul_f64 v[0:1], s[18:19], v[28:29]
	v_mul_f64 v[2:3], s[16:17], v[28:29]
	v_lshlrev_b64 v[6:7], 4, v[4:5]
	v_add_co_u32 v6, vcc_lo, v8, v6
	v_add_co_ci_u32_e64 v7, null, v9, v7, vcc_lo
	s_andn2_b32 vcc_lo, exec_lo, s5
	v_fma_f64 v[0:1], s[16:17], v[26:27], -v[0:1]
	v_fma_f64 v[2:3], s[18:19], v[26:27], v[2:3]
	s_cbranch_vccnz .LBB116_14
; %bb.13:
	global_load_dwordx4 v[26:29], v[6:7], off
	s_waitcnt vmcnt(0)
	v_mul_f64 v[20:21], s[14:15], v[28:29]
	v_mul_f64 v[28:29], s[12:13], v[28:29]
	v_fma_f64 v[20:21], s[12:13], v[26:27], -v[20:21]
	v_fma_f64 v[26:27], s[14:15], v[26:27], v[28:29]
	v_add_f64 v[0:1], v[0:1], v[20:21]
	v_add_f64 v[2:3], v[2:3], v[26:27]
.LBB116_14:
	global_store_dwordx4 v[6:7], v[0:3], off
.LBB116_15:
	s_or_b32 exec_lo, exec_lo, s1
	v_add_nc_u32_e32 v6, 16, v4
	v_cmp_le_i32_e32 vcc_lo, v6, v15
	v_ashrrev_i32_e32 v7, 31, v6
	s_and_b32 s0, s0, vcc_lo
	s_and_saveexec_b32 s1, s0
	s_cbranch_execz .LBB116_19
; %bb.16:
	v_mul_f64 v[0:1], s[18:19], v[24:25]
	v_mul_f64 v[2:3], s[16:17], v[24:25]
	v_lshlrev_b64 v[20:21], 4, v[6:7]
	v_cmp_ne_u32_e32 vcc_lo, 1, v14
	s_and_b32 vcc_lo, exec_lo, vcc_lo
	v_add_co_u32 v8, s0, v8, v20
	v_add_co_ci_u32_e64 v9, null, v9, v21, s0
	v_fma_f64 v[0:1], s[16:17], v[22:23], -v[0:1]
	v_fma_f64 v[2:3], s[18:19], v[22:23], v[2:3]
	s_cbranch_vccnz .LBB116_18
; %bb.17:
	global_load_dwordx4 v[20:23], v[8:9], off
	s_waitcnt vmcnt(0)
	v_mul_f64 v[24:25], s[14:15], v[22:23]
	v_mul_f64 v[22:23], s[12:13], v[22:23]
	v_fma_f64 v[24:25], s[12:13], v[20:21], -v[24:25]
	v_fma_f64 v[20:21], s[14:15], v[20:21], v[22:23]
	v_add_f64 v[0:1], v[0:1], v[24:25]
	v_add_f64 v[2:3], v[2:3], v[20:21]
.LBB116_18:
	global_store_dwordx4 v[8:9], v[0:3], off
.LBB116_19:
	s_or_b32 exec_lo, exec_lo, s1
	v_add_nc_u32_e32 v15, 16, v15
	v_mad_i64_i32 v[0:1], null, v15, s2, 0
	v_cmp_gt_i32_e64 s0, s10, v15
	v_cmp_le_i32_e32 vcc_lo, v4, v15
	v_lshlrev_b64 v[0:1], 4, v[0:1]
	v_add_co_u32 v8, s1, s3, v0
	v_add_co_ci_u32_e64 v9, null, s4, v1, s1
	s_and_b32 s1, s0, vcc_lo
	s_and_saveexec_b32 s2, s1
	s_cbranch_execz .LBB116_23
; %bb.20:
	v_mul_f64 v[0:1], s[18:19], v[18:19]
	v_mul_f64 v[2:3], s[16:17], v[18:19]
	v_lshlrev_b64 v[4:5], 4, v[4:5]
	v_cmp_ne_u32_e32 vcc_lo, 1, v14
	s_and_b32 vcc_lo, exec_lo, vcc_lo
	v_add_co_u32 v4, s1, v8, v4
	v_add_co_ci_u32_e64 v5, null, v9, v5, s1
	v_fma_f64 v[0:1], s[16:17], v[16:17], -v[0:1]
	v_fma_f64 v[2:3], s[18:19], v[16:17], v[2:3]
	s_cbranch_vccnz .LBB116_22
; %bb.21:
	global_load_dwordx4 v[16:19], v[4:5], off
	s_waitcnt vmcnt(0)
	v_mul_f64 v[20:21], s[14:15], v[18:19]
	v_mul_f64 v[18:19], s[12:13], v[18:19]
	v_fma_f64 v[20:21], s[12:13], v[16:17], -v[20:21]
	v_fma_f64 v[16:17], s[14:15], v[16:17], v[18:19]
	v_add_f64 v[0:1], v[0:1], v[20:21]
	v_add_f64 v[2:3], v[2:3], v[16:17]
.LBB116_22:
	global_store_dwordx4 v[4:5], v[0:3], off
.LBB116_23:
	s_or_b32 exec_lo, exec_lo, s2
	v_cmp_le_i32_e32 vcc_lo, v6, v15
	s_and_b32 s0, s0, vcc_lo
	s_and_saveexec_b32 s1, s0
	s_cbranch_execz .LBB116_28
; %bb.24:
	v_mul_f64 v[0:1], s[18:19], v[10:11]
	v_mul_f64 v[2:3], s[16:17], v[10:11]
	v_lshlrev_b64 v[4:5], 4, v[6:7]
	v_cmp_ne_u32_e32 vcc_lo, 1, v14
	s_and_b32 vcc_lo, exec_lo, vcc_lo
	v_add_co_u32 v4, s0, v8, v4
	v_add_co_ci_u32_e64 v5, null, v9, v5, s0
	v_fma_f64 v[0:1], s[16:17], v[12:13], -v[0:1]
	v_fma_f64 v[2:3], s[18:19], v[12:13], v[2:3]
	s_cbranch_vccnz .LBB116_26
; %bb.25:
	global_load_dwordx4 v[6:9], v[4:5], off
	s_waitcnt vmcnt(0)
	v_mul_f64 v[10:11], s[14:15], v[8:9]
	v_mul_f64 v[8:9], s[12:13], v[8:9]
	v_fma_f64 v[10:11], s[12:13], v[6:7], -v[10:11]
	v_fma_f64 v[6:7], s[14:15], v[6:7], v[8:9]
	v_add_f64 v[0:1], v[0:1], v[10:11]
	v_add_f64 v[2:3], v[2:3], v[6:7]
.LBB116_26:
	global_store_dwordx4 v[4:5], v[0:3], off
	s_endpgm
.LBB116_27:
.LBB116_28:
	s_endpgm
	.section	.rodata,"a",@progbits
	.p2align	6, 0x0
	.amdhsa_kernel _ZL29rocblas_internal_gemmt_kernelIiLi16ELi32ELi8ELc67ELc67ELc85ELb1ELb1E19rocblas_complex_numIdEPKS1_S3_PS1_EviT_T9_T10_S5_lS7_S5_lS6_T11_S5_li
		.amdhsa_group_segment_fixed_size 8192
		.amdhsa_private_segment_fixed_size 0
		.amdhsa_kernarg_size 100
		.amdhsa_user_sgpr_count 6
		.amdhsa_user_sgpr_private_segment_buffer 1
		.amdhsa_user_sgpr_dispatch_ptr 0
		.amdhsa_user_sgpr_queue_ptr 0
		.amdhsa_user_sgpr_kernarg_segment_ptr 1
		.amdhsa_user_sgpr_dispatch_id 0
		.amdhsa_user_sgpr_flat_scratch_init 0
		.amdhsa_user_sgpr_private_segment_size 0
		.amdhsa_wavefront_size32 1
		.amdhsa_uses_dynamic_stack 0
		.amdhsa_system_sgpr_private_segment_wavefront_offset 0
		.amdhsa_system_sgpr_workgroup_id_x 1
		.amdhsa_system_sgpr_workgroup_id_y 1
		.amdhsa_system_sgpr_workgroup_id_z 1
		.amdhsa_system_sgpr_workgroup_info 0
		.amdhsa_system_vgpr_workitem_id 1
		.amdhsa_next_free_vgpr 126
		.amdhsa_next_free_sgpr 31
		.amdhsa_reserve_vcc 1
		.amdhsa_reserve_flat_scratch 0
		.amdhsa_float_round_mode_32 0
		.amdhsa_float_round_mode_16_64 0
		.amdhsa_float_denorm_mode_32 3
		.amdhsa_float_denorm_mode_16_64 3
		.amdhsa_dx10_clamp 1
		.amdhsa_ieee_mode 1
		.amdhsa_fp16_overflow 0
		.amdhsa_workgroup_processor_mode 1
		.amdhsa_memory_ordered 1
		.amdhsa_forward_progress 1
		.amdhsa_shared_vgpr_count 0
		.amdhsa_exception_fp_ieee_invalid_op 0
		.amdhsa_exception_fp_denorm_src 0
		.amdhsa_exception_fp_ieee_div_zero 0
		.amdhsa_exception_fp_ieee_overflow 0
		.amdhsa_exception_fp_ieee_underflow 0
		.amdhsa_exception_fp_ieee_inexact 0
		.amdhsa_exception_int_div_zero 0
	.end_amdhsa_kernel
	.section	.text._ZL29rocblas_internal_gemmt_kernelIiLi16ELi32ELi8ELc67ELc67ELc85ELb1ELb1E19rocblas_complex_numIdEPKS1_S3_PS1_EviT_T9_T10_S5_lS7_S5_lS6_T11_S5_li,"axG",@progbits,_ZL29rocblas_internal_gemmt_kernelIiLi16ELi32ELi8ELc67ELc67ELc85ELb1ELb1E19rocblas_complex_numIdEPKS1_S3_PS1_EviT_T9_T10_S5_lS7_S5_lS6_T11_S5_li,comdat
.Lfunc_end116:
	.size	_ZL29rocblas_internal_gemmt_kernelIiLi16ELi32ELi8ELc67ELc67ELc85ELb1ELb1E19rocblas_complex_numIdEPKS1_S3_PS1_EviT_T9_T10_S5_lS7_S5_lS6_T11_S5_li, .Lfunc_end116-_ZL29rocblas_internal_gemmt_kernelIiLi16ELi32ELi8ELc67ELc67ELc85ELb1ELb1E19rocblas_complex_numIdEPKS1_S3_PS1_EviT_T9_T10_S5_lS7_S5_lS6_T11_S5_li
                                        ; -- End function
	.set _ZL29rocblas_internal_gemmt_kernelIiLi16ELi32ELi8ELc67ELc67ELc85ELb1ELb1E19rocblas_complex_numIdEPKS1_S3_PS1_EviT_T9_T10_S5_lS7_S5_lS6_T11_S5_li.num_vgpr, 126
	.set _ZL29rocblas_internal_gemmt_kernelIiLi16ELi32ELi8ELc67ELc67ELc85ELb1ELb1E19rocblas_complex_numIdEPKS1_S3_PS1_EviT_T9_T10_S5_lS7_S5_lS6_T11_S5_li.num_agpr, 0
	.set _ZL29rocblas_internal_gemmt_kernelIiLi16ELi32ELi8ELc67ELc67ELc85ELb1ELb1E19rocblas_complex_numIdEPKS1_S3_PS1_EviT_T9_T10_S5_lS7_S5_lS6_T11_S5_li.numbered_sgpr, 31
	.set _ZL29rocblas_internal_gemmt_kernelIiLi16ELi32ELi8ELc67ELc67ELc85ELb1ELb1E19rocblas_complex_numIdEPKS1_S3_PS1_EviT_T9_T10_S5_lS7_S5_lS6_T11_S5_li.num_named_barrier, 0
	.set _ZL29rocblas_internal_gemmt_kernelIiLi16ELi32ELi8ELc67ELc67ELc85ELb1ELb1E19rocblas_complex_numIdEPKS1_S3_PS1_EviT_T9_T10_S5_lS7_S5_lS6_T11_S5_li.private_seg_size, 0
	.set _ZL29rocblas_internal_gemmt_kernelIiLi16ELi32ELi8ELc67ELc67ELc85ELb1ELb1E19rocblas_complex_numIdEPKS1_S3_PS1_EviT_T9_T10_S5_lS7_S5_lS6_T11_S5_li.uses_vcc, 1
	.set _ZL29rocblas_internal_gemmt_kernelIiLi16ELi32ELi8ELc67ELc67ELc85ELb1ELb1E19rocblas_complex_numIdEPKS1_S3_PS1_EviT_T9_T10_S5_lS7_S5_lS6_T11_S5_li.uses_flat_scratch, 0
	.set _ZL29rocblas_internal_gemmt_kernelIiLi16ELi32ELi8ELc67ELc67ELc85ELb1ELb1E19rocblas_complex_numIdEPKS1_S3_PS1_EviT_T9_T10_S5_lS7_S5_lS6_T11_S5_li.has_dyn_sized_stack, 0
	.set _ZL29rocblas_internal_gemmt_kernelIiLi16ELi32ELi8ELc67ELc67ELc85ELb1ELb1E19rocblas_complex_numIdEPKS1_S3_PS1_EviT_T9_T10_S5_lS7_S5_lS6_T11_S5_li.has_recursion, 0
	.set _ZL29rocblas_internal_gemmt_kernelIiLi16ELi32ELi8ELc67ELc67ELc85ELb1ELb1E19rocblas_complex_numIdEPKS1_S3_PS1_EviT_T9_T10_S5_lS7_S5_lS6_T11_S5_li.has_indirect_call, 0
	.section	.AMDGPU.csdata,"",@progbits
; Kernel info:
; codeLenInByte = 3572
; TotalNumSgprs: 33
; NumVgprs: 126
; ScratchSize: 0
; MemoryBound: 1
; FloatMode: 240
; IeeeMode: 1
; LDSByteSize: 8192 bytes/workgroup (compile time only)
; SGPRBlocks: 0
; VGPRBlocks: 15
; NumSGPRsForWavesPerEU: 33
; NumVGPRsForWavesPerEU: 126
; Occupancy: 8
; WaveLimiterHint : 0
; COMPUTE_PGM_RSRC2:SCRATCH_EN: 0
; COMPUTE_PGM_RSRC2:USER_SGPR: 6
; COMPUTE_PGM_RSRC2:TRAP_HANDLER: 0
; COMPUTE_PGM_RSRC2:TGID_X_EN: 1
; COMPUTE_PGM_RSRC2:TGID_Y_EN: 1
; COMPUTE_PGM_RSRC2:TGID_Z_EN: 1
; COMPUTE_PGM_RSRC2:TIDIG_COMP_CNT: 1
	.section	.text._ZL29rocblas_internal_gemmt_kernelIiLi16ELi32ELi8ELc78ELc78ELc76ELb0ELb0E19rocblas_complex_numIdEPKS1_S3_PS1_EviT_T9_T10_S5_lS7_S5_lS6_T11_S5_li,"axG",@progbits,_ZL29rocblas_internal_gemmt_kernelIiLi16ELi32ELi8ELc78ELc78ELc76ELb0ELb0E19rocblas_complex_numIdEPKS1_S3_PS1_EviT_T9_T10_S5_lS7_S5_lS6_T11_S5_li,comdat
	.globl	_ZL29rocblas_internal_gemmt_kernelIiLi16ELi32ELi8ELc78ELc78ELc76ELb0ELb0E19rocblas_complex_numIdEPKS1_S3_PS1_EviT_T9_T10_S5_lS7_S5_lS6_T11_S5_li ; -- Begin function _ZL29rocblas_internal_gemmt_kernelIiLi16ELi32ELi8ELc78ELc78ELc76ELb0ELb0E19rocblas_complex_numIdEPKS1_S3_PS1_EviT_T9_T10_S5_lS7_S5_lS6_T11_S5_li
	.p2align	8
	.type	_ZL29rocblas_internal_gemmt_kernelIiLi16ELi32ELi8ELc78ELc78ELc76ELb0ELb0E19rocblas_complex_numIdEPKS1_S3_PS1_EviT_T9_T10_S5_lS7_S5_lS6_T11_S5_li,@function
_ZL29rocblas_internal_gemmt_kernelIiLi16ELi32ELi8ELc78ELc78ELc76ELb0ELb0E19rocblas_complex_numIdEPKS1_S3_PS1_EviT_T9_T10_S5_lS7_S5_lS6_T11_S5_li: ; @_ZL29rocblas_internal_gemmt_kernelIiLi16ELi32ELi8ELc78ELc78ELc76ELb0ELb0E19rocblas_complex_numIdEPKS1_S3_PS1_EviT_T9_T10_S5_lS7_S5_lS6_T11_S5_li
; %bb.0:
	s_load_dwordx4 s[20:23], s[4:5], 0x38
	s_waitcnt lgkmcnt(0)
	s_load_dwordx4 s[12:15], s[22:23], 0x0
	s_clause 0x1
	s_load_dwordx4 s[0:3], s[4:5], 0x8
	s_load_dwordx2 s[10:11], s[4:5], 0x0
	s_waitcnt lgkmcnt(0)
	s_load_dwordx4 s[16:19], s[0:1], 0x0
	v_cmp_eq_f64_e64 s22, s[12:13], 1.0
	v_cmp_eq_f64_e64 s9, s[14:15], 0
	s_and_b32 s0, s22, s9
	s_andn2_b32 vcc_lo, exec_lo, s0
	s_mov_b32 s0, -1
	s_cbranch_vccnz .LBB117_3
; %bb.1:
	s_cmp_lg_u32 s11, 0
	s_cbranch_scc0 .LBB117_31
; %bb.2:
	s_waitcnt lgkmcnt(0)
	v_cmp_neq_f64_e64 s0, s[16:17], 0
	v_cmp_neq_f64_e64 s1, s[18:19], 0
	s_or_b32 s0, s0, s1
.LBB117_3:
	s_and_b32 vcc_lo, exec_lo, s0
	s_cbranch_vccz .LBB117_32
; %bb.4:
	s_waitcnt lgkmcnt(0)
	v_cmp_eq_f64_e64 s0, s[16:17], 0
	v_cmp_eq_f64_e64 s1, s[18:19], 0
	s_load_dwordx2 s[22:23], s[4:5], 0x48
	s_lshl_b32 s28, s6, 5
	s_lshl_b32 s29, s7, 5
	v_mov_b32_e32 v22, 0
	v_mov_b32_e32 v24, 0
	;; [unrolled: 1-line block ×16, first 2 shown]
	s_mov_b32 s30, 0
	s_and_b32 s0, s0, s1
	s_cmp_lt_i32 s11, 1
	s_cselect_b32 s1, -1, 0
	s_or_b32 s0, s0, s1
	s_and_b32 vcc_lo, exec_lo, s0
	s_cbranch_vccnz .LBB117_15
; %bb.5:
	s_clause 0x2
	s_load_dword s6, s[4:5], 0x18
	s_load_dwordx4 s[24:27], s[4:5], 0x20
	s_load_dword s1, s[4:5], 0x30
	v_lshl_add_u32 v2, v1, 4, v0
	v_and_b32_e32 v26, 7, v0
	v_mov_b32_e32 v10, 0
	v_mov_b32_e32 v12, 0
	;; [unrolled: 1-line block ×3, first 2 shown]
	v_and_b32_e32 v3, 31, v2
	v_lshrrev_b32_e32 v4, 3, v2
	v_lshlrev_b32_e32 v7, 4, v26
	v_lshrrev_b32_e32 v29, 5, v2
	v_mov_b32_e32 v18, 0
	v_or_b32_e32 v5, s28, v3
	v_add_nc_u32_e32 v6, s29, v4
	v_lshlrev_b32_e32 v8, 4, v3
	v_lshl_or_b32 v9, v4, 7, v7
	v_add_nc_u32_e32 v2, s28, v3
	v_cmp_gt_i32_e32 vcc_lo, s10, v5
	v_cmp_gt_i32_e64 s0, s10, v6
	v_lshl_or_b32 v30, v29, 9, v8
	s_waitcnt lgkmcnt(0)
	v_mad_i64_i32 v[3:4], null, v29, s6, 0
	s_mul_i32 s25, s25, s8
	s_mul_hi_u32 s31, s24, s8
	v_mad_i64_i32 v[5:6], null, s1, v6, 0
	s_mul_i32 s24, s24, s8
	s_add_i32 s25, s31, s25
	v_lshlrev_b64 v[3:4], 4, v[3:4]
	s_lshl_b64 s[24:25], s[24:25], 4
	v_add_nc_u32_e32 v31, 0x1000, v9
	v_mov_b32_e32 v16, 0
	v_mov_b32_e32 v14, 0
	;; [unrolled: 1-line block ×3, first 2 shown]
	v_add_co_u32 v8, s1, v3, s24
	v_ashrrev_i32_e32 v3, 31, v2
	v_add_co_ci_u32_e64 v9, null, s25, v4, s1
	s_mul_i32 s1, s21, s8
	s_mul_hi_u32 s21, s20, s8
	v_lshlrev_b64 v[4:5], 4, v[5:6]
	s_add_i32 s21, s21, s1
	s_mul_i32 s20, s20, s8
	v_lshlrev_b64 v[2:3], 4, v[2:3]
	s_lshl_b64 s[20:21], s[20:21], 4
	v_mov_b32_e32 v22, 0
	v_add_co_u32 v4, s1, v4, s20
	v_add_co_ci_u32_e64 v5, null, s21, v5, s1
	v_add_co_u32 v2, s1, v8, v2
	v_add_co_ci_u32_e64 v3, null, v9, v3, s1
	;; [unrolled: 2-line block ×4, first 2 shown]
	v_add_co_u32 v8, s1, s26, v4
	v_lshlrev_b32_e32 v27, 4, v0
	v_lshl_add_u32 v28, v1, 7, 0x1000
	v_add_co_ci_u32_e64 v9, null, s27, v5, s1
	v_mov_b32_e32 v11, 0
	v_mov_b32_e32 v13, 0
	;; [unrolled: 1-line block ×9, first 2 shown]
	s_ashr_i32 s7, s6, 31
	s_xor_b32 s1, vcc_lo, -1
	s_lshl_b64 s[2:3], s[6:7], 7
	s_xor_b32 s0, s0, -1
	s_branch .LBB117_7
.LBB117_6:                              ;   in Loop: Header=BB117_7 Depth=1
	s_or_b32 exec_lo, exec_lo, s6
	s_waitcnt lgkmcnt(0)
	s_barrier
	buffer_gl0_inv
	ds_read_b128 v[32:35], v28
	ds_read_b128 v[36:39], v28 offset:16
	ds_read_b128 v[40:43], v28 offset:32
	;; [unrolled: 1-line block ×3, first 2 shown]
	ds_read_b128 v[48:51], v27
	v_add_co_u32 v6, vcc_lo, v6, s2
	v_add_co_ci_u32_e64 v7, null, s3, v7, vcc_lo
	v_add_co_u32 v8, vcc_lo, 0x80, v8
	v_add_co_ci_u32_e64 v9, null, 0, v9, vcc_lo
	s_add_i32 s30, s30, 8
	s_cmp_lt_i32 s30, s11
	s_waitcnt lgkmcnt(0)
	v_mul_f64 v[3:4], v[34:35], v[50:51]
	v_mul_f64 v[52:53], v[32:33], v[50:51]
	v_fma_f64 v[3:4], v[32:33], v[48:49], -v[3:4]
	v_fma_f64 v[52:53], v[34:35], v[48:49], v[52:53]
	v_add_f64 v[3:4], v[22:23], v[3:4]
	v_add_f64 v[52:53], v[52:53], v[24:25]
	ds_read_b128 v[22:25], v27 offset:256
	s_waitcnt lgkmcnt(0)
	v_mul_f64 v[54:55], v[34:35], v[24:25]
	v_fma_f64 v[54:55], v[32:33], v[22:23], -v[54:55]
	v_mul_f64 v[32:33], v[32:33], v[24:25]
	v_fma_f64 v[32:33], v[34:35], v[22:23], v[32:33]
	v_add_f64 v[34:35], v[14:15], v[54:55]
	v_add_f64 v[32:33], v[32:33], v[16:17]
	ds_read_b128 v[14:17], v28 offset:2048
	s_waitcnt lgkmcnt(0)
	v_mul_f64 v[54:55], v[16:17], v[50:51]
	v_mul_f64 v[50:51], v[14:15], v[50:51]
	v_fma_f64 v[54:55], v[14:15], v[48:49], -v[54:55]
	v_fma_f64 v[48:49], v[16:17], v[48:49], v[50:51]
	v_add_f64 v[50:51], v[18:19], v[54:55]
	v_mul_f64 v[18:19], v[16:17], v[24:25]
	v_add_f64 v[48:49], v[48:49], v[20:21]
	v_fma_f64 v[18:19], v[14:15], v[22:23], -v[18:19]
	v_mul_f64 v[14:15], v[14:15], v[24:25]
	v_fma_f64 v[14:15], v[16:17], v[22:23], v[14:15]
	v_add_f64 v[22:23], v[12:13], v[18:19]
	v_add_f64 v[24:25], v[14:15], v[10:11]
	ds_read_b128 v[10:13], v27 offset:512
	s_waitcnt lgkmcnt(0)
	v_mul_f64 v[14:15], v[38:39], v[12:13]
	v_mul_f64 v[16:17], v[36:37], v[12:13]
	v_fma_f64 v[14:15], v[36:37], v[10:11], -v[14:15]
	v_fma_f64 v[16:17], v[38:39], v[10:11], v[16:17]
	v_add_f64 v[3:4], v[3:4], v[14:15]
	v_add_f64 v[52:53], v[16:17], v[52:53]
	ds_read_b128 v[14:17], v27 offset:768
	s_waitcnt lgkmcnt(0)
	v_mul_f64 v[18:19], v[38:39], v[16:17]
	v_mul_f64 v[20:21], v[36:37], v[16:17]
	v_fma_f64 v[18:19], v[36:37], v[14:15], -v[18:19]
	;; [unrolled: 8-line block ×3, first 2 shown]
	v_fma_f64 v[10:11], v[20:21], v[10:11], v[12:13]
	v_mul_f64 v[12:13], v[18:19], v[16:17]
	v_add_f64 v[36:37], v[50:51], v[36:37]
	v_add_f64 v[38:39], v[10:11], v[48:49]
	v_mul_f64 v[10:11], v[20:21], v[16:17]
	v_fma_f64 v[12:13], v[20:21], v[14:15], v[12:13]
	v_fma_f64 v[10:11], v[18:19], v[14:15], -v[10:11]
	v_add_f64 v[24:25], v[12:13], v[24:25]
	v_add_f64 v[22:23], v[22:23], v[10:11]
	ds_read_b128 v[10:13], v27 offset:1024
	s_waitcnt lgkmcnt(0)
	v_mul_f64 v[14:15], v[42:43], v[12:13]
	v_mul_f64 v[16:17], v[40:41], v[12:13]
	v_fma_f64 v[14:15], v[40:41], v[10:11], -v[14:15]
	v_fma_f64 v[16:17], v[42:43], v[10:11], v[16:17]
	v_add_f64 v[3:4], v[3:4], v[14:15]
	v_add_f64 v[48:49], v[16:17], v[52:53]
	ds_read_b128 v[14:17], v27 offset:1280
	s_waitcnt lgkmcnt(0)
	v_mul_f64 v[18:19], v[42:43], v[16:17]
	v_mul_f64 v[20:21], v[40:41], v[16:17]
	v_fma_f64 v[18:19], v[40:41], v[14:15], -v[18:19]
	v_fma_f64 v[20:21], v[42:43], v[14:15], v[20:21]
	;; [unrolled: 8-line block ×3, first 2 shown]
	v_mul_f64 v[12:13], v[18:19], v[16:17]
	v_add_f64 v[36:37], v[36:37], v[40:41]
	v_add_f64 v[38:39], v[10:11], v[38:39]
	v_mul_f64 v[10:11], v[20:21], v[16:17]
	v_fma_f64 v[12:13], v[20:21], v[14:15], v[12:13]
	v_fma_f64 v[10:11], v[18:19], v[14:15], -v[10:11]
	v_add_f64 v[24:25], v[12:13], v[24:25]
	v_add_f64 v[22:23], v[22:23], v[10:11]
	ds_read_b128 v[10:13], v27 offset:1536
	s_waitcnt lgkmcnt(0)
	v_mul_f64 v[14:15], v[46:47], v[12:13]
	v_mul_f64 v[16:17], v[44:45], v[12:13]
	v_fma_f64 v[14:15], v[44:45], v[10:11], -v[14:15]
	v_fma_f64 v[16:17], v[46:47], v[10:11], v[16:17]
	v_add_f64 v[3:4], v[3:4], v[14:15]
	v_add_f64 v[40:41], v[16:17], v[48:49]
	ds_read_b128 v[14:17], v27 offset:1792
	s_waitcnt lgkmcnt(0)
	v_mul_f64 v[18:19], v[46:47], v[16:17]
	v_mul_f64 v[20:21], v[44:45], v[16:17]
	v_fma_f64 v[18:19], v[44:45], v[14:15], -v[18:19]
	v_fma_f64 v[20:21], v[46:47], v[14:15], v[20:21]
	;; [unrolled: 8-line block ×3, first 2 shown]
	v_mul_f64 v[12:13], v[18:19], v[16:17]
	v_add_f64 v[36:37], v[36:37], v[42:43]
	v_add_f64 v[38:39], v[10:11], v[38:39]
	v_mul_f64 v[10:11], v[20:21], v[16:17]
	v_fma_f64 v[12:13], v[20:21], v[14:15], v[12:13]
	v_fma_f64 v[10:11], v[18:19], v[14:15], -v[10:11]
	v_add_f64 v[24:25], v[12:13], v[24:25]
	v_add_f64 v[22:23], v[22:23], v[10:11]
	ds_read_b128 v[10:13], v28 offset:64
	ds_read_b128 v[14:17], v27 offset:2048
	s_waitcnt lgkmcnt(0)
	v_mul_f64 v[18:19], v[12:13], v[16:17]
	v_mul_f64 v[20:21], v[10:11], v[16:17]
	v_fma_f64 v[18:19], v[10:11], v[14:15], -v[18:19]
	v_fma_f64 v[20:21], v[12:13], v[14:15], v[20:21]
	v_add_f64 v[3:4], v[3:4], v[18:19]
	v_add_f64 v[40:41], v[20:21], v[40:41]
	ds_read_b128 v[18:21], v27 offset:2304
	s_waitcnt lgkmcnt(0)
	v_mul_f64 v[42:43], v[12:13], v[20:21]
	v_fma_f64 v[42:43], v[10:11], v[18:19], -v[42:43]
	v_mul_f64 v[10:11], v[10:11], v[20:21]
	v_add_f64 v[34:35], v[34:35], v[42:43]
	v_fma_f64 v[10:11], v[12:13], v[18:19], v[10:11]
	v_add_f64 v[32:33], v[10:11], v[32:33]
	ds_read_b128 v[10:13], v28 offset:2112
	s_waitcnt lgkmcnt(0)
	v_mul_f64 v[42:43], v[12:13], v[16:17]
	v_mul_f64 v[16:17], v[10:11], v[16:17]
	v_fma_f64 v[42:43], v[10:11], v[14:15], -v[42:43]
	v_fma_f64 v[14:15], v[12:13], v[14:15], v[16:17]
	v_add_f64 v[36:37], v[36:37], v[42:43]
	v_add_f64 v[38:39], v[14:15], v[38:39]
	v_mul_f64 v[14:15], v[12:13], v[20:21]
	v_fma_f64 v[14:15], v[10:11], v[18:19], -v[14:15]
	v_mul_f64 v[10:11], v[10:11], v[20:21]
	v_add_f64 v[22:23], v[22:23], v[14:15]
	v_fma_f64 v[10:11], v[12:13], v[18:19], v[10:11]
	v_add_f64 v[24:25], v[10:11], v[24:25]
	ds_read_b128 v[10:13], v28 offset:80
	ds_read_b128 v[14:17], v27 offset:2560
	s_waitcnt lgkmcnt(0)
	v_mul_f64 v[18:19], v[12:13], v[16:17]
	v_mul_f64 v[20:21], v[10:11], v[16:17]
	v_fma_f64 v[18:19], v[10:11], v[14:15], -v[18:19]
	v_fma_f64 v[20:21], v[12:13], v[14:15], v[20:21]
	v_add_f64 v[3:4], v[3:4], v[18:19]
	v_add_f64 v[40:41], v[20:21], v[40:41]
	ds_read_b128 v[18:21], v27 offset:2816
	s_waitcnt lgkmcnt(0)
	v_mul_f64 v[42:43], v[12:13], v[20:21]
	v_fma_f64 v[42:43], v[10:11], v[18:19], -v[42:43]
	v_mul_f64 v[10:11], v[10:11], v[20:21]
	v_add_f64 v[34:35], v[34:35], v[42:43]
	v_fma_f64 v[10:11], v[12:13], v[18:19], v[10:11]
	v_add_f64 v[32:33], v[10:11], v[32:33]
	ds_read_b128 v[10:13], v28 offset:2128
	s_waitcnt lgkmcnt(0)
	v_mul_f64 v[42:43], v[12:13], v[16:17]
	v_mul_f64 v[16:17], v[10:11], v[16:17]
	v_fma_f64 v[42:43], v[10:11], v[14:15], -v[42:43]
	v_fma_f64 v[14:15], v[12:13], v[14:15], v[16:17]
	v_add_f64 v[36:37], v[36:37], v[42:43]
	v_add_f64 v[38:39], v[14:15], v[38:39]
	v_mul_f64 v[14:15], v[12:13], v[20:21]
	v_fma_f64 v[14:15], v[10:11], v[18:19], -v[14:15]
	v_mul_f64 v[10:11], v[10:11], v[20:21]
	v_add_f64 v[22:23], v[22:23], v[14:15]
	v_fma_f64 v[10:11], v[12:13], v[18:19], v[10:11]
	;; [unrolled: 31-line block ×3, first 2 shown]
	v_add_f64 v[48:49], v[10:11], v[24:25]
	ds_read_b128 v[10:13], v28 offset:112
	ds_read_b128 v[18:21], v27 offset:3584
	;; [unrolled: 1-line block ×3, first 2 shown]
	s_waitcnt lgkmcnt(1)
	v_mul_f64 v[14:15], v[12:13], v[20:21]
	v_mul_f64 v[16:17], v[10:11], v[20:21]
	v_fma_f64 v[14:15], v[10:11], v[18:19], -v[14:15]
	v_fma_f64 v[16:17], v[12:13], v[18:19], v[16:17]
	v_add_f64 v[22:23], v[3:4], v[14:15]
	s_waitcnt lgkmcnt(0)
	v_mul_f64 v[3:4], v[12:13], v[34:35]
	v_add_f64 v[24:25], v[16:17], v[40:41]
	v_fma_f64 v[3:4], v[10:11], v[32:33], -v[3:4]
	v_mul_f64 v[10:11], v[10:11], v[34:35]
	v_add_f64 v[14:15], v[42:43], v[3:4]
	v_fma_f64 v[10:11], v[12:13], v[32:33], v[10:11]
	v_add_f64 v[16:17], v[10:11], v[44:45]
	ds_read_b128 v[10:13], v28 offset:2160
	s_waitcnt lgkmcnt(0)
	s_barrier
	buffer_gl0_inv
	v_mul_f64 v[3:4], v[12:13], v[20:21]
	v_mul_f64 v[20:21], v[10:11], v[20:21]
	v_fma_f64 v[3:4], v[10:11], v[18:19], -v[3:4]
	v_fma_f64 v[20:21], v[12:13], v[18:19], v[20:21]
	v_add_f64 v[18:19], v[36:37], v[3:4]
	v_mul_f64 v[3:4], v[12:13], v[34:35]
	v_add_f64 v[20:21], v[20:21], v[38:39]
	v_fma_f64 v[3:4], v[10:11], v[32:33], -v[3:4]
	v_mul_f64 v[10:11], v[10:11], v[34:35]
	v_fma_f64 v[10:11], v[12:13], v[32:33], v[10:11]
	v_add_f64 v[12:13], v[46:47], v[3:4]
	v_add_f64 v[10:11], v[10:11], v[48:49]
	s_cbranch_scc0 .LBB117_15
.LBB117_7:                              ; =>This Inner Loop Header: Depth=1
	v_add_nc_u32_e32 v3, s30, v29
	v_cmp_le_i32_e32 vcc_lo, s11, v3
	s_or_b32 s6, s1, vcc_lo
	s_and_saveexec_b32 s7, s6
	s_xor_b32 s6, exec_lo, s7
	s_cbranch_execz .LBB117_9
; %bb.8:                                ;   in Loop: Header=BB117_7 Depth=1
	v_mov_b32_e32 v3, v2
	v_mov_b32_e32 v4, v2
	;; [unrolled: 1-line block ×3, first 2 shown]
	ds_write_b128 v30, v[2:5]
.LBB117_9:                              ;   in Loop: Header=BB117_7 Depth=1
	s_andn2_saveexec_b32 s6, s6
	s_cbranch_execz .LBB117_11
; %bb.10:                               ;   in Loop: Header=BB117_7 Depth=1
	global_load_dwordx4 v[32:35], v[6:7], off
	s_waitcnt vmcnt(0)
	ds_write2_b64 v30, v[32:33], v[34:35] offset1:1
.LBB117_11:                             ;   in Loop: Header=BB117_7 Depth=1
	s_or_b32 exec_lo, exec_lo, s6
	v_add_nc_u32_e32 v3, s30, v26
	v_cmp_le_i32_e32 vcc_lo, s11, v3
	s_or_b32 s6, vcc_lo, s0
	s_and_saveexec_b32 s7, s6
	s_xor_b32 s6, exec_lo, s7
	s_cbranch_execz .LBB117_13
; %bb.12:                               ;   in Loop: Header=BB117_7 Depth=1
	v_mov_b32_e32 v3, v2
	v_mov_b32_e32 v4, v2
	;; [unrolled: 1-line block ×3, first 2 shown]
	ds_write_b128 v31, v[2:5]
.LBB117_13:                             ;   in Loop: Header=BB117_7 Depth=1
	s_andn2_saveexec_b32 s6, s6
	s_cbranch_execz .LBB117_6
; %bb.14:                               ;   in Loop: Header=BB117_7 Depth=1
	global_load_dwordx4 v[32:35], v[8:9], off
	s_waitcnt vmcnt(0)
	ds_write2_b64 v31, v[32:33], v[34:35] offset1:1
	s_branch .LBB117_6
.LBB117_15:
	s_clause 0x1
	s_load_dword s3, s[4:5], 0x50
	s_load_dwordx2 s[0:1], s[4:5], 0x58
	v_cmp_neq_f64_e64 s2, s[12:13], 0
	v_add_nc_u32_e32 v27, s29, v1
	v_add_nc_u32_e32 v4, s28, v0
	v_cmp_le_i32_e32 vcc_lo, v27, v4
	v_ashrrev_i32_e32 v5, 31, v4
	s_waitcnt lgkmcnt(0)
	v_mad_i64_i32 v[0:1], null, v27, s3, 0
	s_mul_i32 s1, s1, s8
	s_mul_hi_u32 s5, s0, s8
	s_mul_i32 s4, s0, s8
	s_add_i32 s5, s5, s1
	v_cmp_gt_i32_e64 s0, s10, v4
	s_lshl_b64 s[4:5], s[4:5], 4
	v_lshlrev_b64 v[0:1], 4, v[0:1]
	s_add_u32 s4, s22, s4
	s_addc_u32 s5, s23, s5
	s_xor_b32 s6, s9, -1
	s_or_b32 s2, s2, s6
	v_add_co_u32 v8, s1, s4, v0
	v_add_co_ci_u32_e64 v9, null, s5, v1, s1
	v_cndmask_b32_e64 v26, 0, 1, s2
	s_and_b32 s6, vcc_lo, s0
	s_and_saveexec_b32 s1, s6
	s_cbranch_execz .LBB117_19
; %bb.16:
	v_mul_f64 v[0:1], s[18:19], v[24:25]
	v_mul_f64 v[2:3], s[16:17], v[24:25]
	v_lshlrev_b64 v[6:7], 4, v[4:5]
	v_add_co_u32 v6, vcc_lo, v8, v6
	v_add_co_ci_u32_e64 v7, null, v9, v7, vcc_lo
	s_andn2_b32 vcc_lo, exec_lo, s2
	v_fma_f64 v[0:1], s[16:17], v[22:23], -v[0:1]
	v_fma_f64 v[2:3], s[18:19], v[22:23], v[2:3]
	s_cbranch_vccnz .LBB117_18
; %bb.17:
	global_load_dwordx4 v[22:25], v[6:7], off
	s_waitcnt vmcnt(0)
	v_mul_f64 v[28:29], s[14:15], v[24:25]
	v_mul_f64 v[24:25], s[12:13], v[24:25]
	v_fma_f64 v[28:29], s[12:13], v[22:23], -v[28:29]
	v_fma_f64 v[22:23], s[14:15], v[22:23], v[24:25]
	v_add_f64 v[0:1], v[0:1], v[28:29]
	v_add_f64 v[2:3], v[2:3], v[22:23]
.LBB117_18:
	global_store_dwordx4 v[6:7], v[0:3], off
.LBB117_19:
	s_or_b32 exec_lo, exec_lo, s1
	v_add_nc_u32_e32 v6, 16, v4
	v_cmp_le_i32_e32 vcc_lo, v27, v6
	v_cmp_gt_i32_e64 s1, s10, v6
	v_ashrrev_i32_e32 v7, 31, v6
	s_and_b32 s2, vcc_lo, s1
	s_and_saveexec_b32 s6, s2
	s_cbranch_execz .LBB117_23
; %bb.20:
	v_mul_f64 v[0:1], s[18:19], v[16:17]
	v_mul_f64 v[2:3], s[16:17], v[16:17]
	v_cmp_ne_u32_e32 vcc_lo, 1, v26
	s_and_b32 vcc_lo, exec_lo, vcc_lo
	v_fma_f64 v[0:1], s[16:17], v[14:15], -v[0:1]
	v_fma_f64 v[2:3], s[18:19], v[14:15], v[2:3]
	v_lshlrev_b64 v[14:15], 4, v[6:7]
	v_add_co_u32 v8, s2, v8, v14
	v_add_co_ci_u32_e64 v9, null, v9, v15, s2
	s_cbranch_vccnz .LBB117_22
; %bb.21:
	global_load_dwordx4 v[14:17], v[8:9], off
	s_waitcnt vmcnt(0)
	v_mul_f64 v[22:23], s[14:15], v[16:17]
	v_mul_f64 v[16:17], s[12:13], v[16:17]
	v_fma_f64 v[22:23], s[12:13], v[14:15], -v[22:23]
	v_fma_f64 v[14:15], s[14:15], v[14:15], v[16:17]
	v_add_f64 v[0:1], v[0:1], v[22:23]
	v_add_f64 v[2:3], v[2:3], v[14:15]
.LBB117_22:
	global_store_dwordx4 v[8:9], v[0:3], off
.LBB117_23:
	s_or_b32 exec_lo, exec_lo, s6
	v_add_nc_u32_e32 v14, 16, v27
	v_mad_i64_i32 v[0:1], null, v14, s3, 0
	v_cmp_le_i32_e32 vcc_lo, v14, v4
	s_and_b32 s0, vcc_lo, s0
	v_lshlrev_b64 v[0:1], 4, v[0:1]
	v_add_co_u32 v8, s2, s4, v0
	v_add_co_ci_u32_e64 v9, null, s5, v1, s2
	s_and_saveexec_b32 s2, s0
	s_cbranch_execz .LBB117_27
; %bb.24:
	v_mul_f64 v[0:1], s[18:19], v[20:21]
	v_mul_f64 v[2:3], s[16:17], v[20:21]
	v_lshlrev_b64 v[4:5], 4, v[4:5]
	v_cmp_ne_u32_e32 vcc_lo, 1, v26
	s_and_b32 vcc_lo, exec_lo, vcc_lo
	v_add_co_u32 v4, s0, v8, v4
	v_add_co_ci_u32_e64 v5, null, v9, v5, s0
	v_fma_f64 v[0:1], s[16:17], v[18:19], -v[0:1]
	v_fma_f64 v[2:3], s[18:19], v[18:19], v[2:3]
	s_cbranch_vccnz .LBB117_26
; %bb.25:
	global_load_dwordx4 v[15:18], v[4:5], off
	s_waitcnt vmcnt(0)
	v_mul_f64 v[19:20], s[14:15], v[17:18]
	v_mul_f64 v[17:18], s[12:13], v[17:18]
	v_fma_f64 v[19:20], s[12:13], v[15:16], -v[19:20]
	v_fma_f64 v[15:16], s[14:15], v[15:16], v[17:18]
	v_add_f64 v[0:1], v[0:1], v[19:20]
	v_add_f64 v[2:3], v[2:3], v[15:16]
.LBB117_26:
	global_store_dwordx4 v[4:5], v[0:3], off
.LBB117_27:
	s_or_b32 exec_lo, exec_lo, s2
	v_cmp_le_i32_e32 vcc_lo, v14, v6
	s_and_b32 s0, vcc_lo, s1
	s_and_saveexec_b32 s1, s0
	s_cbranch_execz .LBB117_32
; %bb.28:
	v_mul_f64 v[0:1], s[18:19], v[10:11]
	v_mul_f64 v[2:3], s[16:17], v[10:11]
	v_lshlrev_b64 v[4:5], 4, v[6:7]
	v_cmp_ne_u32_e32 vcc_lo, 1, v26
	s_and_b32 vcc_lo, exec_lo, vcc_lo
	v_add_co_u32 v4, s0, v8, v4
	v_add_co_ci_u32_e64 v5, null, v9, v5, s0
	v_fma_f64 v[0:1], s[16:17], v[12:13], -v[0:1]
	v_fma_f64 v[2:3], s[18:19], v[12:13], v[2:3]
	s_cbranch_vccnz .LBB117_30
; %bb.29:
	global_load_dwordx4 v[6:9], v[4:5], off
	s_waitcnt vmcnt(0)
	v_mul_f64 v[10:11], s[14:15], v[8:9]
	v_mul_f64 v[8:9], s[12:13], v[8:9]
	v_fma_f64 v[10:11], s[12:13], v[6:7], -v[10:11]
	v_fma_f64 v[6:7], s[14:15], v[6:7], v[8:9]
	v_add_f64 v[0:1], v[0:1], v[10:11]
	v_add_f64 v[2:3], v[2:3], v[6:7]
.LBB117_30:
	global_store_dwordx4 v[4:5], v[0:3], off
	s_endpgm
.LBB117_31:
.LBB117_32:
	s_endpgm
	.section	.rodata,"a",@progbits
	.p2align	6, 0x0
	.amdhsa_kernel _ZL29rocblas_internal_gemmt_kernelIiLi16ELi32ELi8ELc78ELc78ELc76ELb0ELb0E19rocblas_complex_numIdEPKS1_S3_PS1_EviT_T9_T10_S5_lS7_S5_lS6_T11_S5_li
		.amdhsa_group_segment_fixed_size 8192
		.amdhsa_private_segment_fixed_size 0
		.amdhsa_kernarg_size 100
		.amdhsa_user_sgpr_count 6
		.amdhsa_user_sgpr_private_segment_buffer 1
		.amdhsa_user_sgpr_dispatch_ptr 0
		.amdhsa_user_sgpr_queue_ptr 0
		.amdhsa_user_sgpr_kernarg_segment_ptr 1
		.amdhsa_user_sgpr_dispatch_id 0
		.amdhsa_user_sgpr_flat_scratch_init 0
		.amdhsa_user_sgpr_private_segment_size 0
		.amdhsa_wavefront_size32 1
		.amdhsa_uses_dynamic_stack 0
		.amdhsa_system_sgpr_private_segment_wavefront_offset 0
		.amdhsa_system_sgpr_workgroup_id_x 1
		.amdhsa_system_sgpr_workgroup_id_y 1
		.amdhsa_system_sgpr_workgroup_id_z 1
		.amdhsa_system_sgpr_workgroup_info 0
		.amdhsa_system_vgpr_workitem_id 1
		.amdhsa_next_free_vgpr 56
		.amdhsa_next_free_sgpr 32
		.amdhsa_reserve_vcc 1
		.amdhsa_reserve_flat_scratch 0
		.amdhsa_float_round_mode_32 0
		.amdhsa_float_round_mode_16_64 0
		.amdhsa_float_denorm_mode_32 3
		.amdhsa_float_denorm_mode_16_64 3
		.amdhsa_dx10_clamp 1
		.amdhsa_ieee_mode 1
		.amdhsa_fp16_overflow 0
		.amdhsa_workgroup_processor_mode 1
		.amdhsa_memory_ordered 1
		.amdhsa_forward_progress 1
		.amdhsa_shared_vgpr_count 0
		.amdhsa_exception_fp_ieee_invalid_op 0
		.amdhsa_exception_fp_denorm_src 0
		.amdhsa_exception_fp_ieee_div_zero 0
		.amdhsa_exception_fp_ieee_overflow 0
		.amdhsa_exception_fp_ieee_underflow 0
		.amdhsa_exception_fp_ieee_inexact 0
		.amdhsa_exception_int_div_zero 0
	.end_amdhsa_kernel
	.section	.text._ZL29rocblas_internal_gemmt_kernelIiLi16ELi32ELi8ELc78ELc78ELc76ELb0ELb0E19rocblas_complex_numIdEPKS1_S3_PS1_EviT_T9_T10_S5_lS7_S5_lS6_T11_S5_li,"axG",@progbits,_ZL29rocblas_internal_gemmt_kernelIiLi16ELi32ELi8ELc78ELc78ELc76ELb0ELb0E19rocblas_complex_numIdEPKS1_S3_PS1_EviT_T9_T10_S5_lS7_S5_lS6_T11_S5_li,comdat
.Lfunc_end117:
	.size	_ZL29rocblas_internal_gemmt_kernelIiLi16ELi32ELi8ELc78ELc78ELc76ELb0ELb0E19rocblas_complex_numIdEPKS1_S3_PS1_EviT_T9_T10_S5_lS7_S5_lS6_T11_S5_li, .Lfunc_end117-_ZL29rocblas_internal_gemmt_kernelIiLi16ELi32ELi8ELc78ELc78ELc76ELb0ELb0E19rocblas_complex_numIdEPKS1_S3_PS1_EviT_T9_T10_S5_lS7_S5_lS6_T11_S5_li
                                        ; -- End function
	.set _ZL29rocblas_internal_gemmt_kernelIiLi16ELi32ELi8ELc78ELc78ELc76ELb0ELb0E19rocblas_complex_numIdEPKS1_S3_PS1_EviT_T9_T10_S5_lS7_S5_lS6_T11_S5_li.num_vgpr, 56
	.set _ZL29rocblas_internal_gemmt_kernelIiLi16ELi32ELi8ELc78ELc78ELc76ELb0ELb0E19rocblas_complex_numIdEPKS1_S3_PS1_EviT_T9_T10_S5_lS7_S5_lS6_T11_S5_li.num_agpr, 0
	.set _ZL29rocblas_internal_gemmt_kernelIiLi16ELi32ELi8ELc78ELc78ELc76ELb0ELb0E19rocblas_complex_numIdEPKS1_S3_PS1_EviT_T9_T10_S5_lS7_S5_lS6_T11_S5_li.numbered_sgpr, 32
	.set _ZL29rocblas_internal_gemmt_kernelIiLi16ELi32ELi8ELc78ELc78ELc76ELb0ELb0E19rocblas_complex_numIdEPKS1_S3_PS1_EviT_T9_T10_S5_lS7_S5_lS6_T11_S5_li.num_named_barrier, 0
	.set _ZL29rocblas_internal_gemmt_kernelIiLi16ELi32ELi8ELc78ELc78ELc76ELb0ELb0E19rocblas_complex_numIdEPKS1_S3_PS1_EviT_T9_T10_S5_lS7_S5_lS6_T11_S5_li.private_seg_size, 0
	.set _ZL29rocblas_internal_gemmt_kernelIiLi16ELi32ELi8ELc78ELc78ELc76ELb0ELb0E19rocblas_complex_numIdEPKS1_S3_PS1_EviT_T9_T10_S5_lS7_S5_lS6_T11_S5_li.uses_vcc, 1
	.set _ZL29rocblas_internal_gemmt_kernelIiLi16ELi32ELi8ELc78ELc78ELc76ELb0ELb0E19rocblas_complex_numIdEPKS1_S3_PS1_EviT_T9_T10_S5_lS7_S5_lS6_T11_S5_li.uses_flat_scratch, 0
	.set _ZL29rocblas_internal_gemmt_kernelIiLi16ELi32ELi8ELc78ELc78ELc76ELb0ELb0E19rocblas_complex_numIdEPKS1_S3_PS1_EviT_T9_T10_S5_lS7_S5_lS6_T11_S5_li.has_dyn_sized_stack, 0
	.set _ZL29rocblas_internal_gemmt_kernelIiLi16ELi32ELi8ELc78ELc78ELc76ELb0ELb0E19rocblas_complex_numIdEPKS1_S3_PS1_EviT_T9_T10_S5_lS7_S5_lS6_T11_S5_li.has_recursion, 0
	.set _ZL29rocblas_internal_gemmt_kernelIiLi16ELi32ELi8ELc78ELc78ELc76ELb0ELb0E19rocblas_complex_numIdEPKS1_S3_PS1_EviT_T9_T10_S5_lS7_S5_lS6_T11_S5_li.has_indirect_call, 0
	.section	.AMDGPU.csdata,"",@progbits
; Kernel info:
; codeLenInByte = 3572
; TotalNumSgprs: 34
; NumVgprs: 56
; ScratchSize: 0
; MemoryBound: 0
; FloatMode: 240
; IeeeMode: 1
; LDSByteSize: 8192 bytes/workgroup (compile time only)
; SGPRBlocks: 0
; VGPRBlocks: 6
; NumSGPRsForWavesPerEU: 34
; NumVGPRsForWavesPerEU: 56
; Occupancy: 16
; WaveLimiterHint : 0
; COMPUTE_PGM_RSRC2:SCRATCH_EN: 0
; COMPUTE_PGM_RSRC2:USER_SGPR: 6
; COMPUTE_PGM_RSRC2:TRAP_HANDLER: 0
; COMPUTE_PGM_RSRC2:TGID_X_EN: 1
; COMPUTE_PGM_RSRC2:TGID_Y_EN: 1
; COMPUTE_PGM_RSRC2:TGID_Z_EN: 1
; COMPUTE_PGM_RSRC2:TIDIG_COMP_CNT: 1
	.section	.text._ZL29rocblas_internal_gemmt_kernelIiLi16ELi32ELi8ELc78ELc84ELc76ELb0ELb0E19rocblas_complex_numIdEPKS1_S3_PS1_EviT_T9_T10_S5_lS7_S5_lS6_T11_S5_li,"axG",@progbits,_ZL29rocblas_internal_gemmt_kernelIiLi16ELi32ELi8ELc78ELc84ELc76ELb0ELb0E19rocblas_complex_numIdEPKS1_S3_PS1_EviT_T9_T10_S5_lS7_S5_lS6_T11_S5_li,comdat
	.globl	_ZL29rocblas_internal_gemmt_kernelIiLi16ELi32ELi8ELc78ELc84ELc76ELb0ELb0E19rocblas_complex_numIdEPKS1_S3_PS1_EviT_T9_T10_S5_lS7_S5_lS6_T11_S5_li ; -- Begin function _ZL29rocblas_internal_gemmt_kernelIiLi16ELi32ELi8ELc78ELc84ELc76ELb0ELb0E19rocblas_complex_numIdEPKS1_S3_PS1_EviT_T9_T10_S5_lS7_S5_lS6_T11_S5_li
	.p2align	8
	.type	_ZL29rocblas_internal_gemmt_kernelIiLi16ELi32ELi8ELc78ELc84ELc76ELb0ELb0E19rocblas_complex_numIdEPKS1_S3_PS1_EviT_T9_T10_S5_lS7_S5_lS6_T11_S5_li,@function
_ZL29rocblas_internal_gemmt_kernelIiLi16ELi32ELi8ELc78ELc84ELc76ELb0ELb0E19rocblas_complex_numIdEPKS1_S3_PS1_EviT_T9_T10_S5_lS7_S5_lS6_T11_S5_li: ; @_ZL29rocblas_internal_gemmt_kernelIiLi16ELi32ELi8ELc78ELc84ELc76ELb0ELb0E19rocblas_complex_numIdEPKS1_S3_PS1_EviT_T9_T10_S5_lS7_S5_lS6_T11_S5_li
; %bb.0:
	s_load_dwordx4 s[20:23], s[4:5], 0x38
	s_waitcnt lgkmcnt(0)
	s_load_dwordx4 s[12:15], s[22:23], 0x0
	s_clause 0x1
	s_load_dwordx4 s[0:3], s[4:5], 0x8
	s_load_dwordx2 s[10:11], s[4:5], 0x0
	s_waitcnt lgkmcnt(0)
	s_load_dwordx4 s[16:19], s[0:1], 0x0
	v_cmp_eq_f64_e64 s22, s[12:13], 1.0
	v_cmp_eq_f64_e64 s9, s[14:15], 0
	s_and_b32 s0, s22, s9
	s_andn2_b32 vcc_lo, exec_lo, s0
	s_mov_b32 s0, -1
	s_cbranch_vccnz .LBB118_3
; %bb.1:
	s_cmp_lg_u32 s11, 0
	s_cbranch_scc0 .LBB118_31
; %bb.2:
	s_waitcnt lgkmcnt(0)
	v_cmp_neq_f64_e64 s0, s[16:17], 0
	v_cmp_neq_f64_e64 s1, s[18:19], 0
	s_or_b32 s0, s0, s1
.LBB118_3:
	s_and_b32 vcc_lo, exec_lo, s0
	s_cbranch_vccz .LBB118_32
; %bb.4:
	s_waitcnt lgkmcnt(0)
	v_cmp_eq_f64_e64 s0, s[16:17], 0
	v_cmp_eq_f64_e64 s1, s[18:19], 0
	s_load_dwordx2 s[22:23], s[4:5], 0x48
	s_lshl_b32 s28, s6, 5
	s_lshl_b32 s29, s7, 5
	v_mov_b32_e32 v22, 0
	v_mov_b32_e32 v24, 0
	;; [unrolled: 1-line block ×16, first 2 shown]
	s_mov_b32 s30, 0
	s_and_b32 s0, s0, s1
	s_cmp_lt_i32 s11, 1
	s_cselect_b32 s1, -1, 0
	s_or_b32 s0, s0, s1
	s_and_b32 vcc_lo, exec_lo, s0
	s_cbranch_vccnz .LBB118_15
; %bb.5:
	s_clause 0x1
	s_load_dword s34, s[4:5], 0x18
	s_load_dword s6, s[4:5], 0x30
	v_lshl_add_u32 v2, v1, 4, v0
	s_load_dwordx4 s[24:27], s[4:5], 0x20
	v_and_b32_e32 v26, 7, v0
	s_mul_i32 s21, s21, s8
	s_mul_hi_u32 s31, s20, s8
	v_and_b32_e32 v6, 31, v2
	v_lshrrev_b32_e32 v3, 3, v2
	v_lshlrev_b32_e32 v4, 4, v26
	v_lshrrev_b32_e32 v27, 5, v2
	s_add_i32 s21, s31, s21
	v_or_b32_e32 v5, s28, v6
	v_add_nc_u32_e32 v2, s29, v3
	v_lshl_or_b32 v3, v3, 7, v4
	v_lshlrev_b32_e32 v7, 4, v6
	v_add_nc_u32_e32 v6, s28, v6
	v_cmp_gt_i32_e32 vcc_lo, s10, v5
	s_mul_i32 s20, s20, s8
	v_add_nc_u32_e32 v29, 0x1000, v3
	s_waitcnt lgkmcnt(0)
	v_mad_i64_i32 v[4:5], null, v27, s34, 0
	v_mad_i64_i32 v[8:9], null, s6, v26, 0
	s_mul_i32 s1, s25, s8
	s_mul_hi_u32 s25, s24, s8
	v_lshl_or_b32 v28, v27, 9, v7
	v_ashrrev_i32_e32 v7, 31, v6
	v_lshlrev_b64 v[4:5], 4, v[4:5]
	s_add_i32 s25, s25, s1
	s_mul_i32 s24, s24, s8
	v_ashrrev_i32_e32 v3, 31, v2
	s_lshl_b64 s[24:25], s[24:25], 4
	v_lshlrev_b64 v[6:7], 4, v[6:7]
	v_add_co_u32 v10, s1, v4, s24
	v_add_co_ci_u32_e64 v11, null, s25, v5, s1
	v_lshlrev_b64 v[4:5], 4, v[8:9]
	v_add_co_u32 v6, s1, v10, v6
	s_lshl_b64 s[20:21], s[20:21], 4
	v_cmp_gt_i32_e64 s0, s10, v2
	v_lshlrev_b64 v[2:3], 4, v[2:3]
	v_add_co_ci_u32_e64 v7, null, v11, v7, s1
	v_add_co_u32 v4, s1, s20, v4
	v_add_co_ci_u32_e64 v5, null, s21, v5, s1
	v_add_co_u32 v6, s1, s2, v6
	;; [unrolled: 2-line block ×3, first 2 shown]
	v_add_co_ci_u32_e64 v3, null, v5, v3, s1
	v_mov_b32_e32 v10, 0
	v_add_co_u32 v8, s1, s26, v2
	v_mov_b32_e32 v12, 0
	v_mov_b32_e32 v20, 0
	;; [unrolled: 1-line block ×7, first 2 shown]
	v_lshlrev_b32_e32 v30, 4, v0
	v_lshl_add_u32 v31, v1, 7, 0x1000
	v_add_co_ci_u32_e64 v9, null, s27, v3, s1
	v_mov_b32_e32 v11, 0
	v_mov_b32_e32 v13, 0
	;; [unrolled: 1-line block ×9, first 2 shown]
	s_ashr_i32 s35, s34, 31
	s_ashr_i32 s7, s6, 31
	s_lshl_b64 s[2:3], s[34:35], 7
	s_lshl_b64 s[6:7], s[6:7], 7
	s_xor_b32 s1, vcc_lo, -1
	s_xor_b32 s0, s0, -1
	s_branch .LBB118_7
.LBB118_6:                              ;   in Loop: Header=BB118_7 Depth=1
	s_or_b32 exec_lo, exec_lo, s20
	s_waitcnt lgkmcnt(0)
	s_barrier
	buffer_gl0_inv
	ds_read_b128 v[32:35], v31
	ds_read_b128 v[36:39], v31 offset:16
	ds_read_b128 v[40:43], v31 offset:32
	;; [unrolled: 1-line block ×3, first 2 shown]
	ds_read_b128 v[48:51], v30
	v_add_co_u32 v6, vcc_lo, v6, s2
	v_add_co_ci_u32_e64 v7, null, s3, v7, vcc_lo
	v_add_co_u32 v8, vcc_lo, v8, s6
	v_add_co_ci_u32_e64 v9, null, s7, v9, vcc_lo
	s_add_i32 s30, s30, 8
	s_cmp_lt_i32 s30, s11
	s_waitcnt lgkmcnt(0)
	v_mul_f64 v[3:4], v[34:35], v[50:51]
	v_mul_f64 v[52:53], v[32:33], v[50:51]
	v_fma_f64 v[3:4], v[32:33], v[48:49], -v[3:4]
	v_fma_f64 v[52:53], v[34:35], v[48:49], v[52:53]
	v_add_f64 v[3:4], v[22:23], v[3:4]
	v_add_f64 v[52:53], v[52:53], v[24:25]
	ds_read_b128 v[22:25], v30 offset:256
	s_waitcnt lgkmcnt(0)
	v_mul_f64 v[54:55], v[34:35], v[24:25]
	v_fma_f64 v[54:55], v[32:33], v[22:23], -v[54:55]
	v_mul_f64 v[32:33], v[32:33], v[24:25]
	v_fma_f64 v[32:33], v[34:35], v[22:23], v[32:33]
	v_add_f64 v[34:35], v[14:15], v[54:55]
	v_add_f64 v[32:33], v[32:33], v[16:17]
	ds_read_b128 v[14:17], v31 offset:2048
	s_waitcnt lgkmcnt(0)
	v_mul_f64 v[54:55], v[16:17], v[50:51]
	v_mul_f64 v[50:51], v[14:15], v[50:51]
	v_fma_f64 v[54:55], v[14:15], v[48:49], -v[54:55]
	v_fma_f64 v[48:49], v[16:17], v[48:49], v[50:51]
	v_add_f64 v[50:51], v[18:19], v[54:55]
	v_mul_f64 v[18:19], v[16:17], v[24:25]
	v_add_f64 v[48:49], v[48:49], v[20:21]
	v_fma_f64 v[18:19], v[14:15], v[22:23], -v[18:19]
	v_mul_f64 v[14:15], v[14:15], v[24:25]
	v_fma_f64 v[14:15], v[16:17], v[22:23], v[14:15]
	v_add_f64 v[22:23], v[12:13], v[18:19]
	v_add_f64 v[24:25], v[14:15], v[10:11]
	ds_read_b128 v[10:13], v30 offset:512
	s_waitcnt lgkmcnt(0)
	v_mul_f64 v[14:15], v[38:39], v[12:13]
	v_mul_f64 v[16:17], v[36:37], v[12:13]
	v_fma_f64 v[14:15], v[36:37], v[10:11], -v[14:15]
	v_fma_f64 v[16:17], v[38:39], v[10:11], v[16:17]
	v_add_f64 v[3:4], v[3:4], v[14:15]
	v_add_f64 v[52:53], v[16:17], v[52:53]
	ds_read_b128 v[14:17], v30 offset:768
	s_waitcnt lgkmcnt(0)
	v_mul_f64 v[18:19], v[38:39], v[16:17]
	v_mul_f64 v[20:21], v[36:37], v[16:17]
	v_fma_f64 v[18:19], v[36:37], v[14:15], -v[18:19]
	;; [unrolled: 8-line block ×3, first 2 shown]
	v_fma_f64 v[10:11], v[20:21], v[10:11], v[12:13]
	v_mul_f64 v[12:13], v[18:19], v[16:17]
	v_add_f64 v[36:37], v[50:51], v[36:37]
	v_add_f64 v[38:39], v[10:11], v[48:49]
	v_mul_f64 v[10:11], v[20:21], v[16:17]
	v_fma_f64 v[12:13], v[20:21], v[14:15], v[12:13]
	v_fma_f64 v[10:11], v[18:19], v[14:15], -v[10:11]
	v_add_f64 v[24:25], v[12:13], v[24:25]
	v_add_f64 v[22:23], v[22:23], v[10:11]
	ds_read_b128 v[10:13], v30 offset:1024
	s_waitcnt lgkmcnt(0)
	v_mul_f64 v[14:15], v[42:43], v[12:13]
	v_mul_f64 v[16:17], v[40:41], v[12:13]
	v_fma_f64 v[14:15], v[40:41], v[10:11], -v[14:15]
	v_fma_f64 v[16:17], v[42:43], v[10:11], v[16:17]
	v_add_f64 v[3:4], v[3:4], v[14:15]
	v_add_f64 v[48:49], v[16:17], v[52:53]
	ds_read_b128 v[14:17], v30 offset:1280
	s_waitcnt lgkmcnt(0)
	v_mul_f64 v[18:19], v[42:43], v[16:17]
	v_mul_f64 v[20:21], v[40:41], v[16:17]
	v_fma_f64 v[18:19], v[40:41], v[14:15], -v[18:19]
	v_fma_f64 v[20:21], v[42:43], v[14:15], v[20:21]
	;; [unrolled: 8-line block ×3, first 2 shown]
	v_mul_f64 v[12:13], v[18:19], v[16:17]
	v_add_f64 v[36:37], v[36:37], v[40:41]
	v_add_f64 v[38:39], v[10:11], v[38:39]
	v_mul_f64 v[10:11], v[20:21], v[16:17]
	v_fma_f64 v[12:13], v[20:21], v[14:15], v[12:13]
	v_fma_f64 v[10:11], v[18:19], v[14:15], -v[10:11]
	v_add_f64 v[24:25], v[12:13], v[24:25]
	v_add_f64 v[22:23], v[22:23], v[10:11]
	ds_read_b128 v[10:13], v30 offset:1536
	s_waitcnt lgkmcnt(0)
	v_mul_f64 v[14:15], v[46:47], v[12:13]
	v_mul_f64 v[16:17], v[44:45], v[12:13]
	v_fma_f64 v[14:15], v[44:45], v[10:11], -v[14:15]
	v_fma_f64 v[16:17], v[46:47], v[10:11], v[16:17]
	v_add_f64 v[3:4], v[3:4], v[14:15]
	v_add_f64 v[40:41], v[16:17], v[48:49]
	ds_read_b128 v[14:17], v30 offset:1792
	s_waitcnt lgkmcnt(0)
	v_mul_f64 v[18:19], v[46:47], v[16:17]
	v_mul_f64 v[20:21], v[44:45], v[16:17]
	v_fma_f64 v[18:19], v[44:45], v[14:15], -v[18:19]
	v_fma_f64 v[20:21], v[46:47], v[14:15], v[20:21]
	;; [unrolled: 8-line block ×3, first 2 shown]
	v_mul_f64 v[12:13], v[18:19], v[16:17]
	v_add_f64 v[36:37], v[36:37], v[42:43]
	v_add_f64 v[38:39], v[10:11], v[38:39]
	v_mul_f64 v[10:11], v[20:21], v[16:17]
	v_fma_f64 v[12:13], v[20:21], v[14:15], v[12:13]
	v_fma_f64 v[10:11], v[18:19], v[14:15], -v[10:11]
	v_add_f64 v[24:25], v[12:13], v[24:25]
	v_add_f64 v[22:23], v[22:23], v[10:11]
	ds_read_b128 v[10:13], v31 offset:64
	ds_read_b128 v[14:17], v30 offset:2048
	s_waitcnt lgkmcnt(0)
	v_mul_f64 v[18:19], v[12:13], v[16:17]
	v_mul_f64 v[20:21], v[10:11], v[16:17]
	v_fma_f64 v[18:19], v[10:11], v[14:15], -v[18:19]
	v_fma_f64 v[20:21], v[12:13], v[14:15], v[20:21]
	v_add_f64 v[3:4], v[3:4], v[18:19]
	v_add_f64 v[40:41], v[20:21], v[40:41]
	ds_read_b128 v[18:21], v30 offset:2304
	s_waitcnt lgkmcnt(0)
	v_mul_f64 v[42:43], v[12:13], v[20:21]
	v_fma_f64 v[42:43], v[10:11], v[18:19], -v[42:43]
	v_mul_f64 v[10:11], v[10:11], v[20:21]
	v_add_f64 v[34:35], v[34:35], v[42:43]
	v_fma_f64 v[10:11], v[12:13], v[18:19], v[10:11]
	v_add_f64 v[32:33], v[10:11], v[32:33]
	ds_read_b128 v[10:13], v31 offset:2112
	s_waitcnt lgkmcnt(0)
	v_mul_f64 v[42:43], v[12:13], v[16:17]
	v_mul_f64 v[16:17], v[10:11], v[16:17]
	v_fma_f64 v[42:43], v[10:11], v[14:15], -v[42:43]
	v_fma_f64 v[14:15], v[12:13], v[14:15], v[16:17]
	v_add_f64 v[36:37], v[36:37], v[42:43]
	v_add_f64 v[38:39], v[14:15], v[38:39]
	v_mul_f64 v[14:15], v[12:13], v[20:21]
	v_fma_f64 v[14:15], v[10:11], v[18:19], -v[14:15]
	v_mul_f64 v[10:11], v[10:11], v[20:21]
	v_add_f64 v[22:23], v[22:23], v[14:15]
	v_fma_f64 v[10:11], v[12:13], v[18:19], v[10:11]
	v_add_f64 v[24:25], v[10:11], v[24:25]
	ds_read_b128 v[10:13], v31 offset:80
	ds_read_b128 v[14:17], v30 offset:2560
	s_waitcnt lgkmcnt(0)
	v_mul_f64 v[18:19], v[12:13], v[16:17]
	v_mul_f64 v[20:21], v[10:11], v[16:17]
	v_fma_f64 v[18:19], v[10:11], v[14:15], -v[18:19]
	v_fma_f64 v[20:21], v[12:13], v[14:15], v[20:21]
	v_add_f64 v[3:4], v[3:4], v[18:19]
	v_add_f64 v[40:41], v[20:21], v[40:41]
	ds_read_b128 v[18:21], v30 offset:2816
	s_waitcnt lgkmcnt(0)
	v_mul_f64 v[42:43], v[12:13], v[20:21]
	v_fma_f64 v[42:43], v[10:11], v[18:19], -v[42:43]
	v_mul_f64 v[10:11], v[10:11], v[20:21]
	v_add_f64 v[34:35], v[34:35], v[42:43]
	v_fma_f64 v[10:11], v[12:13], v[18:19], v[10:11]
	v_add_f64 v[32:33], v[10:11], v[32:33]
	ds_read_b128 v[10:13], v31 offset:2128
	s_waitcnt lgkmcnt(0)
	v_mul_f64 v[42:43], v[12:13], v[16:17]
	v_mul_f64 v[16:17], v[10:11], v[16:17]
	v_fma_f64 v[42:43], v[10:11], v[14:15], -v[42:43]
	v_fma_f64 v[14:15], v[12:13], v[14:15], v[16:17]
	v_add_f64 v[36:37], v[36:37], v[42:43]
	v_add_f64 v[38:39], v[14:15], v[38:39]
	v_mul_f64 v[14:15], v[12:13], v[20:21]
	v_fma_f64 v[14:15], v[10:11], v[18:19], -v[14:15]
	v_mul_f64 v[10:11], v[10:11], v[20:21]
	v_add_f64 v[22:23], v[22:23], v[14:15]
	v_fma_f64 v[10:11], v[12:13], v[18:19], v[10:11]
	;; [unrolled: 31-line block ×3, first 2 shown]
	v_add_f64 v[48:49], v[10:11], v[24:25]
	ds_read_b128 v[10:13], v31 offset:112
	ds_read_b128 v[18:21], v30 offset:3584
	;; [unrolled: 1-line block ×3, first 2 shown]
	s_waitcnt lgkmcnt(1)
	v_mul_f64 v[14:15], v[12:13], v[20:21]
	v_mul_f64 v[16:17], v[10:11], v[20:21]
	v_fma_f64 v[14:15], v[10:11], v[18:19], -v[14:15]
	v_fma_f64 v[16:17], v[12:13], v[18:19], v[16:17]
	v_add_f64 v[22:23], v[3:4], v[14:15]
	s_waitcnt lgkmcnt(0)
	v_mul_f64 v[3:4], v[12:13], v[34:35]
	v_add_f64 v[24:25], v[16:17], v[40:41]
	v_fma_f64 v[3:4], v[10:11], v[32:33], -v[3:4]
	v_mul_f64 v[10:11], v[10:11], v[34:35]
	v_add_f64 v[14:15], v[42:43], v[3:4]
	v_fma_f64 v[10:11], v[12:13], v[32:33], v[10:11]
	v_add_f64 v[16:17], v[10:11], v[44:45]
	ds_read_b128 v[10:13], v31 offset:2160
	s_waitcnt lgkmcnt(0)
	s_barrier
	buffer_gl0_inv
	v_mul_f64 v[3:4], v[12:13], v[20:21]
	v_mul_f64 v[20:21], v[10:11], v[20:21]
	v_fma_f64 v[3:4], v[10:11], v[18:19], -v[3:4]
	v_fma_f64 v[20:21], v[12:13], v[18:19], v[20:21]
	v_add_f64 v[18:19], v[36:37], v[3:4]
	v_mul_f64 v[3:4], v[12:13], v[34:35]
	v_add_f64 v[20:21], v[20:21], v[38:39]
	v_fma_f64 v[3:4], v[10:11], v[32:33], -v[3:4]
	v_mul_f64 v[10:11], v[10:11], v[34:35]
	v_fma_f64 v[10:11], v[12:13], v[32:33], v[10:11]
	v_add_f64 v[12:13], v[46:47], v[3:4]
	v_add_f64 v[10:11], v[10:11], v[48:49]
	s_cbranch_scc0 .LBB118_15
.LBB118_7:                              ; =>This Inner Loop Header: Depth=1
	v_add_nc_u32_e32 v3, s30, v27
	v_cmp_le_i32_e32 vcc_lo, s11, v3
	s_or_b32 s20, s1, vcc_lo
	s_and_saveexec_b32 s21, s20
	s_xor_b32 s20, exec_lo, s21
	s_cbranch_execz .LBB118_9
; %bb.8:                                ;   in Loop: Header=BB118_7 Depth=1
	v_mov_b32_e32 v3, v2
	v_mov_b32_e32 v4, v2
	;; [unrolled: 1-line block ×3, first 2 shown]
	ds_write_b128 v28, v[2:5]
.LBB118_9:                              ;   in Loop: Header=BB118_7 Depth=1
	s_andn2_saveexec_b32 s20, s20
	s_cbranch_execz .LBB118_11
; %bb.10:                               ;   in Loop: Header=BB118_7 Depth=1
	global_load_dwordx4 v[32:35], v[6:7], off
	s_waitcnt vmcnt(0)
	ds_write2_b64 v28, v[32:33], v[34:35] offset1:1
.LBB118_11:                             ;   in Loop: Header=BB118_7 Depth=1
	s_or_b32 exec_lo, exec_lo, s20
	v_add_nc_u32_e32 v3, s30, v26
	v_cmp_le_i32_e32 vcc_lo, s11, v3
	s_or_b32 s20, vcc_lo, s0
	s_and_saveexec_b32 s21, s20
	s_xor_b32 s20, exec_lo, s21
	s_cbranch_execz .LBB118_13
; %bb.12:                               ;   in Loop: Header=BB118_7 Depth=1
	v_mov_b32_e32 v3, v2
	v_mov_b32_e32 v4, v2
	;; [unrolled: 1-line block ×3, first 2 shown]
	ds_write_b128 v29, v[2:5]
.LBB118_13:                             ;   in Loop: Header=BB118_7 Depth=1
	s_andn2_saveexec_b32 s20, s20
	s_cbranch_execz .LBB118_6
; %bb.14:                               ;   in Loop: Header=BB118_7 Depth=1
	global_load_dwordx4 v[32:35], v[8:9], off
	s_waitcnt vmcnt(0)
	ds_write2_b64 v29, v[32:33], v[34:35] offset1:1
	s_branch .LBB118_6
.LBB118_15:
	s_clause 0x1
	s_load_dword s3, s[4:5], 0x50
	s_load_dwordx2 s[0:1], s[4:5], 0x58
	v_cmp_neq_f64_e64 s2, s[12:13], 0
	v_add_nc_u32_e32 v27, s29, v1
	v_add_nc_u32_e32 v4, s28, v0
	v_cmp_le_i32_e32 vcc_lo, v27, v4
	v_ashrrev_i32_e32 v5, 31, v4
	s_waitcnt lgkmcnt(0)
	v_mad_i64_i32 v[0:1], null, v27, s3, 0
	s_mul_i32 s1, s1, s8
	s_mul_hi_u32 s5, s0, s8
	s_mul_i32 s4, s0, s8
	s_add_i32 s5, s5, s1
	v_cmp_gt_i32_e64 s0, s10, v4
	s_lshl_b64 s[4:5], s[4:5], 4
	v_lshlrev_b64 v[0:1], 4, v[0:1]
	s_add_u32 s4, s22, s4
	s_addc_u32 s5, s23, s5
	s_xor_b32 s6, s9, -1
	s_or_b32 s2, s2, s6
	v_add_co_u32 v8, s1, s4, v0
	v_add_co_ci_u32_e64 v9, null, s5, v1, s1
	v_cndmask_b32_e64 v26, 0, 1, s2
	s_and_b32 s6, vcc_lo, s0
	s_and_saveexec_b32 s1, s6
	s_cbranch_execz .LBB118_19
; %bb.16:
	v_mul_f64 v[0:1], s[18:19], v[24:25]
	v_mul_f64 v[2:3], s[16:17], v[24:25]
	v_lshlrev_b64 v[6:7], 4, v[4:5]
	v_add_co_u32 v6, vcc_lo, v8, v6
	v_add_co_ci_u32_e64 v7, null, v9, v7, vcc_lo
	s_andn2_b32 vcc_lo, exec_lo, s2
	v_fma_f64 v[0:1], s[16:17], v[22:23], -v[0:1]
	v_fma_f64 v[2:3], s[18:19], v[22:23], v[2:3]
	s_cbranch_vccnz .LBB118_18
; %bb.17:
	global_load_dwordx4 v[22:25], v[6:7], off
	s_waitcnt vmcnt(0)
	v_mul_f64 v[28:29], s[14:15], v[24:25]
	v_mul_f64 v[24:25], s[12:13], v[24:25]
	v_fma_f64 v[28:29], s[12:13], v[22:23], -v[28:29]
	v_fma_f64 v[22:23], s[14:15], v[22:23], v[24:25]
	v_add_f64 v[0:1], v[0:1], v[28:29]
	v_add_f64 v[2:3], v[2:3], v[22:23]
.LBB118_18:
	global_store_dwordx4 v[6:7], v[0:3], off
.LBB118_19:
	s_or_b32 exec_lo, exec_lo, s1
	v_add_nc_u32_e32 v6, 16, v4
	v_cmp_le_i32_e32 vcc_lo, v27, v6
	v_cmp_gt_i32_e64 s1, s10, v6
	v_ashrrev_i32_e32 v7, 31, v6
	s_and_b32 s2, vcc_lo, s1
	s_and_saveexec_b32 s6, s2
	s_cbranch_execz .LBB118_23
; %bb.20:
	v_mul_f64 v[0:1], s[18:19], v[16:17]
	v_mul_f64 v[2:3], s[16:17], v[16:17]
	v_cmp_ne_u32_e32 vcc_lo, 1, v26
	s_and_b32 vcc_lo, exec_lo, vcc_lo
	v_fma_f64 v[0:1], s[16:17], v[14:15], -v[0:1]
	v_fma_f64 v[2:3], s[18:19], v[14:15], v[2:3]
	v_lshlrev_b64 v[14:15], 4, v[6:7]
	v_add_co_u32 v8, s2, v8, v14
	v_add_co_ci_u32_e64 v9, null, v9, v15, s2
	s_cbranch_vccnz .LBB118_22
; %bb.21:
	global_load_dwordx4 v[14:17], v[8:9], off
	s_waitcnt vmcnt(0)
	v_mul_f64 v[22:23], s[14:15], v[16:17]
	v_mul_f64 v[16:17], s[12:13], v[16:17]
	v_fma_f64 v[22:23], s[12:13], v[14:15], -v[22:23]
	v_fma_f64 v[14:15], s[14:15], v[14:15], v[16:17]
	v_add_f64 v[0:1], v[0:1], v[22:23]
	v_add_f64 v[2:3], v[2:3], v[14:15]
.LBB118_22:
	global_store_dwordx4 v[8:9], v[0:3], off
.LBB118_23:
	s_or_b32 exec_lo, exec_lo, s6
	v_add_nc_u32_e32 v14, 16, v27
	v_mad_i64_i32 v[0:1], null, v14, s3, 0
	v_cmp_le_i32_e32 vcc_lo, v14, v4
	s_and_b32 s0, vcc_lo, s0
	v_lshlrev_b64 v[0:1], 4, v[0:1]
	v_add_co_u32 v8, s2, s4, v0
	v_add_co_ci_u32_e64 v9, null, s5, v1, s2
	s_and_saveexec_b32 s2, s0
	s_cbranch_execz .LBB118_27
; %bb.24:
	v_mul_f64 v[0:1], s[18:19], v[20:21]
	v_mul_f64 v[2:3], s[16:17], v[20:21]
	v_lshlrev_b64 v[4:5], 4, v[4:5]
	v_cmp_ne_u32_e32 vcc_lo, 1, v26
	s_and_b32 vcc_lo, exec_lo, vcc_lo
	v_add_co_u32 v4, s0, v8, v4
	v_add_co_ci_u32_e64 v5, null, v9, v5, s0
	v_fma_f64 v[0:1], s[16:17], v[18:19], -v[0:1]
	v_fma_f64 v[2:3], s[18:19], v[18:19], v[2:3]
	s_cbranch_vccnz .LBB118_26
; %bb.25:
	global_load_dwordx4 v[15:18], v[4:5], off
	s_waitcnt vmcnt(0)
	v_mul_f64 v[19:20], s[14:15], v[17:18]
	v_mul_f64 v[17:18], s[12:13], v[17:18]
	v_fma_f64 v[19:20], s[12:13], v[15:16], -v[19:20]
	v_fma_f64 v[15:16], s[14:15], v[15:16], v[17:18]
	v_add_f64 v[0:1], v[0:1], v[19:20]
	v_add_f64 v[2:3], v[2:3], v[15:16]
.LBB118_26:
	global_store_dwordx4 v[4:5], v[0:3], off
.LBB118_27:
	s_or_b32 exec_lo, exec_lo, s2
	v_cmp_le_i32_e32 vcc_lo, v14, v6
	s_and_b32 s0, vcc_lo, s1
	s_and_saveexec_b32 s1, s0
	s_cbranch_execz .LBB118_32
; %bb.28:
	v_mul_f64 v[0:1], s[18:19], v[10:11]
	v_mul_f64 v[2:3], s[16:17], v[10:11]
	v_lshlrev_b64 v[4:5], 4, v[6:7]
	v_cmp_ne_u32_e32 vcc_lo, 1, v26
	s_and_b32 vcc_lo, exec_lo, vcc_lo
	v_add_co_u32 v4, s0, v8, v4
	v_add_co_ci_u32_e64 v5, null, v9, v5, s0
	v_fma_f64 v[0:1], s[16:17], v[12:13], -v[0:1]
	v_fma_f64 v[2:3], s[18:19], v[12:13], v[2:3]
	s_cbranch_vccnz .LBB118_30
; %bb.29:
	global_load_dwordx4 v[6:9], v[4:5], off
	s_waitcnt vmcnt(0)
	v_mul_f64 v[10:11], s[14:15], v[8:9]
	v_mul_f64 v[8:9], s[12:13], v[8:9]
	v_fma_f64 v[10:11], s[12:13], v[6:7], -v[10:11]
	v_fma_f64 v[6:7], s[14:15], v[6:7], v[8:9]
	v_add_f64 v[0:1], v[0:1], v[10:11]
	v_add_f64 v[2:3], v[2:3], v[6:7]
.LBB118_30:
	global_store_dwordx4 v[4:5], v[0:3], off
	s_endpgm
.LBB118_31:
.LBB118_32:
	s_endpgm
	.section	.rodata,"a",@progbits
	.p2align	6, 0x0
	.amdhsa_kernel _ZL29rocblas_internal_gemmt_kernelIiLi16ELi32ELi8ELc78ELc84ELc76ELb0ELb0E19rocblas_complex_numIdEPKS1_S3_PS1_EviT_T9_T10_S5_lS7_S5_lS6_T11_S5_li
		.amdhsa_group_segment_fixed_size 8192
		.amdhsa_private_segment_fixed_size 0
		.amdhsa_kernarg_size 100
		.amdhsa_user_sgpr_count 6
		.amdhsa_user_sgpr_private_segment_buffer 1
		.amdhsa_user_sgpr_dispatch_ptr 0
		.amdhsa_user_sgpr_queue_ptr 0
		.amdhsa_user_sgpr_kernarg_segment_ptr 1
		.amdhsa_user_sgpr_dispatch_id 0
		.amdhsa_user_sgpr_flat_scratch_init 0
		.amdhsa_user_sgpr_private_segment_size 0
		.amdhsa_wavefront_size32 1
		.amdhsa_uses_dynamic_stack 0
		.amdhsa_system_sgpr_private_segment_wavefront_offset 0
		.amdhsa_system_sgpr_workgroup_id_x 1
		.amdhsa_system_sgpr_workgroup_id_y 1
		.amdhsa_system_sgpr_workgroup_id_z 1
		.amdhsa_system_sgpr_workgroup_info 0
		.amdhsa_system_vgpr_workitem_id 1
		.amdhsa_next_free_vgpr 56
		.amdhsa_next_free_sgpr 36
		.amdhsa_reserve_vcc 1
		.amdhsa_reserve_flat_scratch 0
		.amdhsa_float_round_mode_32 0
		.amdhsa_float_round_mode_16_64 0
		.amdhsa_float_denorm_mode_32 3
		.amdhsa_float_denorm_mode_16_64 3
		.amdhsa_dx10_clamp 1
		.amdhsa_ieee_mode 1
		.amdhsa_fp16_overflow 0
		.amdhsa_workgroup_processor_mode 1
		.amdhsa_memory_ordered 1
		.amdhsa_forward_progress 1
		.amdhsa_shared_vgpr_count 0
		.amdhsa_exception_fp_ieee_invalid_op 0
		.amdhsa_exception_fp_denorm_src 0
		.amdhsa_exception_fp_ieee_div_zero 0
		.amdhsa_exception_fp_ieee_overflow 0
		.amdhsa_exception_fp_ieee_underflow 0
		.amdhsa_exception_fp_ieee_inexact 0
		.amdhsa_exception_int_div_zero 0
	.end_amdhsa_kernel
	.section	.text._ZL29rocblas_internal_gemmt_kernelIiLi16ELi32ELi8ELc78ELc84ELc76ELb0ELb0E19rocblas_complex_numIdEPKS1_S3_PS1_EviT_T9_T10_S5_lS7_S5_lS6_T11_S5_li,"axG",@progbits,_ZL29rocblas_internal_gemmt_kernelIiLi16ELi32ELi8ELc78ELc84ELc76ELb0ELb0E19rocblas_complex_numIdEPKS1_S3_PS1_EviT_T9_T10_S5_lS7_S5_lS6_T11_S5_li,comdat
.Lfunc_end118:
	.size	_ZL29rocblas_internal_gemmt_kernelIiLi16ELi32ELi8ELc78ELc84ELc76ELb0ELb0E19rocblas_complex_numIdEPKS1_S3_PS1_EviT_T9_T10_S5_lS7_S5_lS6_T11_S5_li, .Lfunc_end118-_ZL29rocblas_internal_gemmt_kernelIiLi16ELi32ELi8ELc78ELc84ELc76ELb0ELb0E19rocblas_complex_numIdEPKS1_S3_PS1_EviT_T9_T10_S5_lS7_S5_lS6_T11_S5_li
                                        ; -- End function
	.set _ZL29rocblas_internal_gemmt_kernelIiLi16ELi32ELi8ELc78ELc84ELc76ELb0ELb0E19rocblas_complex_numIdEPKS1_S3_PS1_EviT_T9_T10_S5_lS7_S5_lS6_T11_S5_li.num_vgpr, 56
	.set _ZL29rocblas_internal_gemmt_kernelIiLi16ELi32ELi8ELc78ELc84ELc76ELb0ELb0E19rocblas_complex_numIdEPKS1_S3_PS1_EviT_T9_T10_S5_lS7_S5_lS6_T11_S5_li.num_agpr, 0
	.set _ZL29rocblas_internal_gemmt_kernelIiLi16ELi32ELi8ELc78ELc84ELc76ELb0ELb0E19rocblas_complex_numIdEPKS1_S3_PS1_EviT_T9_T10_S5_lS7_S5_lS6_T11_S5_li.numbered_sgpr, 36
	.set _ZL29rocblas_internal_gemmt_kernelIiLi16ELi32ELi8ELc78ELc84ELc76ELb0ELb0E19rocblas_complex_numIdEPKS1_S3_PS1_EviT_T9_T10_S5_lS7_S5_lS6_T11_S5_li.num_named_barrier, 0
	.set _ZL29rocblas_internal_gemmt_kernelIiLi16ELi32ELi8ELc78ELc84ELc76ELb0ELb0E19rocblas_complex_numIdEPKS1_S3_PS1_EviT_T9_T10_S5_lS7_S5_lS6_T11_S5_li.private_seg_size, 0
	.set _ZL29rocblas_internal_gemmt_kernelIiLi16ELi32ELi8ELc78ELc84ELc76ELb0ELb0E19rocblas_complex_numIdEPKS1_S3_PS1_EviT_T9_T10_S5_lS7_S5_lS6_T11_S5_li.uses_vcc, 1
	.set _ZL29rocblas_internal_gemmt_kernelIiLi16ELi32ELi8ELc78ELc84ELc76ELb0ELb0E19rocblas_complex_numIdEPKS1_S3_PS1_EviT_T9_T10_S5_lS7_S5_lS6_T11_S5_li.uses_flat_scratch, 0
	.set _ZL29rocblas_internal_gemmt_kernelIiLi16ELi32ELi8ELc78ELc84ELc76ELb0ELb0E19rocblas_complex_numIdEPKS1_S3_PS1_EviT_T9_T10_S5_lS7_S5_lS6_T11_S5_li.has_dyn_sized_stack, 0
	.set _ZL29rocblas_internal_gemmt_kernelIiLi16ELi32ELi8ELc78ELc84ELc76ELb0ELb0E19rocblas_complex_numIdEPKS1_S3_PS1_EviT_T9_T10_S5_lS7_S5_lS6_T11_S5_li.has_recursion, 0
	.set _ZL29rocblas_internal_gemmt_kernelIiLi16ELi32ELi8ELc78ELc84ELc76ELb0ELb0E19rocblas_complex_numIdEPKS1_S3_PS1_EviT_T9_T10_S5_lS7_S5_lS6_T11_S5_li.has_indirect_call, 0
	.section	.AMDGPU.csdata,"",@progbits
; Kernel info:
; codeLenInByte = 3588
; TotalNumSgprs: 38
; NumVgprs: 56
; ScratchSize: 0
; MemoryBound: 0
; FloatMode: 240
; IeeeMode: 1
; LDSByteSize: 8192 bytes/workgroup (compile time only)
; SGPRBlocks: 0
; VGPRBlocks: 6
; NumSGPRsForWavesPerEU: 38
; NumVGPRsForWavesPerEU: 56
; Occupancy: 16
; WaveLimiterHint : 0
; COMPUTE_PGM_RSRC2:SCRATCH_EN: 0
; COMPUTE_PGM_RSRC2:USER_SGPR: 6
; COMPUTE_PGM_RSRC2:TRAP_HANDLER: 0
; COMPUTE_PGM_RSRC2:TGID_X_EN: 1
; COMPUTE_PGM_RSRC2:TGID_Y_EN: 1
; COMPUTE_PGM_RSRC2:TGID_Z_EN: 1
; COMPUTE_PGM_RSRC2:TIDIG_COMP_CNT: 1
	.section	.text._ZL29rocblas_internal_gemmt_kernelIiLi16ELi32ELi8ELc78ELc67ELc76ELb0ELb1E19rocblas_complex_numIdEPKS1_S3_PS1_EviT_T9_T10_S5_lS7_S5_lS6_T11_S5_li,"axG",@progbits,_ZL29rocblas_internal_gemmt_kernelIiLi16ELi32ELi8ELc78ELc67ELc76ELb0ELb1E19rocblas_complex_numIdEPKS1_S3_PS1_EviT_T9_T10_S5_lS7_S5_lS6_T11_S5_li,comdat
	.globl	_ZL29rocblas_internal_gemmt_kernelIiLi16ELi32ELi8ELc78ELc67ELc76ELb0ELb1E19rocblas_complex_numIdEPKS1_S3_PS1_EviT_T9_T10_S5_lS7_S5_lS6_T11_S5_li ; -- Begin function _ZL29rocblas_internal_gemmt_kernelIiLi16ELi32ELi8ELc78ELc67ELc76ELb0ELb1E19rocblas_complex_numIdEPKS1_S3_PS1_EviT_T9_T10_S5_lS7_S5_lS6_T11_S5_li
	.p2align	8
	.type	_ZL29rocblas_internal_gemmt_kernelIiLi16ELi32ELi8ELc78ELc67ELc76ELb0ELb1E19rocblas_complex_numIdEPKS1_S3_PS1_EviT_T9_T10_S5_lS7_S5_lS6_T11_S5_li,@function
_ZL29rocblas_internal_gemmt_kernelIiLi16ELi32ELi8ELc78ELc67ELc76ELb0ELb1E19rocblas_complex_numIdEPKS1_S3_PS1_EviT_T9_T10_S5_lS7_S5_lS6_T11_S5_li: ; @_ZL29rocblas_internal_gemmt_kernelIiLi16ELi32ELi8ELc78ELc67ELc76ELb0ELb1E19rocblas_complex_numIdEPKS1_S3_PS1_EviT_T9_T10_S5_lS7_S5_lS6_T11_S5_li
; %bb.0:
	s_load_dwordx4 s[20:23], s[4:5], 0x38
	s_waitcnt lgkmcnt(0)
	s_load_dwordx4 s[12:15], s[22:23], 0x0
	s_clause 0x1
	s_load_dwordx4 s[0:3], s[4:5], 0x8
	s_load_dwordx2 s[10:11], s[4:5], 0x0
	s_waitcnt lgkmcnt(0)
	s_load_dwordx4 s[16:19], s[0:1], 0x0
	v_cmp_eq_f64_e64 s22, s[12:13], 1.0
	v_cmp_eq_f64_e64 s9, s[14:15], 0
	s_and_b32 s0, s22, s9
	s_andn2_b32 vcc_lo, exec_lo, s0
	s_mov_b32 s0, -1
	s_cbranch_vccnz .LBB119_3
; %bb.1:
	s_cmp_lg_u32 s11, 0
	s_cbranch_scc0 .LBB119_29
; %bb.2:
	s_waitcnt lgkmcnt(0)
	v_cmp_neq_f64_e64 s0, s[16:17], 0
	v_cmp_neq_f64_e64 s1, s[18:19], 0
	s_or_b32 s0, s0, s1
.LBB119_3:
	s_and_b32 vcc_lo, exec_lo, s0
	s_cbranch_vccz .LBB119_30
; %bb.4:
	s_waitcnt lgkmcnt(0)
	v_cmp_eq_f64_e64 s0, s[16:17], 0
	v_cmp_eq_f64_e64 s1, s[18:19], 0
	s_load_dwordx2 s[22:23], s[4:5], 0x48
	s_lshl_b32 s30, s6, 5
	s_lshl_b32 s31, s7, 5
	v_mov_b32_e32 v23, 0
	v_mov_b32_e32 v25, 0
	;; [unrolled: 1-line block ×16, first 2 shown]
	s_mov_b32 s33, 0
	s_and_b32 s0, s0, s1
	s_cmp_lt_i32 s11, 1
	s_cselect_b32 s1, -1, 0
	s_or_b32 s0, s0, s1
	s_and_b32 vcc_lo, exec_lo, s0
	s_cbranch_vccnz .LBB119_13
; %bb.5:
	s_load_dword s6, s[4:5], 0x18
	v_lshl_add_u32 v2, v1, 4, v0
	s_clause 0x1
	s_load_dword s28, s[4:5], 0x30
	s_load_dwordx4 s[24:27], s[4:5], 0x20
	v_and_b32_e32 v27, 7, v0
	s_mul_i32 s21, s21, s8
	s_mul_hi_u32 s34, s20, s8
	v_and_b32_e32 v6, 31, v2
	v_lshrrev_b32_e32 v3, 3, v2
	v_lshlrev_b32_e32 v4, 4, v27
	v_lshrrev_b32_e32 v29, 5, v2
	s_add_i32 s21, s34, s21
	v_or_b32_e32 v5, s30, v6
	v_add_nc_u32_e32 v2, s31, v3
	v_lshl_or_b32 v3, v3, 7, v4
	v_lshlrev_b32_e32 v7, 4, v6
	v_add_nc_u32_e32 v6, s30, v6
	v_cmp_gt_i32_e64 s0, s10, v5
	s_mul_i32 s20, s20, s8
	v_add_nc_u32_e32 v32, 0x1000, v3
	v_lshl_or_b32 v31, v29, 9, v7
	s_waitcnt lgkmcnt(0)
	v_mad_i64_i32 v[4:5], null, v29, s6, 0
	s_mul_i32 s1, s25, s8
	s_mul_hi_u32 s25, s24, s8
	v_mad_i64_i32 v[7:8], null, s28, v27, 0
	s_mul_i32 s24, s24, s8
	s_add_i32 s25, s25, s1
	v_lshlrev_b64 v[4:5], 4, v[4:5]
	s_lshl_b64 s[24:25], s[24:25], 4
	v_ashrrev_i32_e32 v3, 31, v2
	s_lshl_b64 s[20:21], s[20:21], 4
	v_cmp_gt_i32_e32 vcc_lo, s10, v2
	v_mov_b32_e32 v17, 0
	v_add_co_u32 v9, s1, v4, s24
	v_add_co_ci_u32_e64 v10, null, s25, v5, s1
	v_lshlrev_b64 v[4:5], 4, v[7:8]
	v_ashrrev_i32_e32 v7, 31, v6
	v_lshlrev_b64 v[2:3], 4, v[2:3]
	v_mov_b32_e32 v15, 0
	v_mov_b32_e32 v21, 0
	;; [unrolled: 1-line block ×3, first 2 shown]
	v_add_co_u32 v8, s1, s20, v4
	v_add_co_ci_u32_e64 v11, null, s21, v5, s1
	v_lshlrev_b64 v[4:5], 4, v[6:7]
	v_add_co_u32 v2, s1, v8, v2
	v_add_co_ci_u32_e64 v3, null, v11, v3, s1
	v_mov_b32_e32 v7, 0
	v_add_co_u32 v4, s1, v9, v4
	v_add_co_ci_u32_e64 v5, null, v10, v5, s1
	v_add_co_u32 v2, s1, s26, v2
	v_add_co_ci_u32_e64 v3, null, s27, v3, s1
	;; [unrolled: 2-line block ×3, first 2 shown]
	v_add_co_u32 v13, s1, v2, 8
	v_mov_b32_e32 v9, 0
	v_mov_b32_e32 v25, 0
	;; [unrolled: 1-line block ×3, first 2 shown]
	v_lshlrev_b32_e32 v28, 4, v0
	v_lshl_add_u32 v30, v1, 7, 0x1000
	v_add_co_ci_u32_e64 v14, null, 0, v3, s1
	v_mov_b32_e32 v8, 0
	v_mov_b32_e32 v10, 0
	;; [unrolled: 1-line block ×9, first 2 shown]
	s_ashr_i32 s7, s6, 31
	s_ashr_i32 s29, s28, 31
	s_lshl_b64 s[2:3], s[6:7], 7
	s_lshl_b64 s[6:7], s[28:29], 7
	s_xor_b32 s1, s0, -1
	s_branch .LBB119_7
.LBB119_6:                              ;   in Loop: Header=BB119_7 Depth=1
	s_or_b32 exec_lo, exec_lo, s0
	ds_write_b128 v32, v[3:6]
	s_waitcnt lgkmcnt(0)
	s_barrier
	buffer_gl0_inv
	ds_read_b128 v[3:6], v30
	ds_read_b128 v[33:36], v28
	ds_read_b128 v[37:40], v28 offset:256
	ds_read_b128 v[41:44], v30 offset:2048
	;; [unrolled: 1-line block ×12, first 2 shown]
	v_add_co_u32 v11, s0, v11, s2
	v_add_co_ci_u32_e64 v12, null, s3, v12, s0
	v_add_co_u32 v13, s0, v13, s6
	v_add_co_ci_u32_e64 v14, null, s7, v14, s0
	s_waitcnt lgkmcnt(12)
	v_mul_f64 v[85:86], v[5:6], v[35:36]
	v_mul_f64 v[87:88], v[3:4], v[35:36]
	s_waitcnt lgkmcnt(11)
	v_mul_f64 v[89:90], v[5:6], v[39:40]
	v_mul_f64 v[91:92], v[3:4], v[39:40]
	;; [unrolled: 3-line block ×3, first 2 shown]
	v_mul_f64 v[95:96], v[43:44], v[39:40]
	v_mul_f64 v[39:40], v[41:42], v[39:40]
	s_waitcnt lgkmcnt(8)
	v_mul_f64 v[97:98], v[47:48], v[51:52]
	v_mul_f64 v[99:100], v[45:46], v[51:52]
	s_waitcnt lgkmcnt(7)
	;; [unrolled: 3-line block ×3, first 2 shown]
	v_mul_f64 v[105:106], v[59:60], v[51:52]
	v_mul_f64 v[51:52], v[57:58], v[51:52]
	;; [unrolled: 1-line block ×4, first 2 shown]
	s_waitcnt lgkmcnt(4)
	v_mul_f64 v[109:110], v[63:64], v[67:68]
	v_mul_f64 v[111:112], v[61:62], v[67:68]
	s_waitcnt lgkmcnt(3)
	v_mul_f64 v[113:114], v[63:64], v[71:72]
	v_mul_f64 v[115:116], v[61:62], v[71:72]
	;; [unrolled: 3-line block ×3, first 2 shown]
	v_fma_f64 v[85:86], v[3:4], v[33:34], -v[85:86]
	v_fma_f64 v[87:88], v[5:6], v[33:34], v[87:88]
	v_fma_f64 v[89:90], v[3:4], v[37:38], -v[89:90]
	v_fma_f64 v[91:92], v[5:6], v[37:38], v[91:92]
	;; [unrolled: 2-line block ×4, first 2 shown]
	v_mul_f64 v[123:124], v[75:76], v[71:72]
	v_mul_f64 v[71:72], v[73:74], v[71:72]
	v_fma_f64 v[97:98], v[45:46], v[49:50], -v[97:98]
	v_fma_f64 v[99:100], v[47:48], v[49:50], v[99:100]
	v_fma_f64 v[101:102], v[45:46], v[53:54], -v[101:102]
	v_fma_f64 v[103:104], v[47:48], v[53:54], v[103:104]
	;; [unrolled: 2-line block ×7, first 2 shown]
	v_add_f64 v[23:24], v[23:24], v[85:86]
	v_add_f64 v[25:26], v[87:88], v[25:26]
	;; [unrolled: 1-line block ×6, first 2 shown]
	v_fma_f64 v[73:74], v[73:74], v[69:70], -v[123:124]
	v_fma_f64 v[69:70], v[75:76], v[69:70], v[71:72]
	v_add_f64 v[71:72], v[15:16], v[93:94]
	v_add_f64 v[75:76], v[119:120], v[17:18]
	ds_read_b128 v[3:6], v28 offset:1536
	ds_read_b128 v[33:36], v28 offset:1792
	;; [unrolled: 1-line block ×7, first 2 shown]
	s_add_i32 s33, s33, 8
	s_cmp_lt_i32 s33, s11
	v_add_f64 v[97:98], v[23:24], v[97:98]
	v_add_f64 v[99:100], v[99:100], v[25:26]
	;; [unrolled: 1-line block ×6, first 2 shown]
	ds_read_b128 v[19:22], v28 offset:2560
	ds_read_b128 v[23:26], v28 offset:2816
	s_waitcnt lgkmcnt(8)
	v_mul_f64 v[109:110], v[79:80], v[5:6]
	v_mul_f64 v[111:112], v[77:78], v[5:6]
	s_waitcnt lgkmcnt(7)
	v_mul_f64 v[67:68], v[79:80], v[35:36]
	v_mul_f64 v[113:114], v[77:78], v[35:36]
	;; [unrolled: 1-line block ×6, first 2 shown]
	s_waitcnt lgkmcnt(4)
	v_mul_f64 v[95:96], v[39:40], v[47:48]
	v_add_f64 v[71:72], v[71:72], v[105:106]
	v_add_f64 v[75:76], v[125:126], v[75:76]
	v_mul_f64 v[93:94], v[37:38], v[43:44]
	ds_read_b128 v[5:8], v30 offset:80
	v_add_f64 v[55:56], v[97:98], v[55:56]
	v_add_f64 v[59:60], v[59:60], v[99:100]
	;; [unrolled: 1-line block ×6, first 2 shown]
	s_waitcnt lgkmcnt(2)
	v_mul_f64 v[99:100], v[17:18], v[21:22]
	s_waitcnt lgkmcnt(1)
	v_mul_f64 v[101:102], v[17:18], v[25:26]
	v_fma_f64 v[89:90], v[77:78], v[3:4], -v[109:110]
	v_fma_f64 v[91:92], v[79:80], v[3:4], v[111:112]
	v_fma_f64 v[67:68], v[77:78], v[33:34], -v[67:68]
	v_mul_f64 v[77:78], v[39:40], v[43:44]
	v_mul_f64 v[109:110], v[37:38], v[47:48]
	v_fma_f64 v[79:80], v[79:80], v[33:34], v[113:114]
	v_mul_f64 v[111:112], v[51:52], v[43:44]
	v_mul_f64 v[43:44], v[49:50], v[43:44]
	v_fma_f64 v[57:58], v[81:82], v[3:4], -v[115:116]
	v_fma_f64 v[3:4], v[83:84], v[3:4], v[117:118]
	v_fma_f64 v[81:82], v[81:82], v[33:34], -v[87:88]
	v_fma_f64 v[83:84], v[83:84], v[33:34], v[35:36]
	v_fma_f64 v[87:88], v[37:38], v[45:46], -v[95:96]
	v_mul_f64 v[95:96], v[51:52], v[47:48]
	v_mul_f64 v[47:48], v[49:50], v[47:48]
	v_add_f64 v[71:72], v[71:72], v[107:108]
	v_add_f64 v[65:66], v[65:66], v[75:76]
	v_fma_f64 v[85:86], v[39:40], v[41:42], v[93:94]
	s_waitcnt lgkmcnt(0)
	v_mul_f64 v[69:70], v[7:8], v[21:22]
	v_mul_f64 v[73:74], v[5:6], v[21:22]
	;; [unrolled: 1-line block ×6, first 2 shown]
	v_add_f64 v[55:56], v[55:56], v[89:90]
	v_fma_f64 v[77:78], v[37:38], v[41:42], -v[77:78]
	v_fma_f64 v[93:94], v[39:40], v[45:46], v[109:110]
	v_add_f64 v[59:60], v[91:92], v[59:60]
	v_fma_f64 v[105:106], v[49:50], v[41:42], -v[111:112]
	v_fma_f64 v[109:110], v[51:52], v[41:42], v[43:44]
	v_add_f64 v[61:62], v[61:62], v[67:68]
	v_add_f64 v[63:64], v[79:80], v[63:64]
	;; [unrolled: 1-line block ×4, first 2 shown]
	ds_read_b128 v[33:36], v30 offset:96
	ds_read_b128 v[37:40], v28 offset:3072
	v_fma_f64 v[49:50], v[49:50], v[45:46], -v[95:96]
	v_fma_f64 v[51:52], v[51:52], v[45:46], v[47:48]
	v_add_f64 v[57:58], v[71:72], v[57:58]
	v_add_f64 v[65:66], v[3:4], v[65:66]
	ds_read_b128 v[41:44], v28 offset:3328
	ds_read_b128 v[45:48], v30 offset:2144
	v_fma_f64 v[69:70], v[5:6], v[19:20], -v[69:70]
	v_fma_f64 v[71:72], v[7:8], v[19:20], v[73:74]
	v_fma_f64 v[73:74], v[5:6], v[23:24], -v[75:76]
	v_fma_f64 v[75:76], v[7:8], v[23:24], v[97:98]
	;; [unrolled: 2-line block ×4, first 2 shown]
	v_add_f64 v[55:56], v[55:56], v[77:78]
	v_add_f64 v[59:60], v[85:86], v[59:60]
	ds_read_b128 v[3:6], v30 offset:112
	ds_read_b128 v[7:10], v30 offset:2160
	v_add_f64 v[61:62], v[61:62], v[87:88]
	v_add_f64 v[63:64], v[93:94], v[63:64]
	s_waitcnt lgkmcnt(4)
	v_mul_f64 v[89:90], v[35:36], v[39:40]
	v_mul_f64 v[25:26], v[33:34], v[39:40]
	ds_read_b128 v[15:18], v28 offset:3584
	ds_read_b128 v[19:22], v28 offset:3840
	v_add_f64 v[49:50], v[67:68], v[49:50]
	s_waitcnt lgkmcnt(5)
	v_mul_f64 v[91:92], v[35:36], v[43:44]
	v_mul_f64 v[95:96], v[33:34], v[43:44]
	s_waitcnt lgkmcnt(4)
	v_mul_f64 v[97:98], v[47:48], v[39:40]
	v_mul_f64 v[39:40], v[45:46], v[39:40]
	v_add_f64 v[57:58], v[57:58], v[105:106]
	v_add_f64 v[65:66], v[109:110], v[65:66]
	;; [unrolled: 1-line block ×3, first 2 shown]
	v_mul_f64 v[53:54], v[47:48], v[43:44]
	v_mul_f64 v[43:44], v[45:46], v[43:44]
	s_waitcnt lgkmcnt(0)
	s_barrier
	buffer_gl0_inv
	v_fma_f64 v[67:68], v[33:34], v[37:38], -v[89:90]
	v_fma_f64 v[25:26], v[35:36], v[37:38], v[25:26]
	v_add_f64 v[49:50], v[49:50], v[83:84]
	v_fma_f64 v[33:34], v[33:34], v[41:42], -v[91:92]
	v_fma_f64 v[35:36], v[35:36], v[41:42], v[95:96]
	v_fma_f64 v[77:78], v[45:46], v[37:38], -v[97:98]
	v_fma_f64 v[37:38], v[47:48], v[37:38], v[39:40]
	v_add_f64 v[39:40], v[55:56], v[69:70]
	v_add_f64 v[55:56], v[71:72], v[59:60]
	;; [unrolled: 1-line block ×7, first 2 shown]
	v_fma_f64 v[45:46], v[45:46], v[41:42], -v[53:54]
	v_fma_f64 v[41:42], v[47:48], v[41:42], v[43:44]
	v_mul_f64 v[43:44], v[5:6], v[17:18]
	v_mul_f64 v[47:48], v[3:4], v[17:18]
	;; [unrolled: 1-line block ×8, first 2 shown]
	v_add_f64 v[39:40], v[39:40], v[67:68]
	v_add_f64 v[25:26], v[25:26], v[55:56]
	;; [unrolled: 1-line block ×8, first 2 shown]
	v_fma_f64 v[23:24], v[3:4], v[15:16], -v[43:44]
	v_fma_f64 v[43:44], v[5:6], v[15:16], v[47:48]
	v_fma_f64 v[3:4], v[3:4], v[19:20], -v[51:52]
	v_fma_f64 v[5:6], v[5:6], v[19:20], v[53:54]
	;; [unrolled: 2-line block ×4, first 2 shown]
	v_add_f64 v[23:24], v[39:40], v[23:24]
	v_add_f64 v[25:26], v[43:44], v[25:26]
	;; [unrolled: 1-line block ×8, first 2 shown]
	s_cbranch_scc0 .LBB119_13
.LBB119_7:                              ; =>This Inner Loop Header: Depth=1
	v_add_nc_u32_e32 v3, s33, v29
	v_cmp_le_i32_e64 s0, s11, v3
	s_or_b32 s0, s1, s0
	s_and_saveexec_b32 s20, s0
	s_xor_b32 s0, exec_lo, s20
	s_cbranch_execz .LBB119_9
; %bb.8:                                ;   in Loop: Header=BB119_7 Depth=1
	v_mov_b32_e32 v3, v2
	v_mov_b32_e32 v4, v2
	;; [unrolled: 1-line block ×3, first 2 shown]
	ds_write_b128 v31, v[2:5]
.LBB119_9:                              ;   in Loop: Header=BB119_7 Depth=1
	s_andn2_saveexec_b32 s0, s0
	s_cbranch_execz .LBB119_11
; %bb.10:                               ;   in Loop: Header=BB119_7 Depth=1
	global_load_dwordx4 v[3:6], v[11:12], off
	s_waitcnt vmcnt(0)
	ds_write2_b64 v31, v[3:4], v[5:6] offset1:1
.LBB119_11:                             ;   in Loop: Header=BB119_7 Depth=1
	s_or_b32 exec_lo, exec_lo, s0
	v_add_nc_u32_e32 v3, s33, v27
	v_mov_b32_e32 v5, 0
	v_mov_b32_e32 v6, 0
	v_cmp_gt_i32_e64 s0, s11, v3
	v_mov_b32_e32 v3, 0
	v_mov_b32_e32 v4, 0
	s_and_b32 s20, s0, vcc_lo
	s_and_saveexec_b32 s0, s20
	s_cbranch_execz .LBB119_6
; %bb.12:                               ;   in Loop: Header=BB119_7 Depth=1
	global_load_dwordx4 v[3:6], v[13:14], off offset:-8
	s_waitcnt vmcnt(0)
	v_xor_b32_e32 v6, 0x80000000, v6
	s_branch .LBB119_6
.LBB119_13:
	s_clause 0x1
	s_load_dword s3, s[4:5], 0x50
	s_load_dwordx2 s[0:1], s[4:5], 0x58
	v_cmp_neq_f64_e64 s2, s[12:13], 0
	v_add_nc_u32_e32 v27, s31, v1
	v_add_nc_u32_e32 v4, s30, v0
	v_cmp_le_i32_e32 vcc_lo, v27, v4
	v_ashrrev_i32_e32 v5, 31, v4
	s_waitcnt lgkmcnt(0)
	v_mad_i64_i32 v[0:1], null, v27, s3, 0
	s_mul_i32 s1, s1, s8
	s_mul_hi_u32 s5, s0, s8
	s_mul_i32 s4, s0, s8
	s_add_i32 s5, s5, s1
	v_cmp_gt_i32_e64 s0, s10, v4
	s_lshl_b64 s[4:5], s[4:5], 4
	v_lshlrev_b64 v[0:1], 4, v[0:1]
	s_add_u32 s4, s22, s4
	s_addc_u32 s5, s23, s5
	s_xor_b32 s6, s9, -1
	s_or_b32 s2, s2, s6
	v_add_co_u32 v13, s1, s4, v0
	v_add_co_ci_u32_e64 v14, null, s5, v1, s1
	v_cndmask_b32_e64 v6, 0, 1, s2
	s_and_b32 s6, vcc_lo, s0
	s_and_saveexec_b32 s1, s6
	s_cbranch_execz .LBB119_17
; %bb.14:
	v_mul_f64 v[0:1], s[18:19], v[25:26]
	v_mul_f64 v[2:3], s[16:17], v[25:26]
	v_lshlrev_b64 v[11:12], 4, v[4:5]
	v_add_co_u32 v11, vcc_lo, v13, v11
	v_add_co_ci_u32_e64 v12, null, v14, v12, vcc_lo
	s_andn2_b32 vcc_lo, exec_lo, s2
	v_fma_f64 v[0:1], s[16:17], v[23:24], -v[0:1]
	v_fma_f64 v[2:3], s[18:19], v[23:24], v[2:3]
	s_cbranch_vccnz .LBB119_16
; %bb.15:
	global_load_dwordx4 v[23:26], v[11:12], off
	s_waitcnt vmcnt(0)
	v_mul_f64 v[28:29], s[14:15], v[25:26]
	v_mul_f64 v[25:26], s[12:13], v[25:26]
	v_fma_f64 v[28:29], s[12:13], v[23:24], -v[28:29]
	v_fma_f64 v[23:24], s[14:15], v[23:24], v[25:26]
	v_add_f64 v[0:1], v[0:1], v[28:29]
	v_add_f64 v[2:3], v[2:3], v[23:24]
.LBB119_16:
	global_store_dwordx4 v[11:12], v[0:3], off
.LBB119_17:
	s_or_b32 exec_lo, exec_lo, s1
	v_add_nc_u32_e32 v11, 16, v4
	v_cmp_le_i32_e32 vcc_lo, v27, v11
	v_cmp_gt_i32_e64 s1, s10, v11
	v_ashrrev_i32_e32 v12, 31, v11
	s_and_b32 s2, vcc_lo, s1
	s_and_saveexec_b32 s6, s2
	s_cbranch_execz .LBB119_21
; %bb.18:
	v_mul_f64 v[0:1], s[18:19], v[21:22]
	v_mul_f64 v[2:3], s[16:17], v[21:22]
	v_cmp_ne_u32_e32 vcc_lo, 1, v6
	s_and_b32 vcc_lo, exec_lo, vcc_lo
	v_fma_f64 v[0:1], s[16:17], v[19:20], -v[0:1]
	v_fma_f64 v[2:3], s[18:19], v[19:20], v[2:3]
	v_lshlrev_b64 v[19:20], 4, v[11:12]
	v_add_co_u32 v13, s2, v13, v19
	v_add_co_ci_u32_e64 v14, null, v14, v20, s2
	s_cbranch_vccnz .LBB119_20
; %bb.19:
	global_load_dwordx4 v[19:22], v[13:14], off
	s_waitcnt vmcnt(0)
	v_mul_f64 v[23:24], s[14:15], v[21:22]
	v_mul_f64 v[21:22], s[12:13], v[21:22]
	v_fma_f64 v[23:24], s[12:13], v[19:20], -v[23:24]
	v_fma_f64 v[19:20], s[14:15], v[19:20], v[21:22]
	v_add_f64 v[0:1], v[0:1], v[23:24]
	v_add_f64 v[2:3], v[2:3], v[19:20]
.LBB119_20:
	global_store_dwordx4 v[13:14], v[0:3], off
.LBB119_21:
	s_or_b32 exec_lo, exec_lo, s6
	v_add_nc_u32_e32 v19, 16, v27
	v_mad_i64_i32 v[0:1], null, v19, s3, 0
	v_cmp_le_i32_e32 vcc_lo, v19, v4
	s_and_b32 s0, vcc_lo, s0
	v_lshlrev_b64 v[0:1], 4, v[0:1]
	v_add_co_u32 v13, s2, s4, v0
	v_add_co_ci_u32_e64 v14, null, s5, v1, s2
	s_and_saveexec_b32 s2, s0
	s_cbranch_execz .LBB119_25
; %bb.22:
	v_mul_f64 v[0:1], s[18:19], v[17:18]
	v_mul_f64 v[2:3], s[16:17], v[17:18]
	v_lshlrev_b64 v[4:5], 4, v[4:5]
	v_cmp_ne_u32_e32 vcc_lo, 1, v6
	s_and_b32 vcc_lo, exec_lo, vcc_lo
	v_add_co_u32 v4, s0, v13, v4
	v_add_co_ci_u32_e64 v5, null, v14, v5, s0
	v_fma_f64 v[0:1], s[16:17], v[15:16], -v[0:1]
	v_fma_f64 v[2:3], s[18:19], v[15:16], v[2:3]
	s_cbranch_vccnz .LBB119_24
; %bb.23:
	global_load_dwordx4 v[15:18], v[4:5], off
	s_waitcnt vmcnt(0)
	v_mul_f64 v[20:21], s[14:15], v[17:18]
	v_mul_f64 v[17:18], s[12:13], v[17:18]
	v_fma_f64 v[20:21], s[12:13], v[15:16], -v[20:21]
	v_fma_f64 v[15:16], s[14:15], v[15:16], v[17:18]
	v_add_f64 v[0:1], v[0:1], v[20:21]
	v_add_f64 v[2:3], v[2:3], v[15:16]
.LBB119_24:
	global_store_dwordx4 v[4:5], v[0:3], off
.LBB119_25:
	s_or_b32 exec_lo, exec_lo, s2
	v_cmp_le_i32_e32 vcc_lo, v19, v11
	s_and_b32 s0, vcc_lo, s1
	s_and_saveexec_b32 s1, s0
	s_cbranch_execz .LBB119_30
; %bb.26:
	v_mul_f64 v[0:1], s[18:19], v[7:8]
	v_mul_f64 v[2:3], s[16:17], v[7:8]
	v_lshlrev_b64 v[4:5], 4, v[11:12]
	v_cmp_ne_u32_e32 vcc_lo, 1, v6
	s_and_b32 vcc_lo, exec_lo, vcc_lo
	v_add_co_u32 v4, s0, v13, v4
	v_add_co_ci_u32_e64 v5, null, v14, v5, s0
	v_fma_f64 v[0:1], s[16:17], v[9:10], -v[0:1]
	v_fma_f64 v[2:3], s[18:19], v[9:10], v[2:3]
	s_cbranch_vccnz .LBB119_28
; %bb.27:
	global_load_dwordx4 v[6:9], v[4:5], off
	s_waitcnt vmcnt(0)
	v_mul_f64 v[10:11], s[14:15], v[8:9]
	v_mul_f64 v[8:9], s[12:13], v[8:9]
	v_fma_f64 v[10:11], s[12:13], v[6:7], -v[10:11]
	v_fma_f64 v[6:7], s[14:15], v[6:7], v[8:9]
	v_add_f64 v[0:1], v[0:1], v[10:11]
	v_add_f64 v[2:3], v[2:3], v[6:7]
.LBB119_28:
	global_store_dwordx4 v[4:5], v[0:3], off
	s_endpgm
.LBB119_29:
.LBB119_30:
	s_endpgm
	.section	.rodata,"a",@progbits
	.p2align	6, 0x0
	.amdhsa_kernel _ZL29rocblas_internal_gemmt_kernelIiLi16ELi32ELi8ELc78ELc67ELc76ELb0ELb1E19rocblas_complex_numIdEPKS1_S3_PS1_EviT_T9_T10_S5_lS7_S5_lS6_T11_S5_li
		.amdhsa_group_segment_fixed_size 8192
		.amdhsa_private_segment_fixed_size 0
		.amdhsa_kernarg_size 100
		.amdhsa_user_sgpr_count 6
		.amdhsa_user_sgpr_private_segment_buffer 1
		.amdhsa_user_sgpr_dispatch_ptr 0
		.amdhsa_user_sgpr_queue_ptr 0
		.amdhsa_user_sgpr_kernarg_segment_ptr 1
		.amdhsa_user_sgpr_dispatch_id 0
		.amdhsa_user_sgpr_flat_scratch_init 0
		.amdhsa_user_sgpr_private_segment_size 0
		.amdhsa_wavefront_size32 1
		.amdhsa_uses_dynamic_stack 0
		.amdhsa_system_sgpr_private_segment_wavefront_offset 0
		.amdhsa_system_sgpr_workgroup_id_x 1
		.amdhsa_system_sgpr_workgroup_id_y 1
		.amdhsa_system_sgpr_workgroup_id_z 1
		.amdhsa_system_sgpr_workgroup_info 0
		.amdhsa_system_vgpr_workitem_id 1
		.amdhsa_next_free_vgpr 127
		.amdhsa_next_free_sgpr 35
		.amdhsa_reserve_vcc 1
		.amdhsa_reserve_flat_scratch 0
		.amdhsa_float_round_mode_32 0
		.amdhsa_float_round_mode_16_64 0
		.amdhsa_float_denorm_mode_32 3
		.amdhsa_float_denorm_mode_16_64 3
		.amdhsa_dx10_clamp 1
		.amdhsa_ieee_mode 1
		.amdhsa_fp16_overflow 0
		.amdhsa_workgroup_processor_mode 1
		.amdhsa_memory_ordered 1
		.amdhsa_forward_progress 1
		.amdhsa_shared_vgpr_count 0
		.amdhsa_exception_fp_ieee_invalid_op 0
		.amdhsa_exception_fp_denorm_src 0
		.amdhsa_exception_fp_ieee_div_zero 0
		.amdhsa_exception_fp_ieee_overflow 0
		.amdhsa_exception_fp_ieee_underflow 0
		.amdhsa_exception_fp_ieee_inexact 0
		.amdhsa_exception_int_div_zero 0
	.end_amdhsa_kernel
	.section	.text._ZL29rocblas_internal_gemmt_kernelIiLi16ELi32ELi8ELc78ELc67ELc76ELb0ELb1E19rocblas_complex_numIdEPKS1_S3_PS1_EviT_T9_T10_S5_lS7_S5_lS6_T11_S5_li,"axG",@progbits,_ZL29rocblas_internal_gemmt_kernelIiLi16ELi32ELi8ELc78ELc67ELc76ELb0ELb1E19rocblas_complex_numIdEPKS1_S3_PS1_EviT_T9_T10_S5_lS7_S5_lS6_T11_S5_li,comdat
.Lfunc_end119:
	.size	_ZL29rocblas_internal_gemmt_kernelIiLi16ELi32ELi8ELc78ELc67ELc76ELb0ELb1E19rocblas_complex_numIdEPKS1_S3_PS1_EviT_T9_T10_S5_lS7_S5_lS6_T11_S5_li, .Lfunc_end119-_ZL29rocblas_internal_gemmt_kernelIiLi16ELi32ELi8ELc78ELc67ELc76ELb0ELb1E19rocblas_complex_numIdEPKS1_S3_PS1_EviT_T9_T10_S5_lS7_S5_lS6_T11_S5_li
                                        ; -- End function
	.set _ZL29rocblas_internal_gemmt_kernelIiLi16ELi32ELi8ELc78ELc67ELc76ELb0ELb1E19rocblas_complex_numIdEPKS1_S3_PS1_EviT_T9_T10_S5_lS7_S5_lS6_T11_S5_li.num_vgpr, 127
	.set _ZL29rocblas_internal_gemmt_kernelIiLi16ELi32ELi8ELc78ELc67ELc76ELb0ELb1E19rocblas_complex_numIdEPKS1_S3_PS1_EviT_T9_T10_S5_lS7_S5_lS6_T11_S5_li.num_agpr, 0
	.set _ZL29rocblas_internal_gemmt_kernelIiLi16ELi32ELi8ELc78ELc67ELc76ELb0ELb1E19rocblas_complex_numIdEPKS1_S3_PS1_EviT_T9_T10_S5_lS7_S5_lS6_T11_S5_li.numbered_sgpr, 35
	.set _ZL29rocblas_internal_gemmt_kernelIiLi16ELi32ELi8ELc78ELc67ELc76ELb0ELb1E19rocblas_complex_numIdEPKS1_S3_PS1_EviT_T9_T10_S5_lS7_S5_lS6_T11_S5_li.num_named_barrier, 0
	.set _ZL29rocblas_internal_gemmt_kernelIiLi16ELi32ELi8ELc78ELc67ELc76ELb0ELb1E19rocblas_complex_numIdEPKS1_S3_PS1_EviT_T9_T10_S5_lS7_S5_lS6_T11_S5_li.private_seg_size, 0
	.set _ZL29rocblas_internal_gemmt_kernelIiLi16ELi32ELi8ELc78ELc67ELc76ELb0ELb1E19rocblas_complex_numIdEPKS1_S3_PS1_EviT_T9_T10_S5_lS7_S5_lS6_T11_S5_li.uses_vcc, 1
	.set _ZL29rocblas_internal_gemmt_kernelIiLi16ELi32ELi8ELc78ELc67ELc76ELb0ELb1E19rocblas_complex_numIdEPKS1_S3_PS1_EviT_T9_T10_S5_lS7_S5_lS6_T11_S5_li.uses_flat_scratch, 0
	.set _ZL29rocblas_internal_gemmt_kernelIiLi16ELi32ELi8ELc78ELc67ELc76ELb0ELb1E19rocblas_complex_numIdEPKS1_S3_PS1_EviT_T9_T10_S5_lS7_S5_lS6_T11_S5_li.has_dyn_sized_stack, 0
	.set _ZL29rocblas_internal_gemmt_kernelIiLi16ELi32ELi8ELc78ELc67ELc76ELb0ELb1E19rocblas_complex_numIdEPKS1_S3_PS1_EviT_T9_T10_S5_lS7_S5_lS6_T11_S5_li.has_recursion, 0
	.set _ZL29rocblas_internal_gemmt_kernelIiLi16ELi32ELi8ELc78ELc67ELc76ELb0ELb1E19rocblas_complex_numIdEPKS1_S3_PS1_EviT_T9_T10_S5_lS7_S5_lS6_T11_S5_li.has_indirect_call, 0
	.section	.AMDGPU.csdata,"",@progbits
; Kernel info:
; codeLenInByte = 3580
; TotalNumSgprs: 37
; NumVgprs: 127
; ScratchSize: 0
; MemoryBound: 1
; FloatMode: 240
; IeeeMode: 1
; LDSByteSize: 8192 bytes/workgroup (compile time only)
; SGPRBlocks: 0
; VGPRBlocks: 15
; NumSGPRsForWavesPerEU: 37
; NumVGPRsForWavesPerEU: 127
; Occupancy: 8
; WaveLimiterHint : 0
; COMPUTE_PGM_RSRC2:SCRATCH_EN: 0
; COMPUTE_PGM_RSRC2:USER_SGPR: 6
; COMPUTE_PGM_RSRC2:TRAP_HANDLER: 0
; COMPUTE_PGM_RSRC2:TGID_X_EN: 1
; COMPUTE_PGM_RSRC2:TGID_Y_EN: 1
; COMPUTE_PGM_RSRC2:TGID_Z_EN: 1
; COMPUTE_PGM_RSRC2:TIDIG_COMP_CNT: 1
	.section	.text._ZL29rocblas_internal_gemmt_kernelIiLi16ELi32ELi8ELc84ELc78ELc76ELb0ELb0E19rocblas_complex_numIdEPKS1_S3_PS1_EviT_T9_T10_S5_lS7_S5_lS6_T11_S5_li,"axG",@progbits,_ZL29rocblas_internal_gemmt_kernelIiLi16ELi32ELi8ELc84ELc78ELc76ELb0ELb0E19rocblas_complex_numIdEPKS1_S3_PS1_EviT_T9_T10_S5_lS7_S5_lS6_T11_S5_li,comdat
	.globl	_ZL29rocblas_internal_gemmt_kernelIiLi16ELi32ELi8ELc84ELc78ELc76ELb0ELb0E19rocblas_complex_numIdEPKS1_S3_PS1_EviT_T9_T10_S5_lS7_S5_lS6_T11_S5_li ; -- Begin function _ZL29rocblas_internal_gemmt_kernelIiLi16ELi32ELi8ELc84ELc78ELc76ELb0ELb0E19rocblas_complex_numIdEPKS1_S3_PS1_EviT_T9_T10_S5_lS7_S5_lS6_T11_S5_li
	.p2align	8
	.type	_ZL29rocblas_internal_gemmt_kernelIiLi16ELi32ELi8ELc84ELc78ELc76ELb0ELb0E19rocblas_complex_numIdEPKS1_S3_PS1_EviT_T9_T10_S5_lS7_S5_lS6_T11_S5_li,@function
_ZL29rocblas_internal_gemmt_kernelIiLi16ELi32ELi8ELc84ELc78ELc76ELb0ELb0E19rocblas_complex_numIdEPKS1_S3_PS1_EviT_T9_T10_S5_lS7_S5_lS6_T11_S5_li: ; @_ZL29rocblas_internal_gemmt_kernelIiLi16ELi32ELi8ELc84ELc78ELc76ELb0ELb0E19rocblas_complex_numIdEPKS1_S3_PS1_EviT_T9_T10_S5_lS7_S5_lS6_T11_S5_li
; %bb.0:
	s_load_dwordx4 s[20:23], s[4:5], 0x38
	s_waitcnt lgkmcnt(0)
	s_load_dwordx4 s[12:15], s[22:23], 0x0
	s_clause 0x1
	s_load_dwordx4 s[0:3], s[4:5], 0x8
	s_load_dwordx2 s[10:11], s[4:5], 0x0
	s_waitcnt lgkmcnt(0)
	s_load_dwordx4 s[16:19], s[0:1], 0x0
	v_cmp_eq_f64_e64 s22, s[12:13], 1.0
	v_cmp_eq_f64_e64 s9, s[14:15], 0
	s_and_b32 s0, s22, s9
	s_andn2_b32 vcc_lo, exec_lo, s0
	s_mov_b32 s0, -1
	s_cbranch_vccnz .LBB120_3
; %bb.1:
	s_cmp_lg_u32 s11, 0
	s_cbranch_scc0 .LBB120_31
; %bb.2:
	s_waitcnt lgkmcnt(0)
	v_cmp_neq_f64_e64 s0, s[16:17], 0
	v_cmp_neq_f64_e64 s1, s[18:19], 0
	s_or_b32 s0, s0, s1
.LBB120_3:
	s_and_b32 vcc_lo, exec_lo, s0
	s_cbranch_vccz .LBB120_32
; %bb.4:
	s_waitcnt lgkmcnt(0)
	v_cmp_eq_f64_e64 s0, s[16:17], 0
	v_cmp_eq_f64_e64 s1, s[18:19], 0
	s_load_dwordx2 s[22:23], s[4:5], 0x48
	s_lshl_b32 s6, s6, 5
	s_lshl_b32 s7, s7, 5
	v_mov_b32_e32 v22, 0
	v_mov_b32_e32 v24, 0
	;; [unrolled: 1-line block ×16, first 2 shown]
	s_mov_b32 s28, 0
	s_and_b32 s0, s0, s1
	s_cmp_lt_i32 s11, 1
	s_cselect_b32 s1, -1, 0
	s_or_b32 s0, s0, s1
	s_and_b32 vcc_lo, exec_lo, s0
	s_cbranch_vccnz .LBB120_15
; %bb.5:
	s_clause 0x2
	s_load_dword s0, s[4:5], 0x18
	s_load_dwordx4 s[24:27], s[4:5], 0x20
	s_load_dword s1, s[4:5], 0x30
	v_lshl_add_u32 v2, v1, 4, v0
	v_and_b32_e32 v26, 7, v0
	s_mul_i32 s21, s21, s8
	v_mov_b32_e32 v10, 0
	v_mov_b32_e32 v12, 0
	v_and_b32_e32 v3, 31, v2
	v_lshrrev_b32_e32 v4, 3, v2
	v_lshrrev_b32_e32 v29, 5, v2
	v_lshlrev_b32_e32 v6, 4, v26
	v_mov_b32_e32 v20, 0
	v_add_nc_u32_e32 v2, s6, v3
	v_or_b32_e32 v7, s6, v3
	v_lshlrev_b32_e32 v8, 4, v3
	v_add_nc_u32_e32 v5, s7, v4
	v_lshl_or_b32 v9, v4, 7, v6
	v_mov_b32_e32 v18, 0
	v_cmp_gt_i32_e32 vcc_lo, s10, v7
	s_waitcnt lgkmcnt(0)
	v_mad_i64_i32 v[2:3], null, s0, v2, 0
	v_cmp_gt_i32_e64 s0, s10, v5
	s_mul_i32 s25, s25, s8
	s_mul_hi_u32 s29, s24, s8
	v_mad_i64_i32 v[4:5], null, s1, v5, 0
	s_mul_i32 s24, s24, s8
	v_lshlrev_b64 v[2:3], 4, v[2:3]
	s_add_i32 s25, s29, s25
	v_lshl_or_b32 v30, v29, 9, v8
	s_lshl_b64 s[24:25], s[24:25], 4
	v_mov_b32_e32 v16, 0
	v_mov_b32_e32 v14, 0
	v_add_co_u32 v7, s1, v2, s24
	v_add_co_ci_u32_e64 v8, null, s25, v3, s1
	s_mul_hi_u32 s1, s20, s8
	v_lshlrev_b64 v[2:3], 4, v[4:5]
	s_add_i32 s21, s1, s21
	s_mul_i32 s20, s20, s8
	v_lshlrev_b32_e32 v4, 4, v29
	s_lshl_b64 s[20:21], s[20:21], 4
	v_mov_b32_e32 v24, 0
	v_add_co_u32 v2, s1, v2, s20
	v_add_co_ci_u32_e64 v3, null, s21, v3, s1
	v_add_co_u32 v4, s1, v7, v4
	v_add_co_ci_u32_e64 v5, null, 0, v8, s1
	;; [unrolled: 2-line block ×4, first 2 shown]
	v_add_co_u32 v8, s1, s26, v2
	v_mov_b32_e32 v22, 0
	v_lshlrev_b32_e32 v27, 4, v0
	v_lshl_add_u32 v28, v1, 7, 0x1000
	v_add_nc_u32_e32 v31, 0x1000, v9
	v_add_co_ci_u32_e64 v9, null, s27, v3, s1
	v_mov_b32_e32 v11, 0
	v_mov_b32_e32 v13, 0
	;; [unrolled: 1-line block ×9, first 2 shown]
	s_xor_b32 s1, vcc_lo, -1
	s_xor_b32 s0, s0, -1
	s_branch .LBB120_7
.LBB120_6:                              ;   in Loop: Header=BB120_7 Depth=1
	s_or_b32 exec_lo, exec_lo, s2
	s_waitcnt lgkmcnt(0)
	s_barrier
	buffer_gl0_inv
	ds_read_b128 v[32:35], v28
	ds_read_b128 v[36:39], v28 offset:16
	ds_read_b128 v[40:43], v28 offset:32
	;; [unrolled: 1-line block ×3, first 2 shown]
	ds_read_b128 v[48:51], v27
	v_add_co_u32 v6, vcc_lo, 0x80, v6
	v_add_co_ci_u32_e64 v7, null, 0, v7, vcc_lo
	v_add_co_u32 v8, vcc_lo, 0x80, v8
	v_add_co_ci_u32_e64 v9, null, 0, v9, vcc_lo
	s_add_i32 s28, s28, 8
	s_cmp_lt_i32 s28, s11
	s_waitcnt lgkmcnt(0)
	v_mul_f64 v[3:4], v[34:35], v[50:51]
	v_mul_f64 v[52:53], v[32:33], v[50:51]
	v_fma_f64 v[3:4], v[32:33], v[48:49], -v[3:4]
	v_fma_f64 v[52:53], v[34:35], v[48:49], v[52:53]
	v_add_f64 v[3:4], v[22:23], v[3:4]
	v_add_f64 v[52:53], v[52:53], v[24:25]
	ds_read_b128 v[22:25], v27 offset:256
	s_waitcnt lgkmcnt(0)
	v_mul_f64 v[54:55], v[34:35], v[24:25]
	v_fma_f64 v[54:55], v[32:33], v[22:23], -v[54:55]
	v_mul_f64 v[32:33], v[32:33], v[24:25]
	v_fma_f64 v[32:33], v[34:35], v[22:23], v[32:33]
	v_add_f64 v[34:35], v[14:15], v[54:55]
	v_add_f64 v[32:33], v[32:33], v[16:17]
	ds_read_b128 v[14:17], v28 offset:2048
	s_waitcnt lgkmcnt(0)
	v_mul_f64 v[54:55], v[16:17], v[50:51]
	v_mul_f64 v[50:51], v[14:15], v[50:51]
	v_fma_f64 v[54:55], v[14:15], v[48:49], -v[54:55]
	v_fma_f64 v[48:49], v[16:17], v[48:49], v[50:51]
	v_add_f64 v[50:51], v[18:19], v[54:55]
	v_mul_f64 v[18:19], v[16:17], v[24:25]
	v_add_f64 v[48:49], v[48:49], v[20:21]
	v_fma_f64 v[18:19], v[14:15], v[22:23], -v[18:19]
	v_mul_f64 v[14:15], v[14:15], v[24:25]
	v_fma_f64 v[14:15], v[16:17], v[22:23], v[14:15]
	v_add_f64 v[22:23], v[12:13], v[18:19]
	v_add_f64 v[24:25], v[14:15], v[10:11]
	ds_read_b128 v[10:13], v27 offset:512
	s_waitcnt lgkmcnt(0)
	v_mul_f64 v[14:15], v[38:39], v[12:13]
	v_mul_f64 v[16:17], v[36:37], v[12:13]
	v_fma_f64 v[14:15], v[36:37], v[10:11], -v[14:15]
	v_fma_f64 v[16:17], v[38:39], v[10:11], v[16:17]
	v_add_f64 v[3:4], v[3:4], v[14:15]
	v_add_f64 v[52:53], v[16:17], v[52:53]
	ds_read_b128 v[14:17], v27 offset:768
	s_waitcnt lgkmcnt(0)
	v_mul_f64 v[18:19], v[38:39], v[16:17]
	v_mul_f64 v[20:21], v[36:37], v[16:17]
	v_fma_f64 v[18:19], v[36:37], v[14:15], -v[18:19]
	;; [unrolled: 8-line block ×3, first 2 shown]
	v_fma_f64 v[10:11], v[20:21], v[10:11], v[12:13]
	v_mul_f64 v[12:13], v[18:19], v[16:17]
	v_add_f64 v[36:37], v[50:51], v[36:37]
	v_add_f64 v[38:39], v[10:11], v[48:49]
	v_mul_f64 v[10:11], v[20:21], v[16:17]
	v_fma_f64 v[12:13], v[20:21], v[14:15], v[12:13]
	v_fma_f64 v[10:11], v[18:19], v[14:15], -v[10:11]
	v_add_f64 v[24:25], v[12:13], v[24:25]
	v_add_f64 v[22:23], v[22:23], v[10:11]
	ds_read_b128 v[10:13], v27 offset:1024
	s_waitcnt lgkmcnt(0)
	v_mul_f64 v[14:15], v[42:43], v[12:13]
	v_mul_f64 v[16:17], v[40:41], v[12:13]
	v_fma_f64 v[14:15], v[40:41], v[10:11], -v[14:15]
	v_fma_f64 v[16:17], v[42:43], v[10:11], v[16:17]
	v_add_f64 v[3:4], v[3:4], v[14:15]
	v_add_f64 v[48:49], v[16:17], v[52:53]
	ds_read_b128 v[14:17], v27 offset:1280
	s_waitcnt lgkmcnt(0)
	v_mul_f64 v[18:19], v[42:43], v[16:17]
	v_mul_f64 v[20:21], v[40:41], v[16:17]
	v_fma_f64 v[18:19], v[40:41], v[14:15], -v[18:19]
	v_fma_f64 v[20:21], v[42:43], v[14:15], v[20:21]
	;; [unrolled: 8-line block ×3, first 2 shown]
	v_mul_f64 v[12:13], v[18:19], v[16:17]
	v_add_f64 v[36:37], v[36:37], v[40:41]
	v_add_f64 v[38:39], v[10:11], v[38:39]
	v_mul_f64 v[10:11], v[20:21], v[16:17]
	v_fma_f64 v[12:13], v[20:21], v[14:15], v[12:13]
	v_fma_f64 v[10:11], v[18:19], v[14:15], -v[10:11]
	v_add_f64 v[24:25], v[12:13], v[24:25]
	v_add_f64 v[22:23], v[22:23], v[10:11]
	ds_read_b128 v[10:13], v27 offset:1536
	s_waitcnt lgkmcnt(0)
	v_mul_f64 v[14:15], v[46:47], v[12:13]
	v_mul_f64 v[16:17], v[44:45], v[12:13]
	v_fma_f64 v[14:15], v[44:45], v[10:11], -v[14:15]
	v_fma_f64 v[16:17], v[46:47], v[10:11], v[16:17]
	v_add_f64 v[3:4], v[3:4], v[14:15]
	v_add_f64 v[40:41], v[16:17], v[48:49]
	ds_read_b128 v[14:17], v27 offset:1792
	s_waitcnt lgkmcnt(0)
	v_mul_f64 v[18:19], v[46:47], v[16:17]
	v_mul_f64 v[20:21], v[44:45], v[16:17]
	v_fma_f64 v[18:19], v[44:45], v[14:15], -v[18:19]
	v_fma_f64 v[20:21], v[46:47], v[14:15], v[20:21]
	;; [unrolled: 8-line block ×3, first 2 shown]
	v_mul_f64 v[12:13], v[18:19], v[16:17]
	v_add_f64 v[36:37], v[36:37], v[42:43]
	v_add_f64 v[38:39], v[10:11], v[38:39]
	v_mul_f64 v[10:11], v[20:21], v[16:17]
	v_fma_f64 v[12:13], v[20:21], v[14:15], v[12:13]
	v_fma_f64 v[10:11], v[18:19], v[14:15], -v[10:11]
	v_add_f64 v[24:25], v[12:13], v[24:25]
	v_add_f64 v[22:23], v[22:23], v[10:11]
	ds_read_b128 v[10:13], v28 offset:64
	ds_read_b128 v[14:17], v27 offset:2048
	s_waitcnt lgkmcnt(0)
	v_mul_f64 v[18:19], v[12:13], v[16:17]
	v_mul_f64 v[20:21], v[10:11], v[16:17]
	v_fma_f64 v[18:19], v[10:11], v[14:15], -v[18:19]
	v_fma_f64 v[20:21], v[12:13], v[14:15], v[20:21]
	v_add_f64 v[3:4], v[3:4], v[18:19]
	v_add_f64 v[40:41], v[20:21], v[40:41]
	ds_read_b128 v[18:21], v27 offset:2304
	s_waitcnt lgkmcnt(0)
	v_mul_f64 v[42:43], v[12:13], v[20:21]
	v_fma_f64 v[42:43], v[10:11], v[18:19], -v[42:43]
	v_mul_f64 v[10:11], v[10:11], v[20:21]
	v_add_f64 v[34:35], v[34:35], v[42:43]
	v_fma_f64 v[10:11], v[12:13], v[18:19], v[10:11]
	v_add_f64 v[32:33], v[10:11], v[32:33]
	ds_read_b128 v[10:13], v28 offset:2112
	s_waitcnt lgkmcnt(0)
	v_mul_f64 v[42:43], v[12:13], v[16:17]
	v_mul_f64 v[16:17], v[10:11], v[16:17]
	v_fma_f64 v[42:43], v[10:11], v[14:15], -v[42:43]
	v_fma_f64 v[14:15], v[12:13], v[14:15], v[16:17]
	v_add_f64 v[36:37], v[36:37], v[42:43]
	v_add_f64 v[38:39], v[14:15], v[38:39]
	v_mul_f64 v[14:15], v[12:13], v[20:21]
	v_fma_f64 v[14:15], v[10:11], v[18:19], -v[14:15]
	v_mul_f64 v[10:11], v[10:11], v[20:21]
	v_add_f64 v[22:23], v[22:23], v[14:15]
	v_fma_f64 v[10:11], v[12:13], v[18:19], v[10:11]
	v_add_f64 v[24:25], v[10:11], v[24:25]
	ds_read_b128 v[10:13], v28 offset:80
	ds_read_b128 v[14:17], v27 offset:2560
	s_waitcnt lgkmcnt(0)
	v_mul_f64 v[18:19], v[12:13], v[16:17]
	v_mul_f64 v[20:21], v[10:11], v[16:17]
	v_fma_f64 v[18:19], v[10:11], v[14:15], -v[18:19]
	v_fma_f64 v[20:21], v[12:13], v[14:15], v[20:21]
	v_add_f64 v[3:4], v[3:4], v[18:19]
	v_add_f64 v[40:41], v[20:21], v[40:41]
	ds_read_b128 v[18:21], v27 offset:2816
	s_waitcnt lgkmcnt(0)
	v_mul_f64 v[42:43], v[12:13], v[20:21]
	v_fma_f64 v[42:43], v[10:11], v[18:19], -v[42:43]
	v_mul_f64 v[10:11], v[10:11], v[20:21]
	v_add_f64 v[34:35], v[34:35], v[42:43]
	v_fma_f64 v[10:11], v[12:13], v[18:19], v[10:11]
	v_add_f64 v[32:33], v[10:11], v[32:33]
	ds_read_b128 v[10:13], v28 offset:2128
	s_waitcnt lgkmcnt(0)
	v_mul_f64 v[42:43], v[12:13], v[16:17]
	v_mul_f64 v[16:17], v[10:11], v[16:17]
	v_fma_f64 v[42:43], v[10:11], v[14:15], -v[42:43]
	v_fma_f64 v[14:15], v[12:13], v[14:15], v[16:17]
	v_add_f64 v[36:37], v[36:37], v[42:43]
	v_add_f64 v[38:39], v[14:15], v[38:39]
	v_mul_f64 v[14:15], v[12:13], v[20:21]
	v_fma_f64 v[14:15], v[10:11], v[18:19], -v[14:15]
	v_mul_f64 v[10:11], v[10:11], v[20:21]
	v_add_f64 v[22:23], v[22:23], v[14:15]
	v_fma_f64 v[10:11], v[12:13], v[18:19], v[10:11]
	;; [unrolled: 31-line block ×3, first 2 shown]
	v_add_f64 v[48:49], v[10:11], v[24:25]
	ds_read_b128 v[10:13], v28 offset:112
	ds_read_b128 v[18:21], v27 offset:3584
	;; [unrolled: 1-line block ×3, first 2 shown]
	s_waitcnt lgkmcnt(1)
	v_mul_f64 v[14:15], v[12:13], v[20:21]
	v_mul_f64 v[16:17], v[10:11], v[20:21]
	v_fma_f64 v[14:15], v[10:11], v[18:19], -v[14:15]
	v_fma_f64 v[16:17], v[12:13], v[18:19], v[16:17]
	v_add_f64 v[22:23], v[3:4], v[14:15]
	s_waitcnt lgkmcnt(0)
	v_mul_f64 v[3:4], v[12:13], v[34:35]
	v_add_f64 v[24:25], v[16:17], v[40:41]
	v_fma_f64 v[3:4], v[10:11], v[32:33], -v[3:4]
	v_mul_f64 v[10:11], v[10:11], v[34:35]
	v_add_f64 v[14:15], v[42:43], v[3:4]
	v_fma_f64 v[10:11], v[12:13], v[32:33], v[10:11]
	v_add_f64 v[16:17], v[10:11], v[44:45]
	ds_read_b128 v[10:13], v28 offset:2160
	s_waitcnt lgkmcnt(0)
	s_barrier
	buffer_gl0_inv
	v_mul_f64 v[3:4], v[12:13], v[20:21]
	v_mul_f64 v[20:21], v[10:11], v[20:21]
	v_fma_f64 v[3:4], v[10:11], v[18:19], -v[3:4]
	v_fma_f64 v[20:21], v[12:13], v[18:19], v[20:21]
	v_add_f64 v[18:19], v[36:37], v[3:4]
	v_mul_f64 v[3:4], v[12:13], v[34:35]
	v_add_f64 v[20:21], v[20:21], v[38:39]
	v_fma_f64 v[3:4], v[10:11], v[32:33], -v[3:4]
	v_mul_f64 v[10:11], v[10:11], v[34:35]
	v_fma_f64 v[10:11], v[12:13], v[32:33], v[10:11]
	v_add_f64 v[12:13], v[46:47], v[3:4]
	v_add_f64 v[10:11], v[10:11], v[48:49]
	s_cbranch_scc0 .LBB120_15
.LBB120_7:                              ; =>This Inner Loop Header: Depth=1
	v_add_nc_u32_e32 v3, s28, v29
	v_cmp_le_i32_e32 vcc_lo, s11, v3
	s_or_b32 s2, s1, vcc_lo
	s_and_saveexec_b32 s3, s2
	s_xor_b32 s2, exec_lo, s3
	s_cbranch_execz .LBB120_9
; %bb.8:                                ;   in Loop: Header=BB120_7 Depth=1
	v_mov_b32_e32 v3, v2
	v_mov_b32_e32 v4, v2
	;; [unrolled: 1-line block ×3, first 2 shown]
	ds_write_b128 v30, v[2:5]
.LBB120_9:                              ;   in Loop: Header=BB120_7 Depth=1
	s_andn2_saveexec_b32 s2, s2
	s_cbranch_execz .LBB120_11
; %bb.10:                               ;   in Loop: Header=BB120_7 Depth=1
	global_load_dwordx4 v[32:35], v[6:7], off
	s_waitcnt vmcnt(0)
	ds_write2_b64 v30, v[32:33], v[34:35] offset1:1
.LBB120_11:                             ;   in Loop: Header=BB120_7 Depth=1
	s_or_b32 exec_lo, exec_lo, s2
	v_add_nc_u32_e32 v3, s28, v26
	v_cmp_le_i32_e32 vcc_lo, s11, v3
	s_or_b32 s2, vcc_lo, s0
	s_and_saveexec_b32 s3, s2
	s_xor_b32 s2, exec_lo, s3
	s_cbranch_execz .LBB120_13
; %bb.12:                               ;   in Loop: Header=BB120_7 Depth=1
	v_mov_b32_e32 v3, v2
	v_mov_b32_e32 v4, v2
	;; [unrolled: 1-line block ×3, first 2 shown]
	ds_write_b128 v31, v[2:5]
.LBB120_13:                             ;   in Loop: Header=BB120_7 Depth=1
	s_andn2_saveexec_b32 s2, s2
	s_cbranch_execz .LBB120_6
; %bb.14:                               ;   in Loop: Header=BB120_7 Depth=1
	global_load_dwordx4 v[32:35], v[8:9], off
	s_waitcnt vmcnt(0)
	ds_write2_b64 v31, v[32:33], v[34:35] offset1:1
	s_branch .LBB120_6
.LBB120_15:
	s_clause 0x1
	s_load_dword s3, s[4:5], 0x50
	s_load_dwordx2 s[0:1], s[4:5], 0x58
	v_cmp_neq_f64_e64 s2, s[12:13], 0
	v_add_nc_u32_e32 v27, s7, v1
	v_add_nc_u32_e32 v4, s6, v0
	v_cmp_le_i32_e32 vcc_lo, v27, v4
	v_ashrrev_i32_e32 v5, 31, v4
	s_waitcnt lgkmcnt(0)
	v_mad_i64_i32 v[0:1], null, v27, s3, 0
	s_mul_i32 s1, s1, s8
	s_mul_hi_u32 s5, s0, s8
	s_mul_i32 s4, s0, s8
	s_add_i32 s5, s5, s1
	v_cmp_gt_i32_e64 s0, s10, v4
	s_lshl_b64 s[4:5], s[4:5], 4
	v_lshlrev_b64 v[0:1], 4, v[0:1]
	s_add_u32 s4, s22, s4
	s_addc_u32 s5, s23, s5
	s_xor_b32 s6, s9, -1
	s_or_b32 s2, s2, s6
	v_add_co_u32 v8, s1, s4, v0
	v_add_co_ci_u32_e64 v9, null, s5, v1, s1
	v_cndmask_b32_e64 v26, 0, 1, s2
	s_and_b32 s6, vcc_lo, s0
	s_and_saveexec_b32 s1, s6
	s_cbranch_execz .LBB120_19
; %bb.16:
	v_mul_f64 v[0:1], s[18:19], v[24:25]
	v_mul_f64 v[2:3], s[16:17], v[24:25]
	v_lshlrev_b64 v[6:7], 4, v[4:5]
	v_add_co_u32 v6, vcc_lo, v8, v6
	v_add_co_ci_u32_e64 v7, null, v9, v7, vcc_lo
	s_andn2_b32 vcc_lo, exec_lo, s2
	v_fma_f64 v[0:1], s[16:17], v[22:23], -v[0:1]
	v_fma_f64 v[2:3], s[18:19], v[22:23], v[2:3]
	s_cbranch_vccnz .LBB120_18
; %bb.17:
	global_load_dwordx4 v[22:25], v[6:7], off
	s_waitcnt vmcnt(0)
	v_mul_f64 v[28:29], s[14:15], v[24:25]
	v_mul_f64 v[24:25], s[12:13], v[24:25]
	v_fma_f64 v[28:29], s[12:13], v[22:23], -v[28:29]
	v_fma_f64 v[22:23], s[14:15], v[22:23], v[24:25]
	v_add_f64 v[0:1], v[0:1], v[28:29]
	v_add_f64 v[2:3], v[2:3], v[22:23]
.LBB120_18:
	global_store_dwordx4 v[6:7], v[0:3], off
.LBB120_19:
	s_or_b32 exec_lo, exec_lo, s1
	v_add_nc_u32_e32 v6, 16, v4
	v_cmp_le_i32_e32 vcc_lo, v27, v6
	v_cmp_gt_i32_e64 s1, s10, v6
	v_ashrrev_i32_e32 v7, 31, v6
	s_and_b32 s2, vcc_lo, s1
	s_and_saveexec_b32 s6, s2
	s_cbranch_execz .LBB120_23
; %bb.20:
	v_mul_f64 v[0:1], s[18:19], v[16:17]
	v_mul_f64 v[2:3], s[16:17], v[16:17]
	v_cmp_ne_u32_e32 vcc_lo, 1, v26
	s_and_b32 vcc_lo, exec_lo, vcc_lo
	v_fma_f64 v[0:1], s[16:17], v[14:15], -v[0:1]
	v_fma_f64 v[2:3], s[18:19], v[14:15], v[2:3]
	v_lshlrev_b64 v[14:15], 4, v[6:7]
	v_add_co_u32 v8, s2, v8, v14
	v_add_co_ci_u32_e64 v9, null, v9, v15, s2
	s_cbranch_vccnz .LBB120_22
; %bb.21:
	global_load_dwordx4 v[14:17], v[8:9], off
	s_waitcnt vmcnt(0)
	v_mul_f64 v[22:23], s[14:15], v[16:17]
	v_mul_f64 v[16:17], s[12:13], v[16:17]
	v_fma_f64 v[22:23], s[12:13], v[14:15], -v[22:23]
	v_fma_f64 v[14:15], s[14:15], v[14:15], v[16:17]
	v_add_f64 v[0:1], v[0:1], v[22:23]
	v_add_f64 v[2:3], v[2:3], v[14:15]
.LBB120_22:
	global_store_dwordx4 v[8:9], v[0:3], off
.LBB120_23:
	s_or_b32 exec_lo, exec_lo, s6
	v_add_nc_u32_e32 v14, 16, v27
	v_mad_i64_i32 v[0:1], null, v14, s3, 0
	v_cmp_le_i32_e32 vcc_lo, v14, v4
	s_and_b32 s0, vcc_lo, s0
	v_lshlrev_b64 v[0:1], 4, v[0:1]
	v_add_co_u32 v8, s2, s4, v0
	v_add_co_ci_u32_e64 v9, null, s5, v1, s2
	s_and_saveexec_b32 s2, s0
	s_cbranch_execz .LBB120_27
; %bb.24:
	v_mul_f64 v[0:1], s[18:19], v[20:21]
	v_mul_f64 v[2:3], s[16:17], v[20:21]
	v_lshlrev_b64 v[4:5], 4, v[4:5]
	v_cmp_ne_u32_e32 vcc_lo, 1, v26
	s_and_b32 vcc_lo, exec_lo, vcc_lo
	v_add_co_u32 v4, s0, v8, v4
	v_add_co_ci_u32_e64 v5, null, v9, v5, s0
	v_fma_f64 v[0:1], s[16:17], v[18:19], -v[0:1]
	v_fma_f64 v[2:3], s[18:19], v[18:19], v[2:3]
	s_cbranch_vccnz .LBB120_26
; %bb.25:
	global_load_dwordx4 v[15:18], v[4:5], off
	s_waitcnt vmcnt(0)
	v_mul_f64 v[19:20], s[14:15], v[17:18]
	v_mul_f64 v[17:18], s[12:13], v[17:18]
	v_fma_f64 v[19:20], s[12:13], v[15:16], -v[19:20]
	v_fma_f64 v[15:16], s[14:15], v[15:16], v[17:18]
	v_add_f64 v[0:1], v[0:1], v[19:20]
	v_add_f64 v[2:3], v[2:3], v[15:16]
.LBB120_26:
	global_store_dwordx4 v[4:5], v[0:3], off
.LBB120_27:
	s_or_b32 exec_lo, exec_lo, s2
	v_cmp_le_i32_e32 vcc_lo, v14, v6
	s_and_b32 s0, vcc_lo, s1
	s_and_saveexec_b32 s1, s0
	s_cbranch_execz .LBB120_32
; %bb.28:
	v_mul_f64 v[0:1], s[18:19], v[10:11]
	v_mul_f64 v[2:3], s[16:17], v[10:11]
	v_lshlrev_b64 v[4:5], 4, v[6:7]
	v_cmp_ne_u32_e32 vcc_lo, 1, v26
	s_and_b32 vcc_lo, exec_lo, vcc_lo
	v_add_co_u32 v4, s0, v8, v4
	v_add_co_ci_u32_e64 v5, null, v9, v5, s0
	v_fma_f64 v[0:1], s[16:17], v[12:13], -v[0:1]
	v_fma_f64 v[2:3], s[18:19], v[12:13], v[2:3]
	s_cbranch_vccnz .LBB120_30
; %bb.29:
	global_load_dwordx4 v[6:9], v[4:5], off
	s_waitcnt vmcnt(0)
	v_mul_f64 v[10:11], s[14:15], v[8:9]
	v_mul_f64 v[8:9], s[12:13], v[8:9]
	v_fma_f64 v[10:11], s[12:13], v[6:7], -v[10:11]
	v_fma_f64 v[6:7], s[14:15], v[6:7], v[8:9]
	v_add_f64 v[0:1], v[0:1], v[10:11]
	v_add_f64 v[2:3], v[2:3], v[6:7]
.LBB120_30:
	global_store_dwordx4 v[4:5], v[0:3], off
	s_endpgm
.LBB120_31:
.LBB120_32:
	s_endpgm
	.section	.rodata,"a",@progbits
	.p2align	6, 0x0
	.amdhsa_kernel _ZL29rocblas_internal_gemmt_kernelIiLi16ELi32ELi8ELc84ELc78ELc76ELb0ELb0E19rocblas_complex_numIdEPKS1_S3_PS1_EviT_T9_T10_S5_lS7_S5_lS6_T11_S5_li
		.amdhsa_group_segment_fixed_size 8192
		.amdhsa_private_segment_fixed_size 0
		.amdhsa_kernarg_size 100
		.amdhsa_user_sgpr_count 6
		.amdhsa_user_sgpr_private_segment_buffer 1
		.amdhsa_user_sgpr_dispatch_ptr 0
		.amdhsa_user_sgpr_queue_ptr 0
		.amdhsa_user_sgpr_kernarg_segment_ptr 1
		.amdhsa_user_sgpr_dispatch_id 0
		.amdhsa_user_sgpr_flat_scratch_init 0
		.amdhsa_user_sgpr_private_segment_size 0
		.amdhsa_wavefront_size32 1
		.amdhsa_uses_dynamic_stack 0
		.amdhsa_system_sgpr_private_segment_wavefront_offset 0
		.amdhsa_system_sgpr_workgroup_id_x 1
		.amdhsa_system_sgpr_workgroup_id_y 1
		.amdhsa_system_sgpr_workgroup_id_z 1
		.amdhsa_system_sgpr_workgroup_info 0
		.amdhsa_system_vgpr_workitem_id 1
		.amdhsa_next_free_vgpr 56
		.amdhsa_next_free_sgpr 30
		.amdhsa_reserve_vcc 1
		.amdhsa_reserve_flat_scratch 0
		.amdhsa_float_round_mode_32 0
		.amdhsa_float_round_mode_16_64 0
		.amdhsa_float_denorm_mode_32 3
		.amdhsa_float_denorm_mode_16_64 3
		.amdhsa_dx10_clamp 1
		.amdhsa_ieee_mode 1
		.amdhsa_fp16_overflow 0
		.amdhsa_workgroup_processor_mode 1
		.amdhsa_memory_ordered 1
		.amdhsa_forward_progress 1
		.amdhsa_shared_vgpr_count 0
		.amdhsa_exception_fp_ieee_invalid_op 0
		.amdhsa_exception_fp_denorm_src 0
		.amdhsa_exception_fp_ieee_div_zero 0
		.amdhsa_exception_fp_ieee_overflow 0
		.amdhsa_exception_fp_ieee_underflow 0
		.amdhsa_exception_fp_ieee_inexact 0
		.amdhsa_exception_int_div_zero 0
	.end_amdhsa_kernel
	.section	.text._ZL29rocblas_internal_gemmt_kernelIiLi16ELi32ELi8ELc84ELc78ELc76ELb0ELb0E19rocblas_complex_numIdEPKS1_S3_PS1_EviT_T9_T10_S5_lS7_S5_lS6_T11_S5_li,"axG",@progbits,_ZL29rocblas_internal_gemmt_kernelIiLi16ELi32ELi8ELc84ELc78ELc76ELb0ELb0E19rocblas_complex_numIdEPKS1_S3_PS1_EviT_T9_T10_S5_lS7_S5_lS6_T11_S5_li,comdat
.Lfunc_end120:
	.size	_ZL29rocblas_internal_gemmt_kernelIiLi16ELi32ELi8ELc84ELc78ELc76ELb0ELb0E19rocblas_complex_numIdEPKS1_S3_PS1_EviT_T9_T10_S5_lS7_S5_lS6_T11_S5_li, .Lfunc_end120-_ZL29rocblas_internal_gemmt_kernelIiLi16ELi32ELi8ELc84ELc78ELc76ELb0ELb0E19rocblas_complex_numIdEPKS1_S3_PS1_EviT_T9_T10_S5_lS7_S5_lS6_T11_S5_li
                                        ; -- End function
	.set _ZL29rocblas_internal_gemmt_kernelIiLi16ELi32ELi8ELc84ELc78ELc76ELb0ELb0E19rocblas_complex_numIdEPKS1_S3_PS1_EviT_T9_T10_S5_lS7_S5_lS6_T11_S5_li.num_vgpr, 56
	.set _ZL29rocblas_internal_gemmt_kernelIiLi16ELi32ELi8ELc84ELc78ELc76ELb0ELb0E19rocblas_complex_numIdEPKS1_S3_PS1_EviT_T9_T10_S5_lS7_S5_lS6_T11_S5_li.num_agpr, 0
	.set _ZL29rocblas_internal_gemmt_kernelIiLi16ELi32ELi8ELc84ELc78ELc76ELb0ELb0E19rocblas_complex_numIdEPKS1_S3_PS1_EviT_T9_T10_S5_lS7_S5_lS6_T11_S5_li.numbered_sgpr, 30
	.set _ZL29rocblas_internal_gemmt_kernelIiLi16ELi32ELi8ELc84ELc78ELc76ELb0ELb0E19rocblas_complex_numIdEPKS1_S3_PS1_EviT_T9_T10_S5_lS7_S5_lS6_T11_S5_li.num_named_barrier, 0
	.set _ZL29rocblas_internal_gemmt_kernelIiLi16ELi32ELi8ELc84ELc78ELc76ELb0ELb0E19rocblas_complex_numIdEPKS1_S3_PS1_EviT_T9_T10_S5_lS7_S5_lS6_T11_S5_li.private_seg_size, 0
	.set _ZL29rocblas_internal_gemmt_kernelIiLi16ELi32ELi8ELc84ELc78ELc76ELb0ELb0E19rocblas_complex_numIdEPKS1_S3_PS1_EviT_T9_T10_S5_lS7_S5_lS6_T11_S5_li.uses_vcc, 1
	.set _ZL29rocblas_internal_gemmt_kernelIiLi16ELi32ELi8ELc84ELc78ELc76ELb0ELb0E19rocblas_complex_numIdEPKS1_S3_PS1_EviT_T9_T10_S5_lS7_S5_lS6_T11_S5_li.uses_flat_scratch, 0
	.set _ZL29rocblas_internal_gemmt_kernelIiLi16ELi32ELi8ELc84ELc78ELc76ELb0ELb0E19rocblas_complex_numIdEPKS1_S3_PS1_EviT_T9_T10_S5_lS7_S5_lS6_T11_S5_li.has_dyn_sized_stack, 0
	.set _ZL29rocblas_internal_gemmt_kernelIiLi16ELi32ELi8ELc84ELc78ELc76ELb0ELb0E19rocblas_complex_numIdEPKS1_S3_PS1_EviT_T9_T10_S5_lS7_S5_lS6_T11_S5_li.has_recursion, 0
	.set _ZL29rocblas_internal_gemmt_kernelIiLi16ELi32ELi8ELc84ELc78ELc76ELb0ELb0E19rocblas_complex_numIdEPKS1_S3_PS1_EviT_T9_T10_S5_lS7_S5_lS6_T11_S5_li.has_indirect_call, 0
	.section	.AMDGPU.csdata,"",@progbits
; Kernel info:
; codeLenInByte = 3560
; TotalNumSgprs: 32
; NumVgprs: 56
; ScratchSize: 0
; MemoryBound: 0
; FloatMode: 240
; IeeeMode: 1
; LDSByteSize: 8192 bytes/workgroup (compile time only)
; SGPRBlocks: 0
; VGPRBlocks: 6
; NumSGPRsForWavesPerEU: 32
; NumVGPRsForWavesPerEU: 56
; Occupancy: 16
; WaveLimiterHint : 0
; COMPUTE_PGM_RSRC2:SCRATCH_EN: 0
; COMPUTE_PGM_RSRC2:USER_SGPR: 6
; COMPUTE_PGM_RSRC2:TRAP_HANDLER: 0
; COMPUTE_PGM_RSRC2:TGID_X_EN: 1
; COMPUTE_PGM_RSRC2:TGID_Y_EN: 1
; COMPUTE_PGM_RSRC2:TGID_Z_EN: 1
; COMPUTE_PGM_RSRC2:TIDIG_COMP_CNT: 1
	.section	.text._ZL29rocblas_internal_gemmt_kernelIiLi16ELi32ELi8ELc84ELc84ELc76ELb0ELb0E19rocblas_complex_numIdEPKS1_S3_PS1_EviT_T9_T10_S5_lS7_S5_lS6_T11_S5_li,"axG",@progbits,_ZL29rocblas_internal_gemmt_kernelIiLi16ELi32ELi8ELc84ELc84ELc76ELb0ELb0E19rocblas_complex_numIdEPKS1_S3_PS1_EviT_T9_T10_S5_lS7_S5_lS6_T11_S5_li,comdat
	.globl	_ZL29rocblas_internal_gemmt_kernelIiLi16ELi32ELi8ELc84ELc84ELc76ELb0ELb0E19rocblas_complex_numIdEPKS1_S3_PS1_EviT_T9_T10_S5_lS7_S5_lS6_T11_S5_li ; -- Begin function _ZL29rocblas_internal_gemmt_kernelIiLi16ELi32ELi8ELc84ELc84ELc76ELb0ELb0E19rocblas_complex_numIdEPKS1_S3_PS1_EviT_T9_T10_S5_lS7_S5_lS6_T11_S5_li
	.p2align	8
	.type	_ZL29rocblas_internal_gemmt_kernelIiLi16ELi32ELi8ELc84ELc84ELc76ELb0ELb0E19rocblas_complex_numIdEPKS1_S3_PS1_EviT_T9_T10_S5_lS7_S5_lS6_T11_S5_li,@function
_ZL29rocblas_internal_gemmt_kernelIiLi16ELi32ELi8ELc84ELc84ELc76ELb0ELb0E19rocblas_complex_numIdEPKS1_S3_PS1_EviT_T9_T10_S5_lS7_S5_lS6_T11_S5_li: ; @_ZL29rocblas_internal_gemmt_kernelIiLi16ELi32ELi8ELc84ELc84ELc76ELb0ELb0E19rocblas_complex_numIdEPKS1_S3_PS1_EviT_T9_T10_S5_lS7_S5_lS6_T11_S5_li
; %bb.0:
	s_load_dwordx4 s[20:23], s[4:5], 0x38
	s_waitcnt lgkmcnt(0)
	s_load_dwordx4 s[12:15], s[22:23], 0x0
	s_clause 0x1
	s_load_dwordx4 s[0:3], s[4:5], 0x8
	s_load_dwordx2 s[10:11], s[4:5], 0x0
	s_waitcnt lgkmcnt(0)
	s_load_dwordx4 s[16:19], s[0:1], 0x0
	v_cmp_eq_f64_e64 s22, s[12:13], 1.0
	v_cmp_eq_f64_e64 s9, s[14:15], 0
	s_and_b32 s0, s22, s9
	s_andn2_b32 vcc_lo, exec_lo, s0
	s_mov_b32 s0, -1
	s_cbranch_vccnz .LBB121_3
; %bb.1:
	s_cmp_lg_u32 s11, 0
	s_cbranch_scc0 .LBB121_31
; %bb.2:
	s_waitcnt lgkmcnt(0)
	v_cmp_neq_f64_e64 s0, s[16:17], 0
	v_cmp_neq_f64_e64 s1, s[18:19], 0
	s_or_b32 s0, s0, s1
.LBB121_3:
	s_and_b32 vcc_lo, exec_lo, s0
	s_cbranch_vccz .LBB121_32
; %bb.4:
	s_waitcnt lgkmcnt(0)
	v_cmp_eq_f64_e64 s0, s[16:17], 0
	v_cmp_eq_f64_e64 s1, s[18:19], 0
	s_load_dwordx2 s[22:23], s[4:5], 0x48
	s_lshl_b32 s28, s6, 5
	s_lshl_b32 s29, s7, 5
	v_mov_b32_e32 v22, 0
	v_mov_b32_e32 v24, 0
	;; [unrolled: 1-line block ×16, first 2 shown]
	s_mov_b32 s30, 0
	s_and_b32 s0, s0, s1
	s_cmp_lt_i32 s11, 1
	s_cselect_b32 s1, -1, 0
	s_or_b32 s0, s0, s1
	s_and_b32 vcc_lo, exec_lo, s0
	s_cbranch_vccnz .LBB121_15
; %bb.5:
	s_load_dword s0, s[4:5], 0x18
	v_lshl_add_u32 v2, v1, 4, v0
	s_clause 0x1
	s_load_dwordx4 s[24:27], s[4:5], 0x20
	s_load_dword s6, s[4:5], 0x30
	v_and_b32_e32 v26, 7, v0
	v_mov_b32_e32 v10, 0
	v_mov_b32_e32 v12, 0
	v_and_b32_e32 v3, 31, v2
	v_lshrrev_b32_e32 v4, 3, v2
	v_lshlrev_b32_e32 v5, 4, v26
	v_lshrrev_b32_e32 v29, 5, v2
	v_mov_b32_e32 v20, 0
	v_or_b32_e32 v6, s28, v3
	v_lshlrev_b32_e32 v7, 4, v3
	v_add_nc_u32_e32 v3, s28, v3
	v_add_nc_u32_e32 v2, s29, v4
	v_lshl_or_b32 v8, v4, 7, v5
	v_cmp_gt_i32_e32 vcc_lo, s10, v6
	v_lshl_or_b32 v30, v29, 9, v7
	v_mov_b32_e32 v18, 0
	v_mov_b32_e32 v16, 0
	s_waitcnt lgkmcnt(0)
	v_mad_i64_i32 v[4:5], null, s0, v3, 0
	s_mul_i32 s1, s25, s8
	s_mul_hi_u32 s25, s24, s8
	v_mad_i64_i32 v[6:7], null, s6, v26, 0
	s_mul_i32 s24, s24, s8
	s_add_i32 s25, s25, s1
	v_lshlrev_b64 v[4:5], 4, v[4:5]
	s_lshl_b64 s[24:25], s[24:25], 4
	v_add_nc_u32_e32 v31, 0x1000, v8
	v_ashrrev_i32_e32 v3, 31, v2
	v_cmp_gt_i32_e64 s0, s10, v2
	v_mov_b32_e32 v14, 0
	v_add_co_u32 v8, s1, v4, s24
	v_add_co_ci_u32_e64 v9, null, s25, v5, s1
	s_mul_i32 s1, s21, s8
	s_mul_hi_u32 s21, s20, s8
	v_lshlrev_b64 v[4:5], 4, v[6:7]
	s_add_i32 s21, s21, s1
	s_mul_i32 s20, s20, s8
	v_lshlrev_b32_e32 v6, 4, v29
	s_lshl_b64 s[20:21], s[20:21], 4
	v_lshlrev_b64 v[2:3], 4, v[2:3]
	v_add_co_u32 v4, s1, s20, v4
	v_add_co_ci_u32_e64 v5, null, s21, v5, s1
	v_add_co_u32 v6, s1, v8, v6
	v_add_co_ci_u32_e64 v7, null, 0, v9, s1
	;; [unrolled: 2-line block ×4, first 2 shown]
	v_add_co_u32 v8, s1, s26, v2
	v_mov_b32_e32 v24, 0
	v_mov_b32_e32 v22, 0
	v_lshlrev_b32_e32 v27, 4, v0
	v_lshl_add_u32 v28, v1, 7, 0x1000
	v_add_co_ci_u32_e64 v9, null, s27, v3, s1
	v_mov_b32_e32 v11, 0
	v_mov_b32_e32 v13, 0
	v_mov_b32_e32 v21, 0
	v_mov_b32_e32 v19, 0
	v_mov_b32_e32 v17, 0
	v_mov_b32_e32 v15, 0
	v_mov_b32_e32 v25, 0
	v_mov_b32_e32 v23, 0
	v_mov_b32_e32 v2, 0
	s_ashr_i32 s7, s6, 31
	s_xor_b32 s1, vcc_lo, -1
	s_lshl_b64 s[2:3], s[6:7], 7
	s_xor_b32 s0, s0, -1
	s_branch .LBB121_7
.LBB121_6:                              ;   in Loop: Header=BB121_7 Depth=1
	s_or_b32 exec_lo, exec_lo, s6
	s_waitcnt lgkmcnt(0)
	s_barrier
	buffer_gl0_inv
	ds_read_b128 v[32:35], v28
	ds_read_b128 v[36:39], v28 offset:16
	ds_read_b128 v[40:43], v28 offset:32
	;; [unrolled: 1-line block ×3, first 2 shown]
	ds_read_b128 v[48:51], v27
	v_add_co_u32 v6, vcc_lo, 0x80, v6
	v_add_co_ci_u32_e64 v7, null, 0, v7, vcc_lo
	v_add_co_u32 v8, vcc_lo, v8, s2
	v_add_co_ci_u32_e64 v9, null, s3, v9, vcc_lo
	s_add_i32 s30, s30, 8
	s_cmp_lt_i32 s30, s11
	s_waitcnt lgkmcnt(0)
	v_mul_f64 v[3:4], v[34:35], v[50:51]
	v_mul_f64 v[52:53], v[32:33], v[50:51]
	v_fma_f64 v[3:4], v[32:33], v[48:49], -v[3:4]
	v_fma_f64 v[52:53], v[34:35], v[48:49], v[52:53]
	v_add_f64 v[3:4], v[22:23], v[3:4]
	v_add_f64 v[52:53], v[52:53], v[24:25]
	ds_read_b128 v[22:25], v27 offset:256
	s_waitcnt lgkmcnt(0)
	v_mul_f64 v[54:55], v[34:35], v[24:25]
	v_fma_f64 v[54:55], v[32:33], v[22:23], -v[54:55]
	v_mul_f64 v[32:33], v[32:33], v[24:25]
	v_fma_f64 v[32:33], v[34:35], v[22:23], v[32:33]
	v_add_f64 v[34:35], v[14:15], v[54:55]
	v_add_f64 v[32:33], v[32:33], v[16:17]
	ds_read_b128 v[14:17], v28 offset:2048
	s_waitcnt lgkmcnt(0)
	v_mul_f64 v[54:55], v[16:17], v[50:51]
	v_mul_f64 v[50:51], v[14:15], v[50:51]
	v_fma_f64 v[54:55], v[14:15], v[48:49], -v[54:55]
	v_fma_f64 v[48:49], v[16:17], v[48:49], v[50:51]
	v_add_f64 v[50:51], v[18:19], v[54:55]
	v_mul_f64 v[18:19], v[16:17], v[24:25]
	v_add_f64 v[48:49], v[48:49], v[20:21]
	v_fma_f64 v[18:19], v[14:15], v[22:23], -v[18:19]
	v_mul_f64 v[14:15], v[14:15], v[24:25]
	v_fma_f64 v[14:15], v[16:17], v[22:23], v[14:15]
	v_add_f64 v[22:23], v[12:13], v[18:19]
	v_add_f64 v[24:25], v[14:15], v[10:11]
	ds_read_b128 v[10:13], v27 offset:512
	s_waitcnt lgkmcnt(0)
	v_mul_f64 v[14:15], v[38:39], v[12:13]
	v_mul_f64 v[16:17], v[36:37], v[12:13]
	v_fma_f64 v[14:15], v[36:37], v[10:11], -v[14:15]
	v_fma_f64 v[16:17], v[38:39], v[10:11], v[16:17]
	v_add_f64 v[3:4], v[3:4], v[14:15]
	v_add_f64 v[52:53], v[16:17], v[52:53]
	ds_read_b128 v[14:17], v27 offset:768
	s_waitcnt lgkmcnt(0)
	v_mul_f64 v[18:19], v[38:39], v[16:17]
	v_mul_f64 v[20:21], v[36:37], v[16:17]
	v_fma_f64 v[18:19], v[36:37], v[14:15], -v[18:19]
	;; [unrolled: 8-line block ×3, first 2 shown]
	v_fma_f64 v[10:11], v[20:21], v[10:11], v[12:13]
	v_mul_f64 v[12:13], v[18:19], v[16:17]
	v_add_f64 v[36:37], v[50:51], v[36:37]
	v_add_f64 v[38:39], v[10:11], v[48:49]
	v_mul_f64 v[10:11], v[20:21], v[16:17]
	v_fma_f64 v[12:13], v[20:21], v[14:15], v[12:13]
	v_fma_f64 v[10:11], v[18:19], v[14:15], -v[10:11]
	v_add_f64 v[24:25], v[12:13], v[24:25]
	v_add_f64 v[22:23], v[22:23], v[10:11]
	ds_read_b128 v[10:13], v27 offset:1024
	s_waitcnt lgkmcnt(0)
	v_mul_f64 v[14:15], v[42:43], v[12:13]
	v_mul_f64 v[16:17], v[40:41], v[12:13]
	v_fma_f64 v[14:15], v[40:41], v[10:11], -v[14:15]
	v_fma_f64 v[16:17], v[42:43], v[10:11], v[16:17]
	v_add_f64 v[3:4], v[3:4], v[14:15]
	v_add_f64 v[48:49], v[16:17], v[52:53]
	ds_read_b128 v[14:17], v27 offset:1280
	s_waitcnt lgkmcnt(0)
	v_mul_f64 v[18:19], v[42:43], v[16:17]
	v_mul_f64 v[20:21], v[40:41], v[16:17]
	v_fma_f64 v[18:19], v[40:41], v[14:15], -v[18:19]
	v_fma_f64 v[20:21], v[42:43], v[14:15], v[20:21]
	;; [unrolled: 8-line block ×3, first 2 shown]
	v_mul_f64 v[12:13], v[18:19], v[16:17]
	v_add_f64 v[36:37], v[36:37], v[40:41]
	v_add_f64 v[38:39], v[10:11], v[38:39]
	v_mul_f64 v[10:11], v[20:21], v[16:17]
	v_fma_f64 v[12:13], v[20:21], v[14:15], v[12:13]
	v_fma_f64 v[10:11], v[18:19], v[14:15], -v[10:11]
	v_add_f64 v[24:25], v[12:13], v[24:25]
	v_add_f64 v[22:23], v[22:23], v[10:11]
	ds_read_b128 v[10:13], v27 offset:1536
	s_waitcnt lgkmcnt(0)
	v_mul_f64 v[14:15], v[46:47], v[12:13]
	v_mul_f64 v[16:17], v[44:45], v[12:13]
	v_fma_f64 v[14:15], v[44:45], v[10:11], -v[14:15]
	v_fma_f64 v[16:17], v[46:47], v[10:11], v[16:17]
	v_add_f64 v[3:4], v[3:4], v[14:15]
	v_add_f64 v[40:41], v[16:17], v[48:49]
	ds_read_b128 v[14:17], v27 offset:1792
	s_waitcnt lgkmcnt(0)
	v_mul_f64 v[18:19], v[46:47], v[16:17]
	v_mul_f64 v[20:21], v[44:45], v[16:17]
	v_fma_f64 v[18:19], v[44:45], v[14:15], -v[18:19]
	v_fma_f64 v[20:21], v[46:47], v[14:15], v[20:21]
	;; [unrolled: 8-line block ×3, first 2 shown]
	v_mul_f64 v[12:13], v[18:19], v[16:17]
	v_add_f64 v[36:37], v[36:37], v[42:43]
	v_add_f64 v[38:39], v[10:11], v[38:39]
	v_mul_f64 v[10:11], v[20:21], v[16:17]
	v_fma_f64 v[12:13], v[20:21], v[14:15], v[12:13]
	v_fma_f64 v[10:11], v[18:19], v[14:15], -v[10:11]
	v_add_f64 v[24:25], v[12:13], v[24:25]
	v_add_f64 v[22:23], v[22:23], v[10:11]
	ds_read_b128 v[10:13], v28 offset:64
	ds_read_b128 v[14:17], v27 offset:2048
	s_waitcnt lgkmcnt(0)
	v_mul_f64 v[18:19], v[12:13], v[16:17]
	v_mul_f64 v[20:21], v[10:11], v[16:17]
	v_fma_f64 v[18:19], v[10:11], v[14:15], -v[18:19]
	v_fma_f64 v[20:21], v[12:13], v[14:15], v[20:21]
	v_add_f64 v[3:4], v[3:4], v[18:19]
	v_add_f64 v[40:41], v[20:21], v[40:41]
	ds_read_b128 v[18:21], v27 offset:2304
	s_waitcnt lgkmcnt(0)
	v_mul_f64 v[42:43], v[12:13], v[20:21]
	v_fma_f64 v[42:43], v[10:11], v[18:19], -v[42:43]
	v_mul_f64 v[10:11], v[10:11], v[20:21]
	v_add_f64 v[34:35], v[34:35], v[42:43]
	v_fma_f64 v[10:11], v[12:13], v[18:19], v[10:11]
	v_add_f64 v[32:33], v[10:11], v[32:33]
	ds_read_b128 v[10:13], v28 offset:2112
	s_waitcnt lgkmcnt(0)
	v_mul_f64 v[42:43], v[12:13], v[16:17]
	v_mul_f64 v[16:17], v[10:11], v[16:17]
	v_fma_f64 v[42:43], v[10:11], v[14:15], -v[42:43]
	v_fma_f64 v[14:15], v[12:13], v[14:15], v[16:17]
	v_add_f64 v[36:37], v[36:37], v[42:43]
	v_add_f64 v[38:39], v[14:15], v[38:39]
	v_mul_f64 v[14:15], v[12:13], v[20:21]
	v_fma_f64 v[14:15], v[10:11], v[18:19], -v[14:15]
	v_mul_f64 v[10:11], v[10:11], v[20:21]
	v_add_f64 v[22:23], v[22:23], v[14:15]
	v_fma_f64 v[10:11], v[12:13], v[18:19], v[10:11]
	v_add_f64 v[24:25], v[10:11], v[24:25]
	ds_read_b128 v[10:13], v28 offset:80
	ds_read_b128 v[14:17], v27 offset:2560
	s_waitcnt lgkmcnt(0)
	v_mul_f64 v[18:19], v[12:13], v[16:17]
	v_mul_f64 v[20:21], v[10:11], v[16:17]
	v_fma_f64 v[18:19], v[10:11], v[14:15], -v[18:19]
	v_fma_f64 v[20:21], v[12:13], v[14:15], v[20:21]
	v_add_f64 v[3:4], v[3:4], v[18:19]
	v_add_f64 v[40:41], v[20:21], v[40:41]
	ds_read_b128 v[18:21], v27 offset:2816
	s_waitcnt lgkmcnt(0)
	v_mul_f64 v[42:43], v[12:13], v[20:21]
	v_fma_f64 v[42:43], v[10:11], v[18:19], -v[42:43]
	v_mul_f64 v[10:11], v[10:11], v[20:21]
	v_add_f64 v[34:35], v[34:35], v[42:43]
	v_fma_f64 v[10:11], v[12:13], v[18:19], v[10:11]
	v_add_f64 v[32:33], v[10:11], v[32:33]
	ds_read_b128 v[10:13], v28 offset:2128
	s_waitcnt lgkmcnt(0)
	v_mul_f64 v[42:43], v[12:13], v[16:17]
	v_mul_f64 v[16:17], v[10:11], v[16:17]
	v_fma_f64 v[42:43], v[10:11], v[14:15], -v[42:43]
	v_fma_f64 v[14:15], v[12:13], v[14:15], v[16:17]
	v_add_f64 v[36:37], v[36:37], v[42:43]
	v_add_f64 v[38:39], v[14:15], v[38:39]
	v_mul_f64 v[14:15], v[12:13], v[20:21]
	v_fma_f64 v[14:15], v[10:11], v[18:19], -v[14:15]
	v_mul_f64 v[10:11], v[10:11], v[20:21]
	v_add_f64 v[22:23], v[22:23], v[14:15]
	v_fma_f64 v[10:11], v[12:13], v[18:19], v[10:11]
	;; [unrolled: 31-line block ×3, first 2 shown]
	v_add_f64 v[48:49], v[10:11], v[24:25]
	ds_read_b128 v[10:13], v28 offset:112
	ds_read_b128 v[18:21], v27 offset:3584
	;; [unrolled: 1-line block ×3, first 2 shown]
	s_waitcnt lgkmcnt(1)
	v_mul_f64 v[14:15], v[12:13], v[20:21]
	v_mul_f64 v[16:17], v[10:11], v[20:21]
	v_fma_f64 v[14:15], v[10:11], v[18:19], -v[14:15]
	v_fma_f64 v[16:17], v[12:13], v[18:19], v[16:17]
	v_add_f64 v[22:23], v[3:4], v[14:15]
	s_waitcnt lgkmcnt(0)
	v_mul_f64 v[3:4], v[12:13], v[34:35]
	v_add_f64 v[24:25], v[16:17], v[40:41]
	v_fma_f64 v[3:4], v[10:11], v[32:33], -v[3:4]
	v_mul_f64 v[10:11], v[10:11], v[34:35]
	v_add_f64 v[14:15], v[42:43], v[3:4]
	v_fma_f64 v[10:11], v[12:13], v[32:33], v[10:11]
	v_add_f64 v[16:17], v[10:11], v[44:45]
	ds_read_b128 v[10:13], v28 offset:2160
	s_waitcnt lgkmcnt(0)
	s_barrier
	buffer_gl0_inv
	v_mul_f64 v[3:4], v[12:13], v[20:21]
	v_mul_f64 v[20:21], v[10:11], v[20:21]
	v_fma_f64 v[3:4], v[10:11], v[18:19], -v[3:4]
	v_fma_f64 v[20:21], v[12:13], v[18:19], v[20:21]
	v_add_f64 v[18:19], v[36:37], v[3:4]
	v_mul_f64 v[3:4], v[12:13], v[34:35]
	v_add_f64 v[20:21], v[20:21], v[38:39]
	v_fma_f64 v[3:4], v[10:11], v[32:33], -v[3:4]
	v_mul_f64 v[10:11], v[10:11], v[34:35]
	v_fma_f64 v[10:11], v[12:13], v[32:33], v[10:11]
	v_add_f64 v[12:13], v[46:47], v[3:4]
	v_add_f64 v[10:11], v[10:11], v[48:49]
	s_cbranch_scc0 .LBB121_15
.LBB121_7:                              ; =>This Inner Loop Header: Depth=1
	v_add_nc_u32_e32 v3, s30, v29
	v_cmp_le_i32_e32 vcc_lo, s11, v3
	s_or_b32 s6, s1, vcc_lo
	s_and_saveexec_b32 s7, s6
	s_xor_b32 s6, exec_lo, s7
	s_cbranch_execz .LBB121_9
; %bb.8:                                ;   in Loop: Header=BB121_7 Depth=1
	v_mov_b32_e32 v3, v2
	v_mov_b32_e32 v4, v2
	v_mov_b32_e32 v5, v2
	ds_write_b128 v30, v[2:5]
.LBB121_9:                              ;   in Loop: Header=BB121_7 Depth=1
	s_andn2_saveexec_b32 s6, s6
	s_cbranch_execz .LBB121_11
; %bb.10:                               ;   in Loop: Header=BB121_7 Depth=1
	global_load_dwordx4 v[32:35], v[6:7], off
	s_waitcnt vmcnt(0)
	ds_write2_b64 v30, v[32:33], v[34:35] offset1:1
.LBB121_11:                             ;   in Loop: Header=BB121_7 Depth=1
	s_or_b32 exec_lo, exec_lo, s6
	v_add_nc_u32_e32 v3, s30, v26
	v_cmp_le_i32_e32 vcc_lo, s11, v3
	s_or_b32 s6, vcc_lo, s0
	s_and_saveexec_b32 s7, s6
	s_xor_b32 s6, exec_lo, s7
	s_cbranch_execz .LBB121_13
; %bb.12:                               ;   in Loop: Header=BB121_7 Depth=1
	v_mov_b32_e32 v3, v2
	v_mov_b32_e32 v4, v2
	;; [unrolled: 1-line block ×3, first 2 shown]
	ds_write_b128 v31, v[2:5]
.LBB121_13:                             ;   in Loop: Header=BB121_7 Depth=1
	s_andn2_saveexec_b32 s6, s6
	s_cbranch_execz .LBB121_6
; %bb.14:                               ;   in Loop: Header=BB121_7 Depth=1
	global_load_dwordx4 v[32:35], v[8:9], off
	s_waitcnt vmcnt(0)
	ds_write2_b64 v31, v[32:33], v[34:35] offset1:1
	s_branch .LBB121_6
.LBB121_15:
	s_clause 0x1
	s_load_dword s3, s[4:5], 0x50
	s_load_dwordx2 s[0:1], s[4:5], 0x58
	v_cmp_neq_f64_e64 s2, s[12:13], 0
	v_add_nc_u32_e32 v27, s29, v1
	v_add_nc_u32_e32 v4, s28, v0
	v_cmp_le_i32_e32 vcc_lo, v27, v4
	v_ashrrev_i32_e32 v5, 31, v4
	s_waitcnt lgkmcnt(0)
	v_mad_i64_i32 v[0:1], null, v27, s3, 0
	s_mul_i32 s1, s1, s8
	s_mul_hi_u32 s5, s0, s8
	s_mul_i32 s4, s0, s8
	s_add_i32 s5, s5, s1
	v_cmp_gt_i32_e64 s0, s10, v4
	s_lshl_b64 s[4:5], s[4:5], 4
	v_lshlrev_b64 v[0:1], 4, v[0:1]
	s_add_u32 s4, s22, s4
	s_addc_u32 s5, s23, s5
	s_xor_b32 s6, s9, -1
	s_or_b32 s2, s2, s6
	v_add_co_u32 v8, s1, s4, v0
	v_add_co_ci_u32_e64 v9, null, s5, v1, s1
	v_cndmask_b32_e64 v26, 0, 1, s2
	s_and_b32 s6, vcc_lo, s0
	s_and_saveexec_b32 s1, s6
	s_cbranch_execz .LBB121_19
; %bb.16:
	v_mul_f64 v[0:1], s[18:19], v[24:25]
	v_mul_f64 v[2:3], s[16:17], v[24:25]
	v_lshlrev_b64 v[6:7], 4, v[4:5]
	v_add_co_u32 v6, vcc_lo, v8, v6
	v_add_co_ci_u32_e64 v7, null, v9, v7, vcc_lo
	s_andn2_b32 vcc_lo, exec_lo, s2
	v_fma_f64 v[0:1], s[16:17], v[22:23], -v[0:1]
	v_fma_f64 v[2:3], s[18:19], v[22:23], v[2:3]
	s_cbranch_vccnz .LBB121_18
; %bb.17:
	global_load_dwordx4 v[22:25], v[6:7], off
	s_waitcnt vmcnt(0)
	v_mul_f64 v[28:29], s[14:15], v[24:25]
	v_mul_f64 v[24:25], s[12:13], v[24:25]
	v_fma_f64 v[28:29], s[12:13], v[22:23], -v[28:29]
	v_fma_f64 v[22:23], s[14:15], v[22:23], v[24:25]
	v_add_f64 v[0:1], v[0:1], v[28:29]
	v_add_f64 v[2:3], v[2:3], v[22:23]
.LBB121_18:
	global_store_dwordx4 v[6:7], v[0:3], off
.LBB121_19:
	s_or_b32 exec_lo, exec_lo, s1
	v_add_nc_u32_e32 v6, 16, v4
	v_cmp_le_i32_e32 vcc_lo, v27, v6
	v_cmp_gt_i32_e64 s1, s10, v6
	v_ashrrev_i32_e32 v7, 31, v6
	s_and_b32 s2, vcc_lo, s1
	s_and_saveexec_b32 s6, s2
	s_cbranch_execz .LBB121_23
; %bb.20:
	v_mul_f64 v[0:1], s[18:19], v[16:17]
	v_mul_f64 v[2:3], s[16:17], v[16:17]
	v_cmp_ne_u32_e32 vcc_lo, 1, v26
	s_and_b32 vcc_lo, exec_lo, vcc_lo
	v_fma_f64 v[0:1], s[16:17], v[14:15], -v[0:1]
	v_fma_f64 v[2:3], s[18:19], v[14:15], v[2:3]
	v_lshlrev_b64 v[14:15], 4, v[6:7]
	v_add_co_u32 v8, s2, v8, v14
	v_add_co_ci_u32_e64 v9, null, v9, v15, s2
	s_cbranch_vccnz .LBB121_22
; %bb.21:
	global_load_dwordx4 v[14:17], v[8:9], off
	s_waitcnt vmcnt(0)
	v_mul_f64 v[22:23], s[14:15], v[16:17]
	v_mul_f64 v[16:17], s[12:13], v[16:17]
	v_fma_f64 v[22:23], s[12:13], v[14:15], -v[22:23]
	v_fma_f64 v[14:15], s[14:15], v[14:15], v[16:17]
	v_add_f64 v[0:1], v[0:1], v[22:23]
	v_add_f64 v[2:3], v[2:3], v[14:15]
.LBB121_22:
	global_store_dwordx4 v[8:9], v[0:3], off
.LBB121_23:
	s_or_b32 exec_lo, exec_lo, s6
	v_add_nc_u32_e32 v14, 16, v27
	v_mad_i64_i32 v[0:1], null, v14, s3, 0
	v_cmp_le_i32_e32 vcc_lo, v14, v4
	s_and_b32 s0, vcc_lo, s0
	v_lshlrev_b64 v[0:1], 4, v[0:1]
	v_add_co_u32 v8, s2, s4, v0
	v_add_co_ci_u32_e64 v9, null, s5, v1, s2
	s_and_saveexec_b32 s2, s0
	s_cbranch_execz .LBB121_27
; %bb.24:
	v_mul_f64 v[0:1], s[18:19], v[20:21]
	v_mul_f64 v[2:3], s[16:17], v[20:21]
	v_lshlrev_b64 v[4:5], 4, v[4:5]
	v_cmp_ne_u32_e32 vcc_lo, 1, v26
	s_and_b32 vcc_lo, exec_lo, vcc_lo
	v_add_co_u32 v4, s0, v8, v4
	v_add_co_ci_u32_e64 v5, null, v9, v5, s0
	v_fma_f64 v[0:1], s[16:17], v[18:19], -v[0:1]
	v_fma_f64 v[2:3], s[18:19], v[18:19], v[2:3]
	s_cbranch_vccnz .LBB121_26
; %bb.25:
	global_load_dwordx4 v[15:18], v[4:5], off
	s_waitcnt vmcnt(0)
	v_mul_f64 v[19:20], s[14:15], v[17:18]
	v_mul_f64 v[17:18], s[12:13], v[17:18]
	v_fma_f64 v[19:20], s[12:13], v[15:16], -v[19:20]
	v_fma_f64 v[15:16], s[14:15], v[15:16], v[17:18]
	v_add_f64 v[0:1], v[0:1], v[19:20]
	v_add_f64 v[2:3], v[2:3], v[15:16]
.LBB121_26:
	global_store_dwordx4 v[4:5], v[0:3], off
.LBB121_27:
	s_or_b32 exec_lo, exec_lo, s2
	v_cmp_le_i32_e32 vcc_lo, v14, v6
	s_and_b32 s0, vcc_lo, s1
	s_and_saveexec_b32 s1, s0
	s_cbranch_execz .LBB121_32
; %bb.28:
	v_mul_f64 v[0:1], s[18:19], v[10:11]
	v_mul_f64 v[2:3], s[16:17], v[10:11]
	v_lshlrev_b64 v[4:5], 4, v[6:7]
	v_cmp_ne_u32_e32 vcc_lo, 1, v26
	s_and_b32 vcc_lo, exec_lo, vcc_lo
	v_add_co_u32 v4, s0, v8, v4
	v_add_co_ci_u32_e64 v5, null, v9, v5, s0
	v_fma_f64 v[0:1], s[16:17], v[12:13], -v[0:1]
	v_fma_f64 v[2:3], s[18:19], v[12:13], v[2:3]
	s_cbranch_vccnz .LBB121_30
; %bb.29:
	global_load_dwordx4 v[6:9], v[4:5], off
	s_waitcnt vmcnt(0)
	v_mul_f64 v[10:11], s[14:15], v[8:9]
	v_mul_f64 v[8:9], s[12:13], v[8:9]
	v_fma_f64 v[10:11], s[12:13], v[6:7], -v[10:11]
	v_fma_f64 v[6:7], s[14:15], v[6:7], v[8:9]
	v_add_f64 v[0:1], v[0:1], v[10:11]
	v_add_f64 v[2:3], v[2:3], v[6:7]
.LBB121_30:
	global_store_dwordx4 v[4:5], v[0:3], off
	s_endpgm
.LBB121_31:
.LBB121_32:
	s_endpgm
	.section	.rodata,"a",@progbits
	.p2align	6, 0x0
	.amdhsa_kernel _ZL29rocblas_internal_gemmt_kernelIiLi16ELi32ELi8ELc84ELc84ELc76ELb0ELb0E19rocblas_complex_numIdEPKS1_S3_PS1_EviT_T9_T10_S5_lS7_S5_lS6_T11_S5_li
		.amdhsa_group_segment_fixed_size 8192
		.amdhsa_private_segment_fixed_size 0
		.amdhsa_kernarg_size 100
		.amdhsa_user_sgpr_count 6
		.amdhsa_user_sgpr_private_segment_buffer 1
		.amdhsa_user_sgpr_dispatch_ptr 0
		.amdhsa_user_sgpr_queue_ptr 0
		.amdhsa_user_sgpr_kernarg_segment_ptr 1
		.amdhsa_user_sgpr_dispatch_id 0
		.amdhsa_user_sgpr_flat_scratch_init 0
		.amdhsa_user_sgpr_private_segment_size 0
		.amdhsa_wavefront_size32 1
		.amdhsa_uses_dynamic_stack 0
		.amdhsa_system_sgpr_private_segment_wavefront_offset 0
		.amdhsa_system_sgpr_workgroup_id_x 1
		.amdhsa_system_sgpr_workgroup_id_y 1
		.amdhsa_system_sgpr_workgroup_id_z 1
		.amdhsa_system_sgpr_workgroup_info 0
		.amdhsa_system_vgpr_workitem_id 1
		.amdhsa_next_free_vgpr 56
		.amdhsa_next_free_sgpr 31
		.amdhsa_reserve_vcc 1
		.amdhsa_reserve_flat_scratch 0
		.amdhsa_float_round_mode_32 0
		.amdhsa_float_round_mode_16_64 0
		.amdhsa_float_denorm_mode_32 3
		.amdhsa_float_denorm_mode_16_64 3
		.amdhsa_dx10_clamp 1
		.amdhsa_ieee_mode 1
		.amdhsa_fp16_overflow 0
		.amdhsa_workgroup_processor_mode 1
		.amdhsa_memory_ordered 1
		.amdhsa_forward_progress 1
		.amdhsa_shared_vgpr_count 0
		.amdhsa_exception_fp_ieee_invalid_op 0
		.amdhsa_exception_fp_denorm_src 0
		.amdhsa_exception_fp_ieee_div_zero 0
		.amdhsa_exception_fp_ieee_overflow 0
		.amdhsa_exception_fp_ieee_underflow 0
		.amdhsa_exception_fp_ieee_inexact 0
		.amdhsa_exception_int_div_zero 0
	.end_amdhsa_kernel
	.section	.text._ZL29rocblas_internal_gemmt_kernelIiLi16ELi32ELi8ELc84ELc84ELc76ELb0ELb0E19rocblas_complex_numIdEPKS1_S3_PS1_EviT_T9_T10_S5_lS7_S5_lS6_T11_S5_li,"axG",@progbits,_ZL29rocblas_internal_gemmt_kernelIiLi16ELi32ELi8ELc84ELc84ELc76ELb0ELb0E19rocblas_complex_numIdEPKS1_S3_PS1_EviT_T9_T10_S5_lS7_S5_lS6_T11_S5_li,comdat
.Lfunc_end121:
	.size	_ZL29rocblas_internal_gemmt_kernelIiLi16ELi32ELi8ELc84ELc84ELc76ELb0ELb0E19rocblas_complex_numIdEPKS1_S3_PS1_EviT_T9_T10_S5_lS7_S5_lS6_T11_S5_li, .Lfunc_end121-_ZL29rocblas_internal_gemmt_kernelIiLi16ELi32ELi8ELc84ELc84ELc76ELb0ELb0E19rocblas_complex_numIdEPKS1_S3_PS1_EviT_T9_T10_S5_lS7_S5_lS6_T11_S5_li
                                        ; -- End function
	.set _ZL29rocblas_internal_gemmt_kernelIiLi16ELi32ELi8ELc84ELc84ELc76ELb0ELb0E19rocblas_complex_numIdEPKS1_S3_PS1_EviT_T9_T10_S5_lS7_S5_lS6_T11_S5_li.num_vgpr, 56
	.set _ZL29rocblas_internal_gemmt_kernelIiLi16ELi32ELi8ELc84ELc84ELc76ELb0ELb0E19rocblas_complex_numIdEPKS1_S3_PS1_EviT_T9_T10_S5_lS7_S5_lS6_T11_S5_li.num_agpr, 0
	.set _ZL29rocblas_internal_gemmt_kernelIiLi16ELi32ELi8ELc84ELc84ELc76ELb0ELb0E19rocblas_complex_numIdEPKS1_S3_PS1_EviT_T9_T10_S5_lS7_S5_lS6_T11_S5_li.numbered_sgpr, 31
	.set _ZL29rocblas_internal_gemmt_kernelIiLi16ELi32ELi8ELc84ELc84ELc76ELb0ELb0E19rocblas_complex_numIdEPKS1_S3_PS1_EviT_T9_T10_S5_lS7_S5_lS6_T11_S5_li.num_named_barrier, 0
	.set _ZL29rocblas_internal_gemmt_kernelIiLi16ELi32ELi8ELc84ELc84ELc76ELb0ELb0E19rocblas_complex_numIdEPKS1_S3_PS1_EviT_T9_T10_S5_lS7_S5_lS6_T11_S5_li.private_seg_size, 0
	.set _ZL29rocblas_internal_gemmt_kernelIiLi16ELi32ELi8ELc84ELc84ELc76ELb0ELb0E19rocblas_complex_numIdEPKS1_S3_PS1_EviT_T9_T10_S5_lS7_S5_lS6_T11_S5_li.uses_vcc, 1
	.set _ZL29rocblas_internal_gemmt_kernelIiLi16ELi32ELi8ELc84ELc84ELc76ELb0ELb0E19rocblas_complex_numIdEPKS1_S3_PS1_EviT_T9_T10_S5_lS7_S5_lS6_T11_S5_li.uses_flat_scratch, 0
	.set _ZL29rocblas_internal_gemmt_kernelIiLi16ELi32ELi8ELc84ELc84ELc76ELb0ELb0E19rocblas_complex_numIdEPKS1_S3_PS1_EviT_T9_T10_S5_lS7_S5_lS6_T11_S5_li.has_dyn_sized_stack, 0
	.set _ZL29rocblas_internal_gemmt_kernelIiLi16ELi32ELi8ELc84ELc84ELc76ELb0ELb0E19rocblas_complex_numIdEPKS1_S3_PS1_EviT_T9_T10_S5_lS7_S5_lS6_T11_S5_li.has_recursion, 0
	.set _ZL29rocblas_internal_gemmt_kernelIiLi16ELi32ELi8ELc84ELc84ELc76ELb0ELb0E19rocblas_complex_numIdEPKS1_S3_PS1_EviT_T9_T10_S5_lS7_S5_lS6_T11_S5_li.has_indirect_call, 0
	.section	.AMDGPU.csdata,"",@progbits
; Kernel info:
; codeLenInByte = 3576
; TotalNumSgprs: 33
; NumVgprs: 56
; ScratchSize: 0
; MemoryBound: 0
; FloatMode: 240
; IeeeMode: 1
; LDSByteSize: 8192 bytes/workgroup (compile time only)
; SGPRBlocks: 0
; VGPRBlocks: 6
; NumSGPRsForWavesPerEU: 33
; NumVGPRsForWavesPerEU: 56
; Occupancy: 16
; WaveLimiterHint : 0
; COMPUTE_PGM_RSRC2:SCRATCH_EN: 0
; COMPUTE_PGM_RSRC2:USER_SGPR: 6
; COMPUTE_PGM_RSRC2:TRAP_HANDLER: 0
; COMPUTE_PGM_RSRC2:TGID_X_EN: 1
; COMPUTE_PGM_RSRC2:TGID_Y_EN: 1
; COMPUTE_PGM_RSRC2:TGID_Z_EN: 1
; COMPUTE_PGM_RSRC2:TIDIG_COMP_CNT: 1
	.section	.text._ZL29rocblas_internal_gemmt_kernelIiLi16ELi32ELi8ELc84ELc67ELc76ELb0ELb1E19rocblas_complex_numIdEPKS1_S3_PS1_EviT_T9_T10_S5_lS7_S5_lS6_T11_S5_li,"axG",@progbits,_ZL29rocblas_internal_gemmt_kernelIiLi16ELi32ELi8ELc84ELc67ELc76ELb0ELb1E19rocblas_complex_numIdEPKS1_S3_PS1_EviT_T9_T10_S5_lS7_S5_lS6_T11_S5_li,comdat
	.globl	_ZL29rocblas_internal_gemmt_kernelIiLi16ELi32ELi8ELc84ELc67ELc76ELb0ELb1E19rocblas_complex_numIdEPKS1_S3_PS1_EviT_T9_T10_S5_lS7_S5_lS6_T11_S5_li ; -- Begin function _ZL29rocblas_internal_gemmt_kernelIiLi16ELi32ELi8ELc84ELc67ELc76ELb0ELb1E19rocblas_complex_numIdEPKS1_S3_PS1_EviT_T9_T10_S5_lS7_S5_lS6_T11_S5_li
	.p2align	8
	.type	_ZL29rocblas_internal_gemmt_kernelIiLi16ELi32ELi8ELc84ELc67ELc76ELb0ELb1E19rocblas_complex_numIdEPKS1_S3_PS1_EviT_T9_T10_S5_lS7_S5_lS6_T11_S5_li,@function
_ZL29rocblas_internal_gemmt_kernelIiLi16ELi32ELi8ELc84ELc67ELc76ELb0ELb1E19rocblas_complex_numIdEPKS1_S3_PS1_EviT_T9_T10_S5_lS7_S5_lS6_T11_S5_li: ; @_ZL29rocblas_internal_gemmt_kernelIiLi16ELi32ELi8ELc84ELc67ELc76ELb0ELb1E19rocblas_complex_numIdEPKS1_S3_PS1_EviT_T9_T10_S5_lS7_S5_lS6_T11_S5_li
; %bb.0:
	s_load_dwordx4 s[20:23], s[4:5], 0x38
	s_waitcnt lgkmcnt(0)
	s_load_dwordx4 s[12:15], s[22:23], 0x0
	s_clause 0x1
	s_load_dwordx4 s[0:3], s[4:5], 0x8
	s_load_dwordx2 s[10:11], s[4:5], 0x0
	s_waitcnt lgkmcnt(0)
	s_load_dwordx4 s[16:19], s[0:1], 0x0
	v_cmp_eq_f64_e64 s22, s[12:13], 1.0
	v_cmp_eq_f64_e64 s9, s[14:15], 0
	s_and_b32 s0, s22, s9
	s_andn2_b32 vcc_lo, exec_lo, s0
	s_mov_b32 s0, -1
	s_cbranch_vccnz .LBB122_3
; %bb.1:
	s_cmp_lg_u32 s11, 0
	s_cbranch_scc0 .LBB122_29
; %bb.2:
	s_waitcnt lgkmcnt(0)
	v_cmp_neq_f64_e64 s0, s[16:17], 0
	v_cmp_neq_f64_e64 s1, s[18:19], 0
	s_or_b32 s0, s0, s1
.LBB122_3:
	s_and_b32 vcc_lo, exec_lo, s0
	s_cbranch_vccz .LBB122_30
; %bb.4:
	s_waitcnt lgkmcnt(0)
	v_cmp_eq_f64_e64 s0, s[16:17], 0
	v_cmp_eq_f64_e64 s1, s[18:19], 0
	s_load_dwordx2 s[22:23], s[4:5], 0x48
	s_lshl_b32 s28, s6, 5
	s_lshl_b32 s29, s7, 5
	v_mov_b32_e32 v23, 0
	v_mov_b32_e32 v25, 0
	v_mov_b32_e32 v19, 0
	v_mov_b32_e32 v21, 0
	v_mov_b32_e32 v15, 0
	v_mov_b32_e32 v17, 0
	v_mov_b32_e32 v9, 0
	v_mov_b32_e32 v7, 0
	v_mov_b32_e32 v24, 0
	v_mov_b32_e32 v26, 0
	v_mov_b32_e32 v20, 0
	v_mov_b32_e32 v22, 0
	v_mov_b32_e32 v16, 0
	v_mov_b32_e32 v18, 0
	v_mov_b32_e32 v10, 0
	v_mov_b32_e32 v8, 0
	s_mov_b32 s30, 0
	s_and_b32 s0, s0, s1
	s_cmp_lt_i32 s11, 1
	s_cselect_b32 s1, -1, 0
	s_or_b32 s0, s0, s1
	s_and_b32 vcc_lo, exec_lo, s0
	s_cbranch_vccnz .LBB122_13
; %bb.5:
	s_clause 0x2
	s_load_dword s1, s[4:5], 0x18
	s_load_dwordx4 s[24:27], s[4:5], 0x20
	s_load_dword s6, s[4:5], 0x30
	v_lshl_add_u32 v2, v1, 4, v0
	v_and_b32_e32 v27, 7, v0
	v_mov_b32_e32 v9, 0
	v_mov_b32_e32 v17, 0
	;; [unrolled: 1-line block ×3, first 2 shown]
	v_and_b32_e32 v3, 31, v2
	v_lshrrev_b32_e32 v4, 3, v2
	v_lshlrev_b32_e32 v5, 4, v27
	v_lshrrev_b32_e32 v30, 5, v2
	v_mov_b32_e32 v21, 0
	v_or_b32_e32 v6, s28, v3
	v_lshlrev_b32_e32 v7, 4, v3
	v_add_nc_u32_e32 v3, s28, v3
	v_add_nc_u32_e32 v2, s29, v4
	v_lshl_or_b32 v8, v4, 7, v5
	v_cmp_gt_i32_e64 s0, s10, v6
	v_lshl_or_b32 v31, v30, 9, v7
	v_mov_b32_e32 v19, 0
	s_waitcnt lgkmcnt(0)
	v_mad_i64_i32 v[4:5], null, s1, v3, 0
	v_mad_i64_i32 v[6:7], null, s6, v27, 0
	s_mul_i32 s1, s25, s8
	s_mul_hi_u32 s25, s24, s8
	v_ashrrev_i32_e32 v3, 31, v2
	s_add_i32 s25, s25, s1
	v_lshlrev_b64 v[4:5], 4, v[4:5]
	s_mul_i32 s24, s24, s8
	s_mul_i32 s1, s21, s8
	s_mul_hi_u32 s21, s20, s8
	v_lshlrev_b64 v[6:7], 4, v[6:7]
	s_lshl_b64 s[24:25], s[24:25], 4
	s_add_i32 s21, s21, s1
	s_mul_i32 s20, s20, s8
	v_add_co_u32 v4, s1, v4, s24
	s_lshl_b64 s[20:21], s[20:21], 4
	v_cmp_gt_i32_e32 vcc_lo, s10, v2
	v_lshlrev_b64 v[2:3], 4, v[2:3]
	v_add_co_ci_u32_e64 v5, null, s25, v5, s1
	v_add_co_u32 v6, s1, s20, v6
	v_add_co_ci_u32_e64 v7, null, s21, v7, s1
	v_add_nc_u32_e32 v32, 0x1000, v8
	v_lshlrev_b32_e32 v8, 4, v30
	v_add_co_u32 v2, s1, v6, v2
	v_add_co_ci_u32_e64 v3, null, v7, v3, s1
	v_add_co_u32 v4, s1, v4, v8
	v_add_co_ci_u32_e64 v5, null, 0, v5, s1
	;; [unrolled: 2-line block ×4, first 2 shown]
	v_add_co_u32 v13, s1, v2, 8
	v_mov_b32_e32 v7, 0
	v_mov_b32_e32 v25, 0
	;; [unrolled: 1-line block ×3, first 2 shown]
	v_lshlrev_b32_e32 v28, 4, v0
	v_lshl_add_u32 v29, v1, 7, 0x1000
	v_add_co_ci_u32_e64 v14, null, 0, v3, s1
	v_mov_b32_e32 v8, 0
	v_mov_b32_e32 v10, 0
	v_mov_b32_e32 v18, 0
	v_mov_b32_e32 v16, 0
	v_mov_b32_e32 v22, 0
	v_mov_b32_e32 v20, 0
	v_mov_b32_e32 v26, 0
	v_mov_b32_e32 v24, 0
	v_mov_b32_e32 v2, 0
	s_ashr_i32 s7, s6, 31
	s_xor_b32 s1, s0, -1
	s_lshl_b64 s[2:3], s[6:7], 7
	s_branch .LBB122_7
.LBB122_6:                              ;   in Loop: Header=BB122_7 Depth=1
	s_or_b32 exec_lo, exec_lo, s0
	ds_write_b128 v32, v[3:6]
	s_waitcnt lgkmcnt(0)
	s_barrier
	buffer_gl0_inv
	ds_read_b128 v[3:6], v29
	ds_read_b128 v[33:36], v28
	ds_read_b128 v[37:40], v28 offset:256
	ds_read_b128 v[41:44], v29 offset:2048
	;; [unrolled: 1-line block ×12, first 2 shown]
	v_add_co_u32 v11, s0, 0x80, v11
	v_add_co_ci_u32_e64 v12, null, 0, v12, s0
	v_add_co_u32 v13, s0, v13, s2
	v_add_co_ci_u32_e64 v14, null, s3, v14, s0
	s_waitcnt lgkmcnt(12)
	v_mul_f64 v[85:86], v[5:6], v[35:36]
	v_mul_f64 v[87:88], v[3:4], v[35:36]
	s_waitcnt lgkmcnt(11)
	v_mul_f64 v[89:90], v[5:6], v[39:40]
	v_mul_f64 v[91:92], v[3:4], v[39:40]
	;; [unrolled: 3-line block ×3, first 2 shown]
	v_mul_f64 v[95:96], v[43:44], v[39:40]
	v_mul_f64 v[39:40], v[41:42], v[39:40]
	s_waitcnt lgkmcnt(8)
	v_mul_f64 v[97:98], v[47:48], v[51:52]
	v_mul_f64 v[99:100], v[45:46], v[51:52]
	s_waitcnt lgkmcnt(7)
	;; [unrolled: 3-line block ×3, first 2 shown]
	v_mul_f64 v[105:106], v[59:60], v[51:52]
	v_mul_f64 v[51:52], v[57:58], v[51:52]
	;; [unrolled: 1-line block ×4, first 2 shown]
	s_waitcnt lgkmcnt(4)
	v_mul_f64 v[109:110], v[63:64], v[67:68]
	v_mul_f64 v[111:112], v[61:62], v[67:68]
	s_waitcnt lgkmcnt(3)
	v_mul_f64 v[113:114], v[63:64], v[71:72]
	v_mul_f64 v[115:116], v[61:62], v[71:72]
	;; [unrolled: 3-line block ×3, first 2 shown]
	v_fma_f64 v[85:86], v[3:4], v[33:34], -v[85:86]
	v_fma_f64 v[87:88], v[5:6], v[33:34], v[87:88]
	v_fma_f64 v[89:90], v[3:4], v[37:38], -v[89:90]
	v_fma_f64 v[91:92], v[5:6], v[37:38], v[91:92]
	v_fma_f64 v[93:94], v[41:42], v[33:34], -v[93:94]
	v_fma_f64 v[119:120], v[43:44], v[33:34], v[35:36]
	v_fma_f64 v[95:96], v[41:42], v[37:38], -v[95:96]
	v_fma_f64 v[121:122], v[43:44], v[37:38], v[39:40]
	v_mul_f64 v[123:124], v[75:76], v[71:72]
	v_mul_f64 v[71:72], v[73:74], v[71:72]
	v_fma_f64 v[97:98], v[45:46], v[49:50], -v[97:98]
	v_fma_f64 v[99:100], v[47:48], v[49:50], v[99:100]
	v_fma_f64 v[101:102], v[45:46], v[53:54], -v[101:102]
	v_fma_f64 v[103:104], v[47:48], v[53:54], v[103:104]
	;; [unrolled: 2-line block ×7, first 2 shown]
	v_add_f64 v[23:24], v[23:24], v[85:86]
	v_add_f64 v[25:26], v[87:88], v[25:26]
	;; [unrolled: 1-line block ×6, first 2 shown]
	v_fma_f64 v[73:74], v[73:74], v[69:70], -v[123:124]
	v_fma_f64 v[69:70], v[75:76], v[69:70], v[71:72]
	v_add_f64 v[71:72], v[15:16], v[93:94]
	v_add_f64 v[75:76], v[119:120], v[17:18]
	ds_read_b128 v[3:6], v28 offset:1536
	ds_read_b128 v[33:36], v28 offset:1792
	;; [unrolled: 1-line block ×7, first 2 shown]
	s_add_i32 s30, s30, 8
	s_cmp_lt_i32 s30, s11
	v_add_f64 v[97:98], v[23:24], v[97:98]
	v_add_f64 v[99:100], v[99:100], v[25:26]
	;; [unrolled: 1-line block ×6, first 2 shown]
	ds_read_b128 v[19:22], v28 offset:2560
	ds_read_b128 v[23:26], v28 offset:2816
	s_waitcnt lgkmcnt(8)
	v_mul_f64 v[109:110], v[79:80], v[5:6]
	v_mul_f64 v[111:112], v[77:78], v[5:6]
	s_waitcnt lgkmcnt(7)
	v_mul_f64 v[67:68], v[79:80], v[35:36]
	v_mul_f64 v[113:114], v[77:78], v[35:36]
	;; [unrolled: 1-line block ×6, first 2 shown]
	s_waitcnt lgkmcnt(4)
	v_mul_f64 v[95:96], v[39:40], v[47:48]
	v_add_f64 v[71:72], v[71:72], v[105:106]
	v_add_f64 v[75:76], v[125:126], v[75:76]
	v_mul_f64 v[93:94], v[37:38], v[43:44]
	ds_read_b128 v[5:8], v29 offset:80
	v_add_f64 v[55:56], v[97:98], v[55:56]
	v_add_f64 v[59:60], v[59:60], v[99:100]
	;; [unrolled: 1-line block ×6, first 2 shown]
	s_waitcnt lgkmcnt(2)
	v_mul_f64 v[99:100], v[17:18], v[21:22]
	s_waitcnt lgkmcnt(1)
	v_mul_f64 v[101:102], v[17:18], v[25:26]
	v_fma_f64 v[89:90], v[77:78], v[3:4], -v[109:110]
	v_fma_f64 v[91:92], v[79:80], v[3:4], v[111:112]
	v_fma_f64 v[67:68], v[77:78], v[33:34], -v[67:68]
	v_mul_f64 v[77:78], v[39:40], v[43:44]
	v_mul_f64 v[109:110], v[37:38], v[47:48]
	v_fma_f64 v[79:80], v[79:80], v[33:34], v[113:114]
	v_mul_f64 v[111:112], v[51:52], v[43:44]
	v_mul_f64 v[43:44], v[49:50], v[43:44]
	v_fma_f64 v[57:58], v[81:82], v[3:4], -v[115:116]
	v_fma_f64 v[3:4], v[83:84], v[3:4], v[117:118]
	v_fma_f64 v[81:82], v[81:82], v[33:34], -v[87:88]
	v_fma_f64 v[83:84], v[83:84], v[33:34], v[35:36]
	v_fma_f64 v[87:88], v[37:38], v[45:46], -v[95:96]
	v_mul_f64 v[95:96], v[51:52], v[47:48]
	v_mul_f64 v[47:48], v[49:50], v[47:48]
	v_add_f64 v[71:72], v[71:72], v[107:108]
	v_add_f64 v[65:66], v[65:66], v[75:76]
	v_fma_f64 v[85:86], v[39:40], v[41:42], v[93:94]
	s_waitcnt lgkmcnt(0)
	v_mul_f64 v[69:70], v[7:8], v[21:22]
	v_mul_f64 v[73:74], v[5:6], v[21:22]
	;; [unrolled: 1-line block ×6, first 2 shown]
	v_add_f64 v[55:56], v[55:56], v[89:90]
	v_fma_f64 v[77:78], v[37:38], v[41:42], -v[77:78]
	v_fma_f64 v[93:94], v[39:40], v[45:46], v[109:110]
	v_add_f64 v[59:60], v[91:92], v[59:60]
	v_fma_f64 v[105:106], v[49:50], v[41:42], -v[111:112]
	v_fma_f64 v[109:110], v[51:52], v[41:42], v[43:44]
	v_add_f64 v[61:62], v[61:62], v[67:68]
	v_add_f64 v[63:64], v[79:80], v[63:64]
	;; [unrolled: 1-line block ×4, first 2 shown]
	ds_read_b128 v[33:36], v29 offset:96
	ds_read_b128 v[37:40], v28 offset:3072
	v_fma_f64 v[49:50], v[49:50], v[45:46], -v[95:96]
	v_fma_f64 v[51:52], v[51:52], v[45:46], v[47:48]
	v_add_f64 v[57:58], v[71:72], v[57:58]
	v_add_f64 v[65:66], v[3:4], v[65:66]
	ds_read_b128 v[41:44], v28 offset:3328
	ds_read_b128 v[45:48], v29 offset:2144
	v_fma_f64 v[69:70], v[5:6], v[19:20], -v[69:70]
	v_fma_f64 v[71:72], v[7:8], v[19:20], v[73:74]
	v_fma_f64 v[73:74], v[5:6], v[23:24], -v[75:76]
	v_fma_f64 v[75:76], v[7:8], v[23:24], v[97:98]
	;; [unrolled: 2-line block ×4, first 2 shown]
	v_add_f64 v[55:56], v[55:56], v[77:78]
	v_add_f64 v[59:60], v[85:86], v[59:60]
	ds_read_b128 v[3:6], v29 offset:112
	ds_read_b128 v[7:10], v29 offset:2160
	v_add_f64 v[61:62], v[61:62], v[87:88]
	v_add_f64 v[63:64], v[93:94], v[63:64]
	s_waitcnt lgkmcnt(4)
	v_mul_f64 v[89:90], v[35:36], v[39:40]
	v_mul_f64 v[25:26], v[33:34], v[39:40]
	ds_read_b128 v[15:18], v28 offset:3584
	ds_read_b128 v[19:22], v28 offset:3840
	v_add_f64 v[49:50], v[67:68], v[49:50]
	s_waitcnt lgkmcnt(5)
	v_mul_f64 v[91:92], v[35:36], v[43:44]
	v_mul_f64 v[95:96], v[33:34], v[43:44]
	s_waitcnt lgkmcnt(4)
	v_mul_f64 v[97:98], v[47:48], v[39:40]
	v_mul_f64 v[39:40], v[45:46], v[39:40]
	v_add_f64 v[57:58], v[57:58], v[105:106]
	v_add_f64 v[65:66], v[109:110], v[65:66]
	;; [unrolled: 1-line block ×3, first 2 shown]
	v_mul_f64 v[53:54], v[47:48], v[43:44]
	v_mul_f64 v[43:44], v[45:46], v[43:44]
	s_waitcnt lgkmcnt(0)
	s_barrier
	buffer_gl0_inv
	v_fma_f64 v[67:68], v[33:34], v[37:38], -v[89:90]
	v_fma_f64 v[25:26], v[35:36], v[37:38], v[25:26]
	v_add_f64 v[49:50], v[49:50], v[83:84]
	v_fma_f64 v[33:34], v[33:34], v[41:42], -v[91:92]
	v_fma_f64 v[35:36], v[35:36], v[41:42], v[95:96]
	v_fma_f64 v[77:78], v[45:46], v[37:38], -v[97:98]
	v_fma_f64 v[37:38], v[47:48], v[37:38], v[39:40]
	v_add_f64 v[39:40], v[55:56], v[69:70]
	v_add_f64 v[55:56], v[71:72], v[59:60]
	;; [unrolled: 1-line block ×7, first 2 shown]
	v_fma_f64 v[45:46], v[45:46], v[41:42], -v[53:54]
	v_fma_f64 v[41:42], v[47:48], v[41:42], v[43:44]
	v_mul_f64 v[43:44], v[5:6], v[17:18]
	v_mul_f64 v[47:48], v[3:4], v[17:18]
	;; [unrolled: 1-line block ×8, first 2 shown]
	v_add_f64 v[39:40], v[39:40], v[67:68]
	v_add_f64 v[25:26], v[25:26], v[55:56]
	;; [unrolled: 1-line block ×8, first 2 shown]
	v_fma_f64 v[23:24], v[3:4], v[15:16], -v[43:44]
	v_fma_f64 v[43:44], v[5:6], v[15:16], v[47:48]
	v_fma_f64 v[3:4], v[3:4], v[19:20], -v[51:52]
	v_fma_f64 v[5:6], v[5:6], v[19:20], v[53:54]
	;; [unrolled: 2-line block ×4, first 2 shown]
	v_add_f64 v[23:24], v[39:40], v[23:24]
	v_add_f64 v[25:26], v[43:44], v[25:26]
	;; [unrolled: 1-line block ×8, first 2 shown]
	s_cbranch_scc0 .LBB122_13
.LBB122_7:                              ; =>This Inner Loop Header: Depth=1
	v_add_nc_u32_e32 v3, s30, v30
	v_cmp_le_i32_e64 s0, s11, v3
	s_or_b32 s0, s1, s0
	s_and_saveexec_b32 s6, s0
	s_xor_b32 s0, exec_lo, s6
	s_cbranch_execz .LBB122_9
; %bb.8:                                ;   in Loop: Header=BB122_7 Depth=1
	v_mov_b32_e32 v3, v2
	v_mov_b32_e32 v4, v2
	;; [unrolled: 1-line block ×3, first 2 shown]
	ds_write_b128 v31, v[2:5]
.LBB122_9:                              ;   in Loop: Header=BB122_7 Depth=1
	s_andn2_saveexec_b32 s0, s0
	s_cbranch_execz .LBB122_11
; %bb.10:                               ;   in Loop: Header=BB122_7 Depth=1
	global_load_dwordx4 v[3:6], v[11:12], off
	s_waitcnt vmcnt(0)
	ds_write2_b64 v31, v[3:4], v[5:6] offset1:1
.LBB122_11:                             ;   in Loop: Header=BB122_7 Depth=1
	s_or_b32 exec_lo, exec_lo, s0
	v_add_nc_u32_e32 v3, s30, v27
	v_mov_b32_e32 v5, 0
	v_mov_b32_e32 v6, 0
	v_cmp_gt_i32_e64 s0, s11, v3
	v_mov_b32_e32 v3, 0
	v_mov_b32_e32 v4, 0
	s_and_b32 s6, s0, vcc_lo
	s_and_saveexec_b32 s0, s6
	s_cbranch_execz .LBB122_6
; %bb.12:                               ;   in Loop: Header=BB122_7 Depth=1
	global_load_dwordx4 v[3:6], v[13:14], off offset:-8
	s_waitcnt vmcnt(0)
	v_xor_b32_e32 v6, 0x80000000, v6
	s_branch .LBB122_6
.LBB122_13:
	s_clause 0x1
	s_load_dword s3, s[4:5], 0x50
	s_load_dwordx2 s[0:1], s[4:5], 0x58
	v_cmp_neq_f64_e64 s2, s[12:13], 0
	v_add_nc_u32_e32 v27, s29, v1
	v_add_nc_u32_e32 v4, s28, v0
	v_cmp_le_i32_e32 vcc_lo, v27, v4
	v_ashrrev_i32_e32 v5, 31, v4
	s_waitcnt lgkmcnt(0)
	v_mad_i64_i32 v[0:1], null, v27, s3, 0
	s_mul_i32 s1, s1, s8
	s_mul_hi_u32 s5, s0, s8
	s_mul_i32 s4, s0, s8
	s_add_i32 s5, s5, s1
	v_cmp_gt_i32_e64 s0, s10, v4
	s_lshl_b64 s[4:5], s[4:5], 4
	v_lshlrev_b64 v[0:1], 4, v[0:1]
	s_add_u32 s4, s22, s4
	s_addc_u32 s5, s23, s5
	s_xor_b32 s6, s9, -1
	s_or_b32 s2, s2, s6
	v_add_co_u32 v13, s1, s4, v0
	v_add_co_ci_u32_e64 v14, null, s5, v1, s1
	v_cndmask_b32_e64 v6, 0, 1, s2
	s_and_b32 s6, vcc_lo, s0
	s_and_saveexec_b32 s1, s6
	s_cbranch_execz .LBB122_17
; %bb.14:
	v_mul_f64 v[0:1], s[18:19], v[25:26]
	v_mul_f64 v[2:3], s[16:17], v[25:26]
	v_lshlrev_b64 v[11:12], 4, v[4:5]
	v_add_co_u32 v11, vcc_lo, v13, v11
	v_add_co_ci_u32_e64 v12, null, v14, v12, vcc_lo
	s_andn2_b32 vcc_lo, exec_lo, s2
	v_fma_f64 v[0:1], s[16:17], v[23:24], -v[0:1]
	v_fma_f64 v[2:3], s[18:19], v[23:24], v[2:3]
	s_cbranch_vccnz .LBB122_16
; %bb.15:
	global_load_dwordx4 v[23:26], v[11:12], off
	s_waitcnt vmcnt(0)
	v_mul_f64 v[28:29], s[14:15], v[25:26]
	v_mul_f64 v[25:26], s[12:13], v[25:26]
	v_fma_f64 v[28:29], s[12:13], v[23:24], -v[28:29]
	v_fma_f64 v[23:24], s[14:15], v[23:24], v[25:26]
	v_add_f64 v[0:1], v[0:1], v[28:29]
	v_add_f64 v[2:3], v[2:3], v[23:24]
.LBB122_16:
	global_store_dwordx4 v[11:12], v[0:3], off
.LBB122_17:
	s_or_b32 exec_lo, exec_lo, s1
	v_add_nc_u32_e32 v11, 16, v4
	v_cmp_le_i32_e32 vcc_lo, v27, v11
	v_cmp_gt_i32_e64 s1, s10, v11
	v_ashrrev_i32_e32 v12, 31, v11
	s_and_b32 s2, vcc_lo, s1
	s_and_saveexec_b32 s6, s2
	s_cbranch_execz .LBB122_21
; %bb.18:
	v_mul_f64 v[0:1], s[18:19], v[21:22]
	v_mul_f64 v[2:3], s[16:17], v[21:22]
	v_cmp_ne_u32_e32 vcc_lo, 1, v6
	s_and_b32 vcc_lo, exec_lo, vcc_lo
	v_fma_f64 v[0:1], s[16:17], v[19:20], -v[0:1]
	v_fma_f64 v[2:3], s[18:19], v[19:20], v[2:3]
	v_lshlrev_b64 v[19:20], 4, v[11:12]
	v_add_co_u32 v13, s2, v13, v19
	v_add_co_ci_u32_e64 v14, null, v14, v20, s2
	s_cbranch_vccnz .LBB122_20
; %bb.19:
	global_load_dwordx4 v[19:22], v[13:14], off
	s_waitcnt vmcnt(0)
	v_mul_f64 v[23:24], s[14:15], v[21:22]
	v_mul_f64 v[21:22], s[12:13], v[21:22]
	v_fma_f64 v[23:24], s[12:13], v[19:20], -v[23:24]
	v_fma_f64 v[19:20], s[14:15], v[19:20], v[21:22]
	v_add_f64 v[0:1], v[0:1], v[23:24]
	v_add_f64 v[2:3], v[2:3], v[19:20]
.LBB122_20:
	global_store_dwordx4 v[13:14], v[0:3], off
.LBB122_21:
	s_or_b32 exec_lo, exec_lo, s6
	v_add_nc_u32_e32 v19, 16, v27
	v_mad_i64_i32 v[0:1], null, v19, s3, 0
	v_cmp_le_i32_e32 vcc_lo, v19, v4
	s_and_b32 s0, vcc_lo, s0
	v_lshlrev_b64 v[0:1], 4, v[0:1]
	v_add_co_u32 v13, s2, s4, v0
	v_add_co_ci_u32_e64 v14, null, s5, v1, s2
	s_and_saveexec_b32 s2, s0
	s_cbranch_execz .LBB122_25
; %bb.22:
	v_mul_f64 v[0:1], s[18:19], v[17:18]
	v_mul_f64 v[2:3], s[16:17], v[17:18]
	v_lshlrev_b64 v[4:5], 4, v[4:5]
	v_cmp_ne_u32_e32 vcc_lo, 1, v6
	s_and_b32 vcc_lo, exec_lo, vcc_lo
	v_add_co_u32 v4, s0, v13, v4
	v_add_co_ci_u32_e64 v5, null, v14, v5, s0
	v_fma_f64 v[0:1], s[16:17], v[15:16], -v[0:1]
	v_fma_f64 v[2:3], s[18:19], v[15:16], v[2:3]
	s_cbranch_vccnz .LBB122_24
; %bb.23:
	global_load_dwordx4 v[15:18], v[4:5], off
	s_waitcnt vmcnt(0)
	v_mul_f64 v[20:21], s[14:15], v[17:18]
	v_mul_f64 v[17:18], s[12:13], v[17:18]
	v_fma_f64 v[20:21], s[12:13], v[15:16], -v[20:21]
	v_fma_f64 v[15:16], s[14:15], v[15:16], v[17:18]
	v_add_f64 v[0:1], v[0:1], v[20:21]
	v_add_f64 v[2:3], v[2:3], v[15:16]
.LBB122_24:
	global_store_dwordx4 v[4:5], v[0:3], off
.LBB122_25:
	s_or_b32 exec_lo, exec_lo, s2
	v_cmp_le_i32_e32 vcc_lo, v19, v11
	s_and_b32 s0, vcc_lo, s1
	s_and_saveexec_b32 s1, s0
	s_cbranch_execz .LBB122_30
; %bb.26:
	v_mul_f64 v[0:1], s[18:19], v[7:8]
	v_mul_f64 v[2:3], s[16:17], v[7:8]
	v_lshlrev_b64 v[4:5], 4, v[11:12]
	v_cmp_ne_u32_e32 vcc_lo, 1, v6
	s_and_b32 vcc_lo, exec_lo, vcc_lo
	v_add_co_u32 v4, s0, v13, v4
	v_add_co_ci_u32_e64 v5, null, v14, v5, s0
	v_fma_f64 v[0:1], s[16:17], v[9:10], -v[0:1]
	v_fma_f64 v[2:3], s[18:19], v[9:10], v[2:3]
	s_cbranch_vccnz .LBB122_28
; %bb.27:
	global_load_dwordx4 v[6:9], v[4:5], off
	s_waitcnt vmcnt(0)
	v_mul_f64 v[10:11], s[14:15], v[8:9]
	v_mul_f64 v[8:9], s[12:13], v[8:9]
	v_fma_f64 v[10:11], s[12:13], v[6:7], -v[10:11]
	v_fma_f64 v[6:7], s[14:15], v[6:7], v[8:9]
	v_add_f64 v[0:1], v[0:1], v[10:11]
	v_add_f64 v[2:3], v[2:3], v[6:7]
.LBB122_28:
	global_store_dwordx4 v[4:5], v[0:3], off
	s_endpgm
.LBB122_29:
.LBB122_30:
	s_endpgm
	.section	.rodata,"a",@progbits
	.p2align	6, 0x0
	.amdhsa_kernel _ZL29rocblas_internal_gemmt_kernelIiLi16ELi32ELi8ELc84ELc67ELc76ELb0ELb1E19rocblas_complex_numIdEPKS1_S3_PS1_EviT_T9_T10_S5_lS7_S5_lS6_T11_S5_li
		.amdhsa_group_segment_fixed_size 8192
		.amdhsa_private_segment_fixed_size 0
		.amdhsa_kernarg_size 100
		.amdhsa_user_sgpr_count 6
		.amdhsa_user_sgpr_private_segment_buffer 1
		.amdhsa_user_sgpr_dispatch_ptr 0
		.amdhsa_user_sgpr_queue_ptr 0
		.amdhsa_user_sgpr_kernarg_segment_ptr 1
		.amdhsa_user_sgpr_dispatch_id 0
		.amdhsa_user_sgpr_flat_scratch_init 0
		.amdhsa_user_sgpr_private_segment_size 0
		.amdhsa_wavefront_size32 1
		.amdhsa_uses_dynamic_stack 0
		.amdhsa_system_sgpr_private_segment_wavefront_offset 0
		.amdhsa_system_sgpr_workgroup_id_x 1
		.amdhsa_system_sgpr_workgroup_id_y 1
		.amdhsa_system_sgpr_workgroup_id_z 1
		.amdhsa_system_sgpr_workgroup_info 0
		.amdhsa_system_vgpr_workitem_id 1
		.amdhsa_next_free_vgpr 127
		.amdhsa_next_free_sgpr 31
		.amdhsa_reserve_vcc 1
		.amdhsa_reserve_flat_scratch 0
		.amdhsa_float_round_mode_32 0
		.amdhsa_float_round_mode_16_64 0
		.amdhsa_float_denorm_mode_32 3
		.amdhsa_float_denorm_mode_16_64 3
		.amdhsa_dx10_clamp 1
		.amdhsa_ieee_mode 1
		.amdhsa_fp16_overflow 0
		.amdhsa_workgroup_processor_mode 1
		.amdhsa_memory_ordered 1
		.amdhsa_forward_progress 1
		.amdhsa_shared_vgpr_count 0
		.amdhsa_exception_fp_ieee_invalid_op 0
		.amdhsa_exception_fp_denorm_src 0
		.amdhsa_exception_fp_ieee_div_zero 0
		.amdhsa_exception_fp_ieee_overflow 0
		.amdhsa_exception_fp_ieee_underflow 0
		.amdhsa_exception_fp_ieee_inexact 0
		.amdhsa_exception_int_div_zero 0
	.end_amdhsa_kernel
	.section	.text._ZL29rocblas_internal_gemmt_kernelIiLi16ELi32ELi8ELc84ELc67ELc76ELb0ELb1E19rocblas_complex_numIdEPKS1_S3_PS1_EviT_T9_T10_S5_lS7_S5_lS6_T11_S5_li,"axG",@progbits,_ZL29rocblas_internal_gemmt_kernelIiLi16ELi32ELi8ELc84ELc67ELc76ELb0ELb1E19rocblas_complex_numIdEPKS1_S3_PS1_EviT_T9_T10_S5_lS7_S5_lS6_T11_S5_li,comdat
.Lfunc_end122:
	.size	_ZL29rocblas_internal_gemmt_kernelIiLi16ELi32ELi8ELc84ELc67ELc76ELb0ELb1E19rocblas_complex_numIdEPKS1_S3_PS1_EviT_T9_T10_S5_lS7_S5_lS6_T11_S5_li, .Lfunc_end122-_ZL29rocblas_internal_gemmt_kernelIiLi16ELi32ELi8ELc84ELc67ELc76ELb0ELb1E19rocblas_complex_numIdEPKS1_S3_PS1_EviT_T9_T10_S5_lS7_S5_lS6_T11_S5_li
                                        ; -- End function
	.set _ZL29rocblas_internal_gemmt_kernelIiLi16ELi32ELi8ELc84ELc67ELc76ELb0ELb1E19rocblas_complex_numIdEPKS1_S3_PS1_EviT_T9_T10_S5_lS7_S5_lS6_T11_S5_li.num_vgpr, 127
	.set _ZL29rocblas_internal_gemmt_kernelIiLi16ELi32ELi8ELc84ELc67ELc76ELb0ELb1E19rocblas_complex_numIdEPKS1_S3_PS1_EviT_T9_T10_S5_lS7_S5_lS6_T11_S5_li.num_agpr, 0
	.set _ZL29rocblas_internal_gemmt_kernelIiLi16ELi32ELi8ELc84ELc67ELc76ELb0ELb1E19rocblas_complex_numIdEPKS1_S3_PS1_EviT_T9_T10_S5_lS7_S5_lS6_T11_S5_li.numbered_sgpr, 31
	.set _ZL29rocblas_internal_gemmt_kernelIiLi16ELi32ELi8ELc84ELc67ELc76ELb0ELb1E19rocblas_complex_numIdEPKS1_S3_PS1_EviT_T9_T10_S5_lS7_S5_lS6_T11_S5_li.num_named_barrier, 0
	.set _ZL29rocblas_internal_gemmt_kernelIiLi16ELi32ELi8ELc84ELc67ELc76ELb0ELb1E19rocblas_complex_numIdEPKS1_S3_PS1_EviT_T9_T10_S5_lS7_S5_lS6_T11_S5_li.private_seg_size, 0
	.set _ZL29rocblas_internal_gemmt_kernelIiLi16ELi32ELi8ELc84ELc67ELc76ELb0ELb1E19rocblas_complex_numIdEPKS1_S3_PS1_EviT_T9_T10_S5_lS7_S5_lS6_T11_S5_li.uses_vcc, 1
	.set _ZL29rocblas_internal_gemmt_kernelIiLi16ELi32ELi8ELc84ELc67ELc76ELb0ELb1E19rocblas_complex_numIdEPKS1_S3_PS1_EviT_T9_T10_S5_lS7_S5_lS6_T11_S5_li.uses_flat_scratch, 0
	.set _ZL29rocblas_internal_gemmt_kernelIiLi16ELi32ELi8ELc84ELc67ELc76ELb0ELb1E19rocblas_complex_numIdEPKS1_S3_PS1_EviT_T9_T10_S5_lS7_S5_lS6_T11_S5_li.has_dyn_sized_stack, 0
	.set _ZL29rocblas_internal_gemmt_kernelIiLi16ELi32ELi8ELc84ELc67ELc76ELb0ELb1E19rocblas_complex_numIdEPKS1_S3_PS1_EviT_T9_T10_S5_lS7_S5_lS6_T11_S5_li.has_recursion, 0
	.set _ZL29rocblas_internal_gemmt_kernelIiLi16ELi32ELi8ELc84ELc67ELc76ELb0ELb1E19rocblas_complex_numIdEPKS1_S3_PS1_EviT_T9_T10_S5_lS7_S5_lS6_T11_S5_li.has_indirect_call, 0
	.section	.AMDGPU.csdata,"",@progbits
; Kernel info:
; codeLenInByte = 3568
; TotalNumSgprs: 33
; NumVgprs: 127
; ScratchSize: 0
; MemoryBound: 1
; FloatMode: 240
; IeeeMode: 1
; LDSByteSize: 8192 bytes/workgroup (compile time only)
; SGPRBlocks: 0
; VGPRBlocks: 15
; NumSGPRsForWavesPerEU: 33
; NumVGPRsForWavesPerEU: 127
; Occupancy: 8
; WaveLimiterHint : 0
; COMPUTE_PGM_RSRC2:SCRATCH_EN: 0
; COMPUTE_PGM_RSRC2:USER_SGPR: 6
; COMPUTE_PGM_RSRC2:TRAP_HANDLER: 0
; COMPUTE_PGM_RSRC2:TGID_X_EN: 1
; COMPUTE_PGM_RSRC2:TGID_Y_EN: 1
; COMPUTE_PGM_RSRC2:TGID_Z_EN: 1
; COMPUTE_PGM_RSRC2:TIDIG_COMP_CNT: 1
	.section	.text._ZL29rocblas_internal_gemmt_kernelIiLi16ELi32ELi8ELc67ELc78ELc76ELb1ELb0E19rocblas_complex_numIdEPKS1_S3_PS1_EviT_T9_T10_S5_lS7_S5_lS6_T11_S5_li,"axG",@progbits,_ZL29rocblas_internal_gemmt_kernelIiLi16ELi32ELi8ELc67ELc78ELc76ELb1ELb0E19rocblas_complex_numIdEPKS1_S3_PS1_EviT_T9_T10_S5_lS7_S5_lS6_T11_S5_li,comdat
	.globl	_ZL29rocblas_internal_gemmt_kernelIiLi16ELi32ELi8ELc67ELc78ELc76ELb1ELb0E19rocblas_complex_numIdEPKS1_S3_PS1_EviT_T9_T10_S5_lS7_S5_lS6_T11_S5_li ; -- Begin function _ZL29rocblas_internal_gemmt_kernelIiLi16ELi32ELi8ELc67ELc78ELc76ELb1ELb0E19rocblas_complex_numIdEPKS1_S3_PS1_EviT_T9_T10_S5_lS7_S5_lS6_T11_S5_li
	.p2align	8
	.type	_ZL29rocblas_internal_gemmt_kernelIiLi16ELi32ELi8ELc67ELc78ELc76ELb1ELb0E19rocblas_complex_numIdEPKS1_S3_PS1_EviT_T9_T10_S5_lS7_S5_lS6_T11_S5_li,@function
_ZL29rocblas_internal_gemmt_kernelIiLi16ELi32ELi8ELc67ELc78ELc76ELb1ELb0E19rocblas_complex_numIdEPKS1_S3_PS1_EviT_T9_T10_S5_lS7_S5_lS6_T11_S5_li: ; @_ZL29rocblas_internal_gemmt_kernelIiLi16ELi32ELi8ELc67ELc78ELc76ELb1ELb0E19rocblas_complex_numIdEPKS1_S3_PS1_EviT_T9_T10_S5_lS7_S5_lS6_T11_S5_li
; %bb.0:
	s_load_dwordx4 s[20:23], s[4:5], 0x38
	s_waitcnt lgkmcnt(0)
	s_load_dwordx4 s[12:15], s[22:23], 0x0
	s_clause 0x1
	s_load_dwordx4 s[0:3], s[4:5], 0x8
	s_load_dwordx2 s[10:11], s[4:5], 0x0
	s_waitcnt lgkmcnt(0)
	s_load_dwordx4 s[16:19], s[0:1], 0x0
	v_cmp_eq_f64_e64 s22, s[12:13], 1.0
	v_cmp_eq_f64_e64 s9, s[14:15], 0
	s_and_b32 s0, s22, s9
	s_andn2_b32 vcc_lo, exec_lo, s0
	s_mov_b32 s0, -1
	s_cbranch_vccnz .LBB123_3
; %bb.1:
	s_cmp_lg_u32 s11, 0
	s_cbranch_scc0 .LBB123_29
; %bb.2:
	s_waitcnt lgkmcnt(0)
	v_cmp_neq_f64_e64 s0, s[16:17], 0
	v_cmp_neq_f64_e64 s1, s[18:19], 0
	s_or_b32 s0, s0, s1
.LBB123_3:
	s_and_b32 vcc_lo, exec_lo, s0
	s_cbranch_vccz .LBB123_30
; %bb.4:
	s_waitcnt lgkmcnt(0)
	v_cmp_eq_f64_e64 s0, s[16:17], 0
	v_cmp_eq_f64_e64 s1, s[18:19], 0
	s_load_dwordx2 s[22:23], s[4:5], 0x48
	s_lshl_b32 s6, s6, 5
	s_lshl_b32 s7, s7, 5
	v_mov_b32_e32 v23, 0
	v_mov_b32_e32 v25, 0
	v_mov_b32_e32 v19, 0
	v_mov_b32_e32 v21, 0
	v_mov_b32_e32 v15, 0
	v_mov_b32_e32 v17, 0
	v_mov_b32_e32 v9, 0
	v_mov_b32_e32 v7, 0
	v_mov_b32_e32 v24, 0
	v_mov_b32_e32 v26, 0
	v_mov_b32_e32 v20, 0
	v_mov_b32_e32 v22, 0
	v_mov_b32_e32 v16, 0
	v_mov_b32_e32 v18, 0
	v_mov_b32_e32 v10, 0
	v_mov_b32_e32 v8, 0
	s_mov_b32 s28, 0
	s_and_b32 s0, s0, s1
	s_cmp_lt_i32 s11, 1
	s_cselect_b32 s1, -1, 0
	s_or_b32 s0, s0, s1
	s_and_b32 vcc_lo, exec_lo, s0
	s_cbranch_vccnz .LBB123_13
; %bb.5:
	s_load_dword s0, s[4:5], 0x18
	v_lshl_add_u32 v2, v1, 4, v0
	s_clause 0x1
	s_load_dwordx4 s[24:27], s[4:5], 0x20
	s_load_dword s1, s[4:5], 0x30
	v_and_b32_e32 v27, 7, v0
	v_mov_b32_e32 v17, 0
	v_mov_b32_e32 v15, 0
	v_and_b32_e32 v4, 31, v2
	v_lshrrev_b32_e32 v3, 3, v2
	v_lshrrev_b32_e32 v30, 5, v2
	v_lshlrev_b32_e32 v6, 4, v27
	v_mov_b32_e32 v21, 0
	v_add_nc_u32_e32 v2, s6, v4
	v_add_nc_u32_e32 v5, s7, v3
	v_or_b32_e32 v7, s6, v4
	v_lshl_or_b32 v8, v3, 7, v6
	v_lshlrev_b32_e32 v4, 4, v4
	v_lshlrev_b32_e32 v9, 4, v30
	v_mov_b32_e32 v19, 0
	v_cmp_gt_i32_e32 vcc_lo, s10, v7
	v_add_nc_u32_e32 v32, 0x1000, v8
	s_waitcnt lgkmcnt(0)
	v_mad_i64_i32 v[2:3], null, s0, v2, 0
	v_lshl_or_b32 v31, v30, 9, v4
	v_cmp_gt_i32_e64 s0, s10, v5
	s_mul_i32 s25, s25, s8
	s_mul_hi_u32 s29, s24, s8
	v_mad_i64_i32 v[4:5], null, s1, v5, 0
	v_lshlrev_b64 v[2:3], 4, v[2:3]
	s_mul_i32 s24, s24, s8
	s_add_i32 s25, s29, s25
	v_mov_b32_e32 v25, 0
	s_lshl_b64 s[24:25], s[24:25], 4
	v_mov_b32_e32 v23, 0
	v_add_co_u32 v7, s1, v2, s24
	v_add_co_ci_u32_e64 v8, null, s25, v3, s1
	s_mul_i32 s1, s21, s8
	s_mul_hi_u32 s21, s20, s8
	v_lshlrev_b64 v[2:3], 4, v[4:5]
	s_add_i32 s21, s21, s1
	s_mul_i32 s20, s20, s8
	v_add_co_u32 v4, s1, v7, v9
	s_lshl_b64 s[20:21], s[20:21], 4
	v_add_co_ci_u32_e64 v5, null, 0, v8, s1
	v_add_co_u32 v2, s1, v2, s20
	v_add_co_ci_u32_e64 v3, null, s21, v3, s1
	v_add_co_u32 v4, s1, s2, v4
	;; [unrolled: 2-line block ×5, first 2 shown]
	v_mov_b32_e32 v7, 0
	v_mov_b32_e32 v9, 0
	v_lshlrev_b32_e32 v28, 4, v0
	v_lshl_add_u32 v29, v1, 7, 0x1000
	v_add_co_ci_u32_e64 v14, null, s27, v3, s1
	v_mov_b32_e32 v8, 0
	v_mov_b32_e32 v10, 0
	;; [unrolled: 1-line block ×9, first 2 shown]
	s_xor_b32 s1, s0, -1
	s_branch .LBB123_7
.LBB123_6:                              ;   in Loop: Header=BB123_7 Depth=1
	s_or_b32 exec_lo, exec_lo, s0
	s_waitcnt lgkmcnt(0)
	s_barrier
	buffer_gl0_inv
	ds_read_b128 v[3:6], v29
	ds_read_b128 v[33:36], v28
	ds_read_b128 v[37:40], v28 offset:256
	ds_read_b128 v[41:44], v29 offset:2048
	;; [unrolled: 1-line block ×12, first 2 shown]
	v_add_co_u32 v11, s0, 0x80, v11
	v_add_co_ci_u32_e64 v12, null, 0, v12, s0
	v_add_co_u32 v13, s0, 0x80, v13
	v_add_co_ci_u32_e64 v14, null, 0, v14, s0
	s_waitcnt lgkmcnt(12)
	v_mul_f64 v[85:86], v[5:6], v[35:36]
	v_mul_f64 v[87:88], v[3:4], v[35:36]
	s_waitcnt lgkmcnt(11)
	v_mul_f64 v[89:90], v[5:6], v[39:40]
	v_mul_f64 v[91:92], v[3:4], v[39:40]
	;; [unrolled: 3-line block ×3, first 2 shown]
	v_mul_f64 v[95:96], v[43:44], v[39:40]
	v_mul_f64 v[39:40], v[41:42], v[39:40]
	s_waitcnt lgkmcnt(8)
	v_mul_f64 v[97:98], v[47:48], v[51:52]
	v_mul_f64 v[99:100], v[45:46], v[51:52]
	s_waitcnt lgkmcnt(7)
	;; [unrolled: 3-line block ×3, first 2 shown]
	v_mul_f64 v[105:106], v[59:60], v[51:52]
	v_mul_f64 v[51:52], v[57:58], v[51:52]
	;; [unrolled: 1-line block ×4, first 2 shown]
	s_waitcnt lgkmcnt(4)
	v_mul_f64 v[109:110], v[63:64], v[67:68]
	v_mul_f64 v[111:112], v[61:62], v[67:68]
	s_waitcnt lgkmcnt(3)
	v_mul_f64 v[113:114], v[63:64], v[71:72]
	v_mul_f64 v[115:116], v[61:62], v[71:72]
	;; [unrolled: 3-line block ×3, first 2 shown]
	v_fma_f64 v[85:86], v[3:4], v[33:34], -v[85:86]
	v_fma_f64 v[87:88], v[5:6], v[33:34], v[87:88]
	v_fma_f64 v[89:90], v[3:4], v[37:38], -v[89:90]
	v_fma_f64 v[91:92], v[5:6], v[37:38], v[91:92]
	;; [unrolled: 2-line block ×4, first 2 shown]
	v_mul_f64 v[123:124], v[75:76], v[71:72]
	v_mul_f64 v[71:72], v[73:74], v[71:72]
	v_fma_f64 v[97:98], v[45:46], v[49:50], -v[97:98]
	v_fma_f64 v[99:100], v[47:48], v[49:50], v[99:100]
	v_fma_f64 v[101:102], v[45:46], v[53:54], -v[101:102]
	v_fma_f64 v[103:104], v[47:48], v[53:54], v[103:104]
	;; [unrolled: 2-line block ×7, first 2 shown]
	v_add_f64 v[23:24], v[23:24], v[85:86]
	v_add_f64 v[25:26], v[87:88], v[25:26]
	;; [unrolled: 1-line block ×6, first 2 shown]
	v_fma_f64 v[73:74], v[73:74], v[69:70], -v[123:124]
	v_fma_f64 v[69:70], v[75:76], v[69:70], v[71:72]
	v_add_f64 v[71:72], v[15:16], v[93:94]
	v_add_f64 v[75:76], v[119:120], v[17:18]
	ds_read_b128 v[3:6], v28 offset:1536
	ds_read_b128 v[33:36], v28 offset:1792
	ds_read_b128 v[37:40], v29 offset:64
	ds_read_b128 v[41:44], v28 offset:2048
	ds_read_b128 v[45:48], v28 offset:2304
	ds_read_b128 v[49:52], v29 offset:2112
	ds_read_b128 v[15:18], v29 offset:2128
	s_add_i32 s28, s28, 8
	s_cmp_lt_i32 s28, s11
	v_add_f64 v[97:98], v[23:24], v[97:98]
	v_add_f64 v[99:100], v[99:100], v[25:26]
	v_add_f64 v[101:102], v[19:20], v[101:102]
	v_add_f64 v[103:104], v[103:104], v[21:22]
	v_add_f64 v[9:10], v[9:10], v[57:58]
	v_add_f64 v[53:54], v[53:54], v[85:86]
	ds_read_b128 v[19:22], v28 offset:2560
	ds_read_b128 v[23:26], v28 offset:2816
	s_waitcnt lgkmcnt(8)
	v_mul_f64 v[109:110], v[79:80], v[5:6]
	v_mul_f64 v[111:112], v[77:78], v[5:6]
	s_waitcnt lgkmcnt(7)
	v_mul_f64 v[67:68], v[79:80], v[35:36]
	v_mul_f64 v[113:114], v[77:78], v[35:36]
	;; [unrolled: 1-line block ×6, first 2 shown]
	s_waitcnt lgkmcnt(4)
	v_mul_f64 v[95:96], v[39:40], v[47:48]
	v_add_f64 v[71:72], v[71:72], v[105:106]
	v_add_f64 v[75:76], v[125:126], v[75:76]
	v_mul_f64 v[93:94], v[37:38], v[43:44]
	ds_read_b128 v[5:8], v29 offset:80
	v_add_f64 v[55:56], v[97:98], v[55:56]
	v_add_f64 v[59:60], v[59:60], v[99:100]
	;; [unrolled: 1-line block ×6, first 2 shown]
	s_waitcnt lgkmcnt(2)
	v_mul_f64 v[99:100], v[17:18], v[21:22]
	s_waitcnt lgkmcnt(1)
	v_mul_f64 v[101:102], v[17:18], v[25:26]
	v_fma_f64 v[89:90], v[77:78], v[3:4], -v[109:110]
	v_fma_f64 v[91:92], v[79:80], v[3:4], v[111:112]
	v_fma_f64 v[67:68], v[77:78], v[33:34], -v[67:68]
	v_mul_f64 v[77:78], v[39:40], v[43:44]
	v_mul_f64 v[109:110], v[37:38], v[47:48]
	v_fma_f64 v[79:80], v[79:80], v[33:34], v[113:114]
	v_mul_f64 v[111:112], v[51:52], v[43:44]
	v_mul_f64 v[43:44], v[49:50], v[43:44]
	v_fma_f64 v[57:58], v[81:82], v[3:4], -v[115:116]
	v_fma_f64 v[3:4], v[83:84], v[3:4], v[117:118]
	v_fma_f64 v[81:82], v[81:82], v[33:34], -v[87:88]
	v_fma_f64 v[83:84], v[83:84], v[33:34], v[35:36]
	v_fma_f64 v[87:88], v[37:38], v[45:46], -v[95:96]
	v_mul_f64 v[95:96], v[51:52], v[47:48]
	v_mul_f64 v[47:48], v[49:50], v[47:48]
	v_add_f64 v[71:72], v[71:72], v[107:108]
	v_add_f64 v[65:66], v[65:66], v[75:76]
	v_fma_f64 v[85:86], v[39:40], v[41:42], v[93:94]
	s_waitcnt lgkmcnt(0)
	v_mul_f64 v[69:70], v[7:8], v[21:22]
	v_mul_f64 v[73:74], v[5:6], v[21:22]
	;; [unrolled: 1-line block ×6, first 2 shown]
	v_add_f64 v[55:56], v[55:56], v[89:90]
	v_fma_f64 v[77:78], v[37:38], v[41:42], -v[77:78]
	v_fma_f64 v[93:94], v[39:40], v[45:46], v[109:110]
	v_add_f64 v[59:60], v[91:92], v[59:60]
	v_fma_f64 v[105:106], v[49:50], v[41:42], -v[111:112]
	v_fma_f64 v[109:110], v[51:52], v[41:42], v[43:44]
	v_add_f64 v[61:62], v[61:62], v[67:68]
	v_add_f64 v[63:64], v[79:80], v[63:64]
	;; [unrolled: 1-line block ×4, first 2 shown]
	ds_read_b128 v[33:36], v29 offset:96
	ds_read_b128 v[37:40], v28 offset:3072
	v_fma_f64 v[49:50], v[49:50], v[45:46], -v[95:96]
	v_fma_f64 v[51:52], v[51:52], v[45:46], v[47:48]
	v_add_f64 v[57:58], v[71:72], v[57:58]
	v_add_f64 v[65:66], v[3:4], v[65:66]
	ds_read_b128 v[41:44], v28 offset:3328
	ds_read_b128 v[45:48], v29 offset:2144
	v_fma_f64 v[69:70], v[5:6], v[19:20], -v[69:70]
	v_fma_f64 v[71:72], v[7:8], v[19:20], v[73:74]
	v_fma_f64 v[73:74], v[5:6], v[23:24], -v[75:76]
	v_fma_f64 v[75:76], v[7:8], v[23:24], v[97:98]
	;; [unrolled: 2-line block ×4, first 2 shown]
	v_add_f64 v[55:56], v[55:56], v[77:78]
	v_add_f64 v[59:60], v[85:86], v[59:60]
	ds_read_b128 v[3:6], v29 offset:112
	ds_read_b128 v[7:10], v29 offset:2160
	v_add_f64 v[61:62], v[61:62], v[87:88]
	v_add_f64 v[63:64], v[93:94], v[63:64]
	s_waitcnt lgkmcnt(4)
	v_mul_f64 v[89:90], v[35:36], v[39:40]
	v_mul_f64 v[25:26], v[33:34], v[39:40]
	ds_read_b128 v[15:18], v28 offset:3584
	ds_read_b128 v[19:22], v28 offset:3840
	v_add_f64 v[49:50], v[67:68], v[49:50]
	s_waitcnt lgkmcnt(5)
	v_mul_f64 v[91:92], v[35:36], v[43:44]
	v_mul_f64 v[95:96], v[33:34], v[43:44]
	s_waitcnt lgkmcnt(4)
	v_mul_f64 v[97:98], v[47:48], v[39:40]
	v_mul_f64 v[39:40], v[45:46], v[39:40]
	v_add_f64 v[57:58], v[57:58], v[105:106]
	v_add_f64 v[65:66], v[109:110], v[65:66]
	;; [unrolled: 1-line block ×3, first 2 shown]
	v_mul_f64 v[53:54], v[47:48], v[43:44]
	v_mul_f64 v[43:44], v[45:46], v[43:44]
	s_waitcnt lgkmcnt(0)
	s_barrier
	buffer_gl0_inv
	v_fma_f64 v[67:68], v[33:34], v[37:38], -v[89:90]
	v_fma_f64 v[25:26], v[35:36], v[37:38], v[25:26]
	v_add_f64 v[49:50], v[49:50], v[83:84]
	v_fma_f64 v[33:34], v[33:34], v[41:42], -v[91:92]
	v_fma_f64 v[35:36], v[35:36], v[41:42], v[95:96]
	v_fma_f64 v[77:78], v[45:46], v[37:38], -v[97:98]
	v_fma_f64 v[37:38], v[47:48], v[37:38], v[39:40]
	v_add_f64 v[39:40], v[55:56], v[69:70]
	v_add_f64 v[55:56], v[71:72], v[59:60]
	v_add_f64 v[59:60], v[61:62], v[73:74]
	v_add_f64 v[61:62], v[75:76], v[63:64]
	v_add_f64 v[57:58], v[57:58], v[79:80]
	v_add_f64 v[63:64], v[81:82], v[65:66]
	v_add_f64 v[23:24], v[23:24], v[51:52]
	v_fma_f64 v[45:46], v[45:46], v[41:42], -v[53:54]
	v_fma_f64 v[41:42], v[47:48], v[41:42], v[43:44]
	v_mul_f64 v[43:44], v[5:6], v[17:18]
	v_mul_f64 v[47:48], v[3:4], v[17:18]
	;; [unrolled: 1-line block ×8, first 2 shown]
	v_add_f64 v[39:40], v[39:40], v[67:68]
	v_add_f64 v[25:26], v[25:26], v[55:56]
	;; [unrolled: 1-line block ×8, first 2 shown]
	v_fma_f64 v[23:24], v[3:4], v[15:16], -v[43:44]
	v_fma_f64 v[43:44], v[5:6], v[15:16], v[47:48]
	v_fma_f64 v[3:4], v[3:4], v[19:20], -v[51:52]
	v_fma_f64 v[5:6], v[5:6], v[19:20], v[53:54]
	;; [unrolled: 2-line block ×4, first 2 shown]
	v_add_f64 v[23:24], v[39:40], v[23:24]
	v_add_f64 v[25:26], v[43:44], v[25:26]
	;; [unrolled: 1-line block ×8, first 2 shown]
	s_cbranch_scc0 .LBB123_13
.LBB123_7:                              ; =>This Inner Loop Header: Depth=1
	v_add_nc_u32_e32 v3, s28, v30
	v_mov_b32_e32 v5, 0
	v_mov_b32_e32 v6, 0
	v_cmp_gt_i32_e64 s0, s11, v3
	v_mov_b32_e32 v3, 0
	v_mov_b32_e32 v4, 0
	s_and_b32 s2, vcc_lo, s0
	s_and_saveexec_b32 s0, s2
	s_cbranch_execz .LBB123_9
; %bb.8:                                ;   in Loop: Header=BB123_7 Depth=1
	global_load_dwordx4 v[3:6], v[11:12], off offset:-8
	s_waitcnt vmcnt(0)
	v_xor_b32_e32 v6, 0x80000000, v6
.LBB123_9:                              ;   in Loop: Header=BB123_7 Depth=1
	s_or_b32 exec_lo, exec_lo, s0
	v_add_nc_u32_e32 v33, s28, v27
	ds_write_b128 v31, v[3:6]
	v_cmp_le_i32_e64 s0, s11, v33
	s_or_b32 s0, s0, s1
	s_and_saveexec_b32 s2, s0
	s_xor_b32 s0, exec_lo, s2
	s_cbranch_execz .LBB123_11
; %bb.10:                               ;   in Loop: Header=BB123_7 Depth=1
	v_mov_b32_e32 v3, v2
	v_mov_b32_e32 v4, v2
	;; [unrolled: 1-line block ×3, first 2 shown]
	ds_write_b128 v32, v[2:5]
.LBB123_11:                             ;   in Loop: Header=BB123_7 Depth=1
	s_andn2_saveexec_b32 s0, s0
	s_cbranch_execz .LBB123_6
; %bb.12:                               ;   in Loop: Header=BB123_7 Depth=1
	global_load_dwordx4 v[3:6], v[13:14], off
	s_waitcnt vmcnt(0)
	ds_write2_b64 v32, v[3:4], v[5:6] offset1:1
	s_branch .LBB123_6
.LBB123_13:
	s_clause 0x1
	s_load_dword s3, s[4:5], 0x50
	s_load_dwordx2 s[0:1], s[4:5], 0x58
	v_cmp_neq_f64_e64 s2, s[12:13], 0
	v_add_nc_u32_e32 v27, s7, v1
	v_add_nc_u32_e32 v4, s6, v0
	v_cmp_le_i32_e32 vcc_lo, v27, v4
	v_ashrrev_i32_e32 v5, 31, v4
	s_waitcnt lgkmcnt(0)
	v_mad_i64_i32 v[0:1], null, v27, s3, 0
	s_mul_i32 s1, s1, s8
	s_mul_hi_u32 s5, s0, s8
	s_mul_i32 s4, s0, s8
	s_add_i32 s5, s5, s1
	v_cmp_gt_i32_e64 s0, s10, v4
	s_lshl_b64 s[4:5], s[4:5], 4
	v_lshlrev_b64 v[0:1], 4, v[0:1]
	s_add_u32 s4, s22, s4
	s_addc_u32 s5, s23, s5
	s_xor_b32 s6, s9, -1
	s_or_b32 s2, s2, s6
	v_add_co_u32 v13, s1, s4, v0
	v_add_co_ci_u32_e64 v14, null, s5, v1, s1
	v_cndmask_b32_e64 v6, 0, 1, s2
	s_and_b32 s6, vcc_lo, s0
	s_and_saveexec_b32 s1, s6
	s_cbranch_execz .LBB123_17
; %bb.14:
	v_mul_f64 v[0:1], s[18:19], v[25:26]
	v_mul_f64 v[2:3], s[16:17], v[25:26]
	v_lshlrev_b64 v[11:12], 4, v[4:5]
	v_add_co_u32 v11, vcc_lo, v13, v11
	v_add_co_ci_u32_e64 v12, null, v14, v12, vcc_lo
	s_andn2_b32 vcc_lo, exec_lo, s2
	v_fma_f64 v[0:1], s[16:17], v[23:24], -v[0:1]
	v_fma_f64 v[2:3], s[18:19], v[23:24], v[2:3]
	s_cbranch_vccnz .LBB123_16
; %bb.15:
	global_load_dwordx4 v[23:26], v[11:12], off
	s_waitcnt vmcnt(0)
	v_mul_f64 v[28:29], s[14:15], v[25:26]
	v_mul_f64 v[25:26], s[12:13], v[25:26]
	v_fma_f64 v[28:29], s[12:13], v[23:24], -v[28:29]
	v_fma_f64 v[23:24], s[14:15], v[23:24], v[25:26]
	v_add_f64 v[0:1], v[0:1], v[28:29]
	v_add_f64 v[2:3], v[2:3], v[23:24]
.LBB123_16:
	global_store_dwordx4 v[11:12], v[0:3], off
.LBB123_17:
	s_or_b32 exec_lo, exec_lo, s1
	v_add_nc_u32_e32 v11, 16, v4
	v_cmp_le_i32_e32 vcc_lo, v27, v11
	v_cmp_gt_i32_e64 s1, s10, v11
	v_ashrrev_i32_e32 v12, 31, v11
	s_and_b32 s2, vcc_lo, s1
	s_and_saveexec_b32 s6, s2
	s_cbranch_execz .LBB123_21
; %bb.18:
	v_mul_f64 v[0:1], s[18:19], v[21:22]
	v_mul_f64 v[2:3], s[16:17], v[21:22]
	v_cmp_ne_u32_e32 vcc_lo, 1, v6
	s_and_b32 vcc_lo, exec_lo, vcc_lo
	v_fma_f64 v[0:1], s[16:17], v[19:20], -v[0:1]
	v_fma_f64 v[2:3], s[18:19], v[19:20], v[2:3]
	v_lshlrev_b64 v[19:20], 4, v[11:12]
	v_add_co_u32 v13, s2, v13, v19
	v_add_co_ci_u32_e64 v14, null, v14, v20, s2
	s_cbranch_vccnz .LBB123_20
; %bb.19:
	global_load_dwordx4 v[19:22], v[13:14], off
	s_waitcnt vmcnt(0)
	v_mul_f64 v[23:24], s[14:15], v[21:22]
	v_mul_f64 v[21:22], s[12:13], v[21:22]
	v_fma_f64 v[23:24], s[12:13], v[19:20], -v[23:24]
	v_fma_f64 v[19:20], s[14:15], v[19:20], v[21:22]
	v_add_f64 v[0:1], v[0:1], v[23:24]
	v_add_f64 v[2:3], v[2:3], v[19:20]
.LBB123_20:
	global_store_dwordx4 v[13:14], v[0:3], off
.LBB123_21:
	s_or_b32 exec_lo, exec_lo, s6
	v_add_nc_u32_e32 v19, 16, v27
	v_mad_i64_i32 v[0:1], null, v19, s3, 0
	v_cmp_le_i32_e32 vcc_lo, v19, v4
	s_and_b32 s0, vcc_lo, s0
	v_lshlrev_b64 v[0:1], 4, v[0:1]
	v_add_co_u32 v13, s2, s4, v0
	v_add_co_ci_u32_e64 v14, null, s5, v1, s2
	s_and_saveexec_b32 s2, s0
	s_cbranch_execz .LBB123_25
; %bb.22:
	v_mul_f64 v[0:1], s[18:19], v[17:18]
	v_mul_f64 v[2:3], s[16:17], v[17:18]
	v_lshlrev_b64 v[4:5], 4, v[4:5]
	v_cmp_ne_u32_e32 vcc_lo, 1, v6
	s_and_b32 vcc_lo, exec_lo, vcc_lo
	v_add_co_u32 v4, s0, v13, v4
	v_add_co_ci_u32_e64 v5, null, v14, v5, s0
	v_fma_f64 v[0:1], s[16:17], v[15:16], -v[0:1]
	v_fma_f64 v[2:3], s[18:19], v[15:16], v[2:3]
	s_cbranch_vccnz .LBB123_24
; %bb.23:
	global_load_dwordx4 v[15:18], v[4:5], off
	s_waitcnt vmcnt(0)
	v_mul_f64 v[20:21], s[14:15], v[17:18]
	v_mul_f64 v[17:18], s[12:13], v[17:18]
	v_fma_f64 v[20:21], s[12:13], v[15:16], -v[20:21]
	v_fma_f64 v[15:16], s[14:15], v[15:16], v[17:18]
	v_add_f64 v[0:1], v[0:1], v[20:21]
	v_add_f64 v[2:3], v[2:3], v[15:16]
.LBB123_24:
	global_store_dwordx4 v[4:5], v[0:3], off
.LBB123_25:
	s_or_b32 exec_lo, exec_lo, s2
	v_cmp_le_i32_e32 vcc_lo, v19, v11
	s_and_b32 s0, vcc_lo, s1
	s_and_saveexec_b32 s1, s0
	s_cbranch_execz .LBB123_30
; %bb.26:
	v_mul_f64 v[0:1], s[18:19], v[7:8]
	v_mul_f64 v[2:3], s[16:17], v[7:8]
	v_lshlrev_b64 v[4:5], 4, v[11:12]
	v_cmp_ne_u32_e32 vcc_lo, 1, v6
	s_and_b32 vcc_lo, exec_lo, vcc_lo
	v_add_co_u32 v4, s0, v13, v4
	v_add_co_ci_u32_e64 v5, null, v14, v5, s0
	v_fma_f64 v[0:1], s[16:17], v[9:10], -v[0:1]
	v_fma_f64 v[2:3], s[18:19], v[9:10], v[2:3]
	s_cbranch_vccnz .LBB123_28
; %bb.27:
	global_load_dwordx4 v[6:9], v[4:5], off
	s_waitcnt vmcnt(0)
	v_mul_f64 v[10:11], s[14:15], v[8:9]
	v_mul_f64 v[8:9], s[12:13], v[8:9]
	v_fma_f64 v[10:11], s[12:13], v[6:7], -v[10:11]
	v_fma_f64 v[6:7], s[14:15], v[6:7], v[8:9]
	v_add_f64 v[0:1], v[0:1], v[10:11]
	v_add_f64 v[2:3], v[2:3], v[6:7]
.LBB123_28:
	global_store_dwordx4 v[4:5], v[0:3], off
	s_endpgm
.LBB123_29:
.LBB123_30:
	s_endpgm
	.section	.rodata,"a",@progbits
	.p2align	6, 0x0
	.amdhsa_kernel _ZL29rocblas_internal_gemmt_kernelIiLi16ELi32ELi8ELc67ELc78ELc76ELb1ELb0E19rocblas_complex_numIdEPKS1_S3_PS1_EviT_T9_T10_S5_lS7_S5_lS6_T11_S5_li
		.amdhsa_group_segment_fixed_size 8192
		.amdhsa_private_segment_fixed_size 0
		.amdhsa_kernarg_size 100
		.amdhsa_user_sgpr_count 6
		.amdhsa_user_sgpr_private_segment_buffer 1
		.amdhsa_user_sgpr_dispatch_ptr 0
		.amdhsa_user_sgpr_queue_ptr 0
		.amdhsa_user_sgpr_kernarg_segment_ptr 1
		.amdhsa_user_sgpr_dispatch_id 0
		.amdhsa_user_sgpr_flat_scratch_init 0
		.amdhsa_user_sgpr_private_segment_size 0
		.amdhsa_wavefront_size32 1
		.amdhsa_uses_dynamic_stack 0
		.amdhsa_system_sgpr_private_segment_wavefront_offset 0
		.amdhsa_system_sgpr_workgroup_id_x 1
		.amdhsa_system_sgpr_workgroup_id_y 1
		.amdhsa_system_sgpr_workgroup_id_z 1
		.amdhsa_system_sgpr_workgroup_info 0
		.amdhsa_system_vgpr_workitem_id 1
		.amdhsa_next_free_vgpr 127
		.amdhsa_next_free_sgpr 30
		.amdhsa_reserve_vcc 1
		.amdhsa_reserve_flat_scratch 0
		.amdhsa_float_round_mode_32 0
		.amdhsa_float_round_mode_16_64 0
		.amdhsa_float_denorm_mode_32 3
		.amdhsa_float_denorm_mode_16_64 3
		.amdhsa_dx10_clamp 1
		.amdhsa_ieee_mode 1
		.amdhsa_fp16_overflow 0
		.amdhsa_workgroup_processor_mode 1
		.amdhsa_memory_ordered 1
		.amdhsa_forward_progress 1
		.amdhsa_shared_vgpr_count 0
		.amdhsa_exception_fp_ieee_invalid_op 0
		.amdhsa_exception_fp_denorm_src 0
		.amdhsa_exception_fp_ieee_div_zero 0
		.amdhsa_exception_fp_ieee_overflow 0
		.amdhsa_exception_fp_ieee_underflow 0
		.amdhsa_exception_fp_ieee_inexact 0
		.amdhsa_exception_int_div_zero 0
	.end_amdhsa_kernel
	.section	.text._ZL29rocblas_internal_gemmt_kernelIiLi16ELi32ELi8ELc67ELc78ELc76ELb1ELb0E19rocblas_complex_numIdEPKS1_S3_PS1_EviT_T9_T10_S5_lS7_S5_lS6_T11_S5_li,"axG",@progbits,_ZL29rocblas_internal_gemmt_kernelIiLi16ELi32ELi8ELc67ELc78ELc76ELb1ELb0E19rocblas_complex_numIdEPKS1_S3_PS1_EviT_T9_T10_S5_lS7_S5_lS6_T11_S5_li,comdat
.Lfunc_end123:
	.size	_ZL29rocblas_internal_gemmt_kernelIiLi16ELi32ELi8ELc67ELc78ELc76ELb1ELb0E19rocblas_complex_numIdEPKS1_S3_PS1_EviT_T9_T10_S5_lS7_S5_lS6_T11_S5_li, .Lfunc_end123-_ZL29rocblas_internal_gemmt_kernelIiLi16ELi32ELi8ELc67ELc78ELc76ELb1ELb0E19rocblas_complex_numIdEPKS1_S3_PS1_EviT_T9_T10_S5_lS7_S5_lS6_T11_S5_li
                                        ; -- End function
	.set _ZL29rocblas_internal_gemmt_kernelIiLi16ELi32ELi8ELc67ELc78ELc76ELb1ELb0E19rocblas_complex_numIdEPKS1_S3_PS1_EviT_T9_T10_S5_lS7_S5_lS6_T11_S5_li.num_vgpr, 127
	.set _ZL29rocblas_internal_gemmt_kernelIiLi16ELi32ELi8ELc67ELc78ELc76ELb1ELb0E19rocblas_complex_numIdEPKS1_S3_PS1_EviT_T9_T10_S5_lS7_S5_lS6_T11_S5_li.num_agpr, 0
	.set _ZL29rocblas_internal_gemmt_kernelIiLi16ELi32ELi8ELc67ELc78ELc76ELb1ELb0E19rocblas_complex_numIdEPKS1_S3_PS1_EviT_T9_T10_S5_lS7_S5_lS6_T11_S5_li.numbered_sgpr, 30
	.set _ZL29rocblas_internal_gemmt_kernelIiLi16ELi32ELi8ELc67ELc78ELc76ELb1ELb0E19rocblas_complex_numIdEPKS1_S3_PS1_EviT_T9_T10_S5_lS7_S5_lS6_T11_S5_li.num_named_barrier, 0
	.set _ZL29rocblas_internal_gemmt_kernelIiLi16ELi32ELi8ELc67ELc78ELc76ELb1ELb0E19rocblas_complex_numIdEPKS1_S3_PS1_EviT_T9_T10_S5_lS7_S5_lS6_T11_S5_li.private_seg_size, 0
	.set _ZL29rocblas_internal_gemmt_kernelIiLi16ELi32ELi8ELc67ELc78ELc76ELb1ELb0E19rocblas_complex_numIdEPKS1_S3_PS1_EviT_T9_T10_S5_lS7_S5_lS6_T11_S5_li.uses_vcc, 1
	.set _ZL29rocblas_internal_gemmt_kernelIiLi16ELi32ELi8ELc67ELc78ELc76ELb1ELb0E19rocblas_complex_numIdEPKS1_S3_PS1_EviT_T9_T10_S5_lS7_S5_lS6_T11_S5_li.uses_flat_scratch, 0
	.set _ZL29rocblas_internal_gemmt_kernelIiLi16ELi32ELi8ELc67ELc78ELc76ELb1ELb0E19rocblas_complex_numIdEPKS1_S3_PS1_EviT_T9_T10_S5_lS7_S5_lS6_T11_S5_li.has_dyn_sized_stack, 0
	.set _ZL29rocblas_internal_gemmt_kernelIiLi16ELi32ELi8ELc67ELc78ELc76ELb1ELb0E19rocblas_complex_numIdEPKS1_S3_PS1_EviT_T9_T10_S5_lS7_S5_lS6_T11_S5_li.has_recursion, 0
	.set _ZL29rocblas_internal_gemmt_kernelIiLi16ELi32ELi8ELc67ELc78ELc76ELb1ELb0E19rocblas_complex_numIdEPKS1_S3_PS1_EviT_T9_T10_S5_lS7_S5_lS6_T11_S5_li.has_indirect_call, 0
	.section	.AMDGPU.csdata,"",@progbits
; Kernel info:
; codeLenInByte = 3552
; TotalNumSgprs: 32
; NumVgprs: 127
; ScratchSize: 0
; MemoryBound: 1
; FloatMode: 240
; IeeeMode: 1
; LDSByteSize: 8192 bytes/workgroup (compile time only)
; SGPRBlocks: 0
; VGPRBlocks: 15
; NumSGPRsForWavesPerEU: 32
; NumVGPRsForWavesPerEU: 127
; Occupancy: 8
; WaveLimiterHint : 0
; COMPUTE_PGM_RSRC2:SCRATCH_EN: 0
; COMPUTE_PGM_RSRC2:USER_SGPR: 6
; COMPUTE_PGM_RSRC2:TRAP_HANDLER: 0
; COMPUTE_PGM_RSRC2:TGID_X_EN: 1
; COMPUTE_PGM_RSRC2:TGID_Y_EN: 1
; COMPUTE_PGM_RSRC2:TGID_Z_EN: 1
; COMPUTE_PGM_RSRC2:TIDIG_COMP_CNT: 1
	.section	.text._ZL29rocblas_internal_gemmt_kernelIiLi16ELi32ELi8ELc67ELc84ELc76ELb1ELb0E19rocblas_complex_numIdEPKS1_S3_PS1_EviT_T9_T10_S5_lS7_S5_lS6_T11_S5_li,"axG",@progbits,_ZL29rocblas_internal_gemmt_kernelIiLi16ELi32ELi8ELc67ELc84ELc76ELb1ELb0E19rocblas_complex_numIdEPKS1_S3_PS1_EviT_T9_T10_S5_lS7_S5_lS6_T11_S5_li,comdat
	.globl	_ZL29rocblas_internal_gemmt_kernelIiLi16ELi32ELi8ELc67ELc84ELc76ELb1ELb0E19rocblas_complex_numIdEPKS1_S3_PS1_EviT_T9_T10_S5_lS7_S5_lS6_T11_S5_li ; -- Begin function _ZL29rocblas_internal_gemmt_kernelIiLi16ELi32ELi8ELc67ELc84ELc76ELb1ELb0E19rocblas_complex_numIdEPKS1_S3_PS1_EviT_T9_T10_S5_lS7_S5_lS6_T11_S5_li
	.p2align	8
	.type	_ZL29rocblas_internal_gemmt_kernelIiLi16ELi32ELi8ELc67ELc84ELc76ELb1ELb0E19rocblas_complex_numIdEPKS1_S3_PS1_EviT_T9_T10_S5_lS7_S5_lS6_T11_S5_li,@function
_ZL29rocblas_internal_gemmt_kernelIiLi16ELi32ELi8ELc67ELc84ELc76ELb1ELb0E19rocblas_complex_numIdEPKS1_S3_PS1_EviT_T9_T10_S5_lS7_S5_lS6_T11_S5_li: ; @_ZL29rocblas_internal_gemmt_kernelIiLi16ELi32ELi8ELc67ELc84ELc76ELb1ELb0E19rocblas_complex_numIdEPKS1_S3_PS1_EviT_T9_T10_S5_lS7_S5_lS6_T11_S5_li
; %bb.0:
	s_load_dwordx4 s[20:23], s[4:5], 0x38
	s_waitcnt lgkmcnt(0)
	s_load_dwordx4 s[12:15], s[22:23], 0x0
	s_clause 0x1
	s_load_dwordx4 s[0:3], s[4:5], 0x8
	s_load_dwordx2 s[10:11], s[4:5], 0x0
	s_waitcnt lgkmcnt(0)
	s_load_dwordx4 s[16:19], s[0:1], 0x0
	v_cmp_eq_f64_e64 s22, s[12:13], 1.0
	v_cmp_eq_f64_e64 s9, s[14:15], 0
	s_and_b32 s0, s22, s9
	s_andn2_b32 vcc_lo, exec_lo, s0
	s_mov_b32 s0, -1
	s_cbranch_vccnz .LBB124_3
; %bb.1:
	s_cmp_lg_u32 s11, 0
	s_cbranch_scc0 .LBB124_29
; %bb.2:
	s_waitcnt lgkmcnt(0)
	v_cmp_neq_f64_e64 s0, s[16:17], 0
	v_cmp_neq_f64_e64 s1, s[18:19], 0
	s_or_b32 s0, s0, s1
.LBB124_3:
	s_and_b32 vcc_lo, exec_lo, s0
	s_cbranch_vccz .LBB124_30
; %bb.4:
	s_waitcnt lgkmcnt(0)
	v_cmp_eq_f64_e64 s0, s[16:17], 0
	v_cmp_eq_f64_e64 s1, s[18:19], 0
	s_load_dwordx2 s[22:23], s[4:5], 0x48
	s_lshl_b32 s28, s6, 5
	s_lshl_b32 s29, s7, 5
	v_mov_b32_e32 v23, 0
	v_mov_b32_e32 v25, 0
	;; [unrolled: 1-line block ×16, first 2 shown]
	s_mov_b32 s30, 0
	s_and_b32 s0, s0, s1
	s_cmp_lt_i32 s11, 1
	s_cselect_b32 s1, -1, 0
	s_or_b32 s0, s0, s1
	s_and_b32 vcc_lo, exec_lo, s0
	s_cbranch_vccnz .LBB124_13
; %bb.5:
	s_load_dword s0, s[4:5], 0x18
	v_lshl_add_u32 v2, v1, 4, v0
	s_clause 0x1
	s_load_dwordx4 s[24:27], s[4:5], 0x20
	s_load_dword s6, s[4:5], 0x30
	v_and_b32_e32 v27, 7, v0
	v_mov_b32_e32 v17, 0
	v_mov_b32_e32 v15, 0
	v_and_b32_e32 v3, 31, v2
	v_lshrrev_b32_e32 v4, 3, v2
	v_lshlrev_b32_e32 v5, 4, v27
	v_lshrrev_b32_e32 v30, 5, v2
	v_mov_b32_e32 v21, 0
	v_or_b32_e32 v6, s28, v3
	v_lshlrev_b32_e32 v7, 4, v3
	v_add_nc_u32_e32 v3, s28, v3
	v_add_nc_u32_e32 v2, s29, v4
	v_lshl_or_b32 v8, v4, 7, v5
	v_cmp_gt_i32_e32 vcc_lo, s10, v6
	v_lshl_or_b32 v31, v30, 9, v7
	v_lshlrev_b32_e32 v10, 4, v30
	v_mov_b32_e32 v19, 0
	s_waitcnt lgkmcnt(0)
	v_mad_i64_i32 v[4:5], null, s0, v3, 0
	s_mul_i32 s1, s25, s8
	s_mul_hi_u32 s25, s24, s8
	v_mad_i64_i32 v[6:7], null, s6, v27, 0
	s_mul_i32 s24, s24, s8
	s_add_i32 s25, s25, s1
	v_lshlrev_b64 v[4:5], 4, v[4:5]
	s_lshl_b64 s[24:25], s[24:25], 4
	v_add_nc_u32_e32 v32, 0x1000, v8
	v_ashrrev_i32_e32 v3, 31, v2
	v_cmp_gt_i32_e64 s0, s10, v2
	v_mov_b32_e32 v25, 0
	v_add_co_u32 v8, s1, v4, s24
	v_add_co_ci_u32_e64 v9, null, s25, v5, s1
	s_mul_i32 s1, s21, s8
	s_mul_hi_u32 s21, s20, s8
	v_lshlrev_b64 v[4:5], 4, v[6:7]
	s_add_i32 s21, s21, s1
	s_mul_i32 s20, s20, s8
	v_add_co_u32 v6, s1, v8, v10
	s_lshl_b64 s[20:21], s[20:21], 4
	v_lshlrev_b64 v[2:3], 4, v[2:3]
	v_add_co_ci_u32_e64 v7, null, 0, v9, s1
	v_add_co_u32 v4, s1, s20, v4
	v_add_co_ci_u32_e64 v5, null, s21, v5, s1
	v_add_co_u32 v6, s1, s2, v6
	;; [unrolled: 2-line block ×5, first 2 shown]
	v_mov_b32_e32 v7, 0
	v_mov_b32_e32 v9, 0
	;; [unrolled: 1-line block ×3, first 2 shown]
	v_lshlrev_b32_e32 v28, 4, v0
	v_lshl_add_u32 v29, v1, 7, 0x1000
	v_add_co_ci_u32_e64 v14, null, s27, v3, s1
	v_mov_b32_e32 v8, 0
	v_mov_b32_e32 v10, 0
	;; [unrolled: 1-line block ×9, first 2 shown]
	s_ashr_i32 s7, s6, 31
	s_xor_b32 s1, s0, -1
	s_lshl_b64 s[2:3], s[6:7], 7
	s_branch .LBB124_7
.LBB124_6:                              ;   in Loop: Header=BB124_7 Depth=1
	s_or_b32 exec_lo, exec_lo, s0
	s_waitcnt lgkmcnt(0)
	s_barrier
	buffer_gl0_inv
	ds_read_b128 v[3:6], v29
	ds_read_b128 v[33:36], v28
	ds_read_b128 v[37:40], v28 offset:256
	ds_read_b128 v[41:44], v29 offset:2048
	;; [unrolled: 1-line block ×12, first 2 shown]
	v_add_co_u32 v11, s0, 0x80, v11
	v_add_co_ci_u32_e64 v12, null, 0, v12, s0
	v_add_co_u32 v13, s0, v13, s2
	v_add_co_ci_u32_e64 v14, null, s3, v14, s0
	s_waitcnt lgkmcnt(12)
	v_mul_f64 v[85:86], v[5:6], v[35:36]
	v_mul_f64 v[87:88], v[3:4], v[35:36]
	s_waitcnt lgkmcnt(11)
	v_mul_f64 v[89:90], v[5:6], v[39:40]
	v_mul_f64 v[91:92], v[3:4], v[39:40]
	;; [unrolled: 3-line block ×3, first 2 shown]
	v_mul_f64 v[95:96], v[43:44], v[39:40]
	v_mul_f64 v[39:40], v[41:42], v[39:40]
	s_waitcnt lgkmcnt(8)
	v_mul_f64 v[97:98], v[47:48], v[51:52]
	v_mul_f64 v[99:100], v[45:46], v[51:52]
	s_waitcnt lgkmcnt(7)
	;; [unrolled: 3-line block ×3, first 2 shown]
	v_mul_f64 v[105:106], v[59:60], v[51:52]
	v_mul_f64 v[51:52], v[57:58], v[51:52]
	;; [unrolled: 1-line block ×4, first 2 shown]
	s_waitcnt lgkmcnt(4)
	v_mul_f64 v[109:110], v[63:64], v[67:68]
	v_mul_f64 v[111:112], v[61:62], v[67:68]
	s_waitcnt lgkmcnt(3)
	v_mul_f64 v[113:114], v[63:64], v[71:72]
	v_mul_f64 v[115:116], v[61:62], v[71:72]
	;; [unrolled: 3-line block ×3, first 2 shown]
	v_fma_f64 v[85:86], v[3:4], v[33:34], -v[85:86]
	v_fma_f64 v[87:88], v[5:6], v[33:34], v[87:88]
	v_fma_f64 v[89:90], v[3:4], v[37:38], -v[89:90]
	v_fma_f64 v[91:92], v[5:6], v[37:38], v[91:92]
	v_fma_f64 v[93:94], v[41:42], v[33:34], -v[93:94]
	v_fma_f64 v[119:120], v[43:44], v[33:34], v[35:36]
	v_fma_f64 v[95:96], v[41:42], v[37:38], -v[95:96]
	v_fma_f64 v[121:122], v[43:44], v[37:38], v[39:40]
	v_mul_f64 v[123:124], v[75:76], v[71:72]
	v_mul_f64 v[71:72], v[73:74], v[71:72]
	v_fma_f64 v[97:98], v[45:46], v[49:50], -v[97:98]
	v_fma_f64 v[99:100], v[47:48], v[49:50], v[99:100]
	v_fma_f64 v[101:102], v[45:46], v[53:54], -v[101:102]
	v_fma_f64 v[103:104], v[47:48], v[53:54], v[103:104]
	;; [unrolled: 2-line block ×7, first 2 shown]
	v_add_f64 v[23:24], v[23:24], v[85:86]
	v_add_f64 v[25:26], v[87:88], v[25:26]
	;; [unrolled: 1-line block ×6, first 2 shown]
	v_fma_f64 v[73:74], v[73:74], v[69:70], -v[123:124]
	v_fma_f64 v[69:70], v[75:76], v[69:70], v[71:72]
	v_add_f64 v[71:72], v[15:16], v[93:94]
	v_add_f64 v[75:76], v[119:120], v[17:18]
	ds_read_b128 v[3:6], v28 offset:1536
	ds_read_b128 v[33:36], v28 offset:1792
	;; [unrolled: 1-line block ×7, first 2 shown]
	s_add_i32 s30, s30, 8
	s_cmp_lt_i32 s30, s11
	v_add_f64 v[97:98], v[23:24], v[97:98]
	v_add_f64 v[99:100], v[99:100], v[25:26]
	;; [unrolled: 1-line block ×6, first 2 shown]
	ds_read_b128 v[19:22], v28 offset:2560
	ds_read_b128 v[23:26], v28 offset:2816
	s_waitcnt lgkmcnt(8)
	v_mul_f64 v[109:110], v[79:80], v[5:6]
	v_mul_f64 v[111:112], v[77:78], v[5:6]
	s_waitcnt lgkmcnt(7)
	v_mul_f64 v[67:68], v[79:80], v[35:36]
	v_mul_f64 v[113:114], v[77:78], v[35:36]
	;; [unrolled: 1-line block ×6, first 2 shown]
	s_waitcnt lgkmcnt(4)
	v_mul_f64 v[95:96], v[39:40], v[47:48]
	v_add_f64 v[71:72], v[71:72], v[105:106]
	v_add_f64 v[75:76], v[125:126], v[75:76]
	v_mul_f64 v[93:94], v[37:38], v[43:44]
	ds_read_b128 v[5:8], v29 offset:80
	v_add_f64 v[55:56], v[97:98], v[55:56]
	v_add_f64 v[59:60], v[59:60], v[99:100]
	;; [unrolled: 1-line block ×6, first 2 shown]
	s_waitcnt lgkmcnt(2)
	v_mul_f64 v[99:100], v[17:18], v[21:22]
	s_waitcnt lgkmcnt(1)
	v_mul_f64 v[101:102], v[17:18], v[25:26]
	v_fma_f64 v[89:90], v[77:78], v[3:4], -v[109:110]
	v_fma_f64 v[91:92], v[79:80], v[3:4], v[111:112]
	v_fma_f64 v[67:68], v[77:78], v[33:34], -v[67:68]
	v_mul_f64 v[77:78], v[39:40], v[43:44]
	v_mul_f64 v[109:110], v[37:38], v[47:48]
	v_fma_f64 v[79:80], v[79:80], v[33:34], v[113:114]
	v_mul_f64 v[111:112], v[51:52], v[43:44]
	v_mul_f64 v[43:44], v[49:50], v[43:44]
	v_fma_f64 v[57:58], v[81:82], v[3:4], -v[115:116]
	v_fma_f64 v[3:4], v[83:84], v[3:4], v[117:118]
	v_fma_f64 v[81:82], v[81:82], v[33:34], -v[87:88]
	v_fma_f64 v[83:84], v[83:84], v[33:34], v[35:36]
	v_fma_f64 v[87:88], v[37:38], v[45:46], -v[95:96]
	v_mul_f64 v[95:96], v[51:52], v[47:48]
	v_mul_f64 v[47:48], v[49:50], v[47:48]
	v_add_f64 v[71:72], v[71:72], v[107:108]
	v_add_f64 v[65:66], v[65:66], v[75:76]
	v_fma_f64 v[85:86], v[39:40], v[41:42], v[93:94]
	s_waitcnt lgkmcnt(0)
	v_mul_f64 v[69:70], v[7:8], v[21:22]
	v_mul_f64 v[73:74], v[5:6], v[21:22]
	;; [unrolled: 1-line block ×6, first 2 shown]
	v_add_f64 v[55:56], v[55:56], v[89:90]
	v_fma_f64 v[77:78], v[37:38], v[41:42], -v[77:78]
	v_fma_f64 v[93:94], v[39:40], v[45:46], v[109:110]
	v_add_f64 v[59:60], v[91:92], v[59:60]
	v_fma_f64 v[105:106], v[49:50], v[41:42], -v[111:112]
	v_fma_f64 v[109:110], v[51:52], v[41:42], v[43:44]
	v_add_f64 v[61:62], v[61:62], v[67:68]
	v_add_f64 v[63:64], v[79:80], v[63:64]
	v_add_f64 v[67:68], v[9:10], v[81:82]
	v_add_f64 v[53:54], v[83:84], v[53:54]
	ds_read_b128 v[33:36], v29 offset:96
	ds_read_b128 v[37:40], v28 offset:3072
	v_fma_f64 v[49:50], v[49:50], v[45:46], -v[95:96]
	v_fma_f64 v[51:52], v[51:52], v[45:46], v[47:48]
	v_add_f64 v[57:58], v[71:72], v[57:58]
	v_add_f64 v[65:66], v[3:4], v[65:66]
	ds_read_b128 v[41:44], v28 offset:3328
	ds_read_b128 v[45:48], v29 offset:2144
	v_fma_f64 v[69:70], v[5:6], v[19:20], -v[69:70]
	v_fma_f64 v[71:72], v[7:8], v[19:20], v[73:74]
	v_fma_f64 v[73:74], v[5:6], v[23:24], -v[75:76]
	v_fma_f64 v[75:76], v[7:8], v[23:24], v[97:98]
	;; [unrolled: 2-line block ×4, first 2 shown]
	v_add_f64 v[55:56], v[55:56], v[77:78]
	v_add_f64 v[59:60], v[85:86], v[59:60]
	ds_read_b128 v[3:6], v29 offset:112
	ds_read_b128 v[7:10], v29 offset:2160
	v_add_f64 v[61:62], v[61:62], v[87:88]
	v_add_f64 v[63:64], v[93:94], v[63:64]
	s_waitcnt lgkmcnt(4)
	v_mul_f64 v[89:90], v[35:36], v[39:40]
	v_mul_f64 v[25:26], v[33:34], v[39:40]
	ds_read_b128 v[15:18], v28 offset:3584
	ds_read_b128 v[19:22], v28 offset:3840
	v_add_f64 v[49:50], v[67:68], v[49:50]
	s_waitcnt lgkmcnt(5)
	v_mul_f64 v[91:92], v[35:36], v[43:44]
	v_mul_f64 v[95:96], v[33:34], v[43:44]
	s_waitcnt lgkmcnt(4)
	v_mul_f64 v[97:98], v[47:48], v[39:40]
	v_mul_f64 v[39:40], v[45:46], v[39:40]
	v_add_f64 v[57:58], v[57:58], v[105:106]
	v_add_f64 v[65:66], v[109:110], v[65:66]
	;; [unrolled: 1-line block ×3, first 2 shown]
	v_mul_f64 v[53:54], v[47:48], v[43:44]
	v_mul_f64 v[43:44], v[45:46], v[43:44]
	s_waitcnt lgkmcnt(0)
	s_barrier
	buffer_gl0_inv
	v_fma_f64 v[67:68], v[33:34], v[37:38], -v[89:90]
	v_fma_f64 v[25:26], v[35:36], v[37:38], v[25:26]
	v_add_f64 v[49:50], v[49:50], v[83:84]
	v_fma_f64 v[33:34], v[33:34], v[41:42], -v[91:92]
	v_fma_f64 v[35:36], v[35:36], v[41:42], v[95:96]
	v_fma_f64 v[77:78], v[45:46], v[37:38], -v[97:98]
	v_fma_f64 v[37:38], v[47:48], v[37:38], v[39:40]
	v_add_f64 v[39:40], v[55:56], v[69:70]
	v_add_f64 v[55:56], v[71:72], v[59:60]
	;; [unrolled: 1-line block ×7, first 2 shown]
	v_fma_f64 v[45:46], v[45:46], v[41:42], -v[53:54]
	v_fma_f64 v[41:42], v[47:48], v[41:42], v[43:44]
	v_mul_f64 v[43:44], v[5:6], v[17:18]
	v_mul_f64 v[47:48], v[3:4], v[17:18]
	;; [unrolled: 1-line block ×8, first 2 shown]
	v_add_f64 v[39:40], v[39:40], v[67:68]
	v_add_f64 v[25:26], v[25:26], v[55:56]
	;; [unrolled: 1-line block ×8, first 2 shown]
	v_fma_f64 v[23:24], v[3:4], v[15:16], -v[43:44]
	v_fma_f64 v[43:44], v[5:6], v[15:16], v[47:48]
	v_fma_f64 v[3:4], v[3:4], v[19:20], -v[51:52]
	v_fma_f64 v[5:6], v[5:6], v[19:20], v[53:54]
	;; [unrolled: 2-line block ×4, first 2 shown]
	v_add_f64 v[23:24], v[39:40], v[23:24]
	v_add_f64 v[25:26], v[43:44], v[25:26]
	;; [unrolled: 1-line block ×8, first 2 shown]
	s_cbranch_scc0 .LBB124_13
.LBB124_7:                              ; =>This Inner Loop Header: Depth=1
	v_add_nc_u32_e32 v3, s30, v30
	v_mov_b32_e32 v5, 0
	v_mov_b32_e32 v6, 0
	v_cmp_gt_i32_e64 s0, s11, v3
	v_mov_b32_e32 v3, 0
	v_mov_b32_e32 v4, 0
	s_and_b32 s6, vcc_lo, s0
	s_and_saveexec_b32 s0, s6
	s_cbranch_execz .LBB124_9
; %bb.8:                                ;   in Loop: Header=BB124_7 Depth=1
	global_load_dwordx4 v[3:6], v[11:12], off offset:-8
	s_waitcnt vmcnt(0)
	v_xor_b32_e32 v6, 0x80000000, v6
.LBB124_9:                              ;   in Loop: Header=BB124_7 Depth=1
	s_or_b32 exec_lo, exec_lo, s0
	v_add_nc_u32_e32 v33, s30, v27
	ds_write_b128 v31, v[3:6]
	v_cmp_le_i32_e64 s0, s11, v33
	s_or_b32 s0, s0, s1
	s_and_saveexec_b32 s6, s0
	s_xor_b32 s0, exec_lo, s6
	s_cbranch_execz .LBB124_11
; %bb.10:                               ;   in Loop: Header=BB124_7 Depth=1
	v_mov_b32_e32 v3, v2
	v_mov_b32_e32 v4, v2
	;; [unrolled: 1-line block ×3, first 2 shown]
	ds_write_b128 v32, v[2:5]
.LBB124_11:                             ;   in Loop: Header=BB124_7 Depth=1
	s_andn2_saveexec_b32 s0, s0
	s_cbranch_execz .LBB124_6
; %bb.12:                               ;   in Loop: Header=BB124_7 Depth=1
	global_load_dwordx4 v[3:6], v[13:14], off
	s_waitcnt vmcnt(0)
	ds_write2_b64 v32, v[3:4], v[5:6] offset1:1
	s_branch .LBB124_6
.LBB124_13:
	s_clause 0x1
	s_load_dword s3, s[4:5], 0x50
	s_load_dwordx2 s[0:1], s[4:5], 0x58
	v_cmp_neq_f64_e64 s2, s[12:13], 0
	v_add_nc_u32_e32 v27, s29, v1
	v_add_nc_u32_e32 v4, s28, v0
	v_cmp_le_i32_e32 vcc_lo, v27, v4
	v_ashrrev_i32_e32 v5, 31, v4
	s_waitcnt lgkmcnt(0)
	v_mad_i64_i32 v[0:1], null, v27, s3, 0
	s_mul_i32 s1, s1, s8
	s_mul_hi_u32 s5, s0, s8
	s_mul_i32 s4, s0, s8
	s_add_i32 s5, s5, s1
	v_cmp_gt_i32_e64 s0, s10, v4
	s_lshl_b64 s[4:5], s[4:5], 4
	v_lshlrev_b64 v[0:1], 4, v[0:1]
	s_add_u32 s4, s22, s4
	s_addc_u32 s5, s23, s5
	s_xor_b32 s6, s9, -1
	s_or_b32 s2, s2, s6
	v_add_co_u32 v13, s1, s4, v0
	v_add_co_ci_u32_e64 v14, null, s5, v1, s1
	v_cndmask_b32_e64 v6, 0, 1, s2
	s_and_b32 s6, vcc_lo, s0
	s_and_saveexec_b32 s1, s6
	s_cbranch_execz .LBB124_17
; %bb.14:
	v_mul_f64 v[0:1], s[18:19], v[25:26]
	v_mul_f64 v[2:3], s[16:17], v[25:26]
	v_lshlrev_b64 v[11:12], 4, v[4:5]
	v_add_co_u32 v11, vcc_lo, v13, v11
	v_add_co_ci_u32_e64 v12, null, v14, v12, vcc_lo
	s_andn2_b32 vcc_lo, exec_lo, s2
	v_fma_f64 v[0:1], s[16:17], v[23:24], -v[0:1]
	v_fma_f64 v[2:3], s[18:19], v[23:24], v[2:3]
	s_cbranch_vccnz .LBB124_16
; %bb.15:
	global_load_dwordx4 v[23:26], v[11:12], off
	s_waitcnt vmcnt(0)
	v_mul_f64 v[28:29], s[14:15], v[25:26]
	v_mul_f64 v[25:26], s[12:13], v[25:26]
	v_fma_f64 v[28:29], s[12:13], v[23:24], -v[28:29]
	v_fma_f64 v[23:24], s[14:15], v[23:24], v[25:26]
	v_add_f64 v[0:1], v[0:1], v[28:29]
	v_add_f64 v[2:3], v[2:3], v[23:24]
.LBB124_16:
	global_store_dwordx4 v[11:12], v[0:3], off
.LBB124_17:
	s_or_b32 exec_lo, exec_lo, s1
	v_add_nc_u32_e32 v11, 16, v4
	v_cmp_le_i32_e32 vcc_lo, v27, v11
	v_cmp_gt_i32_e64 s1, s10, v11
	v_ashrrev_i32_e32 v12, 31, v11
	s_and_b32 s2, vcc_lo, s1
	s_and_saveexec_b32 s6, s2
	s_cbranch_execz .LBB124_21
; %bb.18:
	v_mul_f64 v[0:1], s[18:19], v[21:22]
	v_mul_f64 v[2:3], s[16:17], v[21:22]
	v_cmp_ne_u32_e32 vcc_lo, 1, v6
	s_and_b32 vcc_lo, exec_lo, vcc_lo
	v_fma_f64 v[0:1], s[16:17], v[19:20], -v[0:1]
	v_fma_f64 v[2:3], s[18:19], v[19:20], v[2:3]
	v_lshlrev_b64 v[19:20], 4, v[11:12]
	v_add_co_u32 v13, s2, v13, v19
	v_add_co_ci_u32_e64 v14, null, v14, v20, s2
	s_cbranch_vccnz .LBB124_20
; %bb.19:
	global_load_dwordx4 v[19:22], v[13:14], off
	s_waitcnt vmcnt(0)
	v_mul_f64 v[23:24], s[14:15], v[21:22]
	v_mul_f64 v[21:22], s[12:13], v[21:22]
	v_fma_f64 v[23:24], s[12:13], v[19:20], -v[23:24]
	v_fma_f64 v[19:20], s[14:15], v[19:20], v[21:22]
	v_add_f64 v[0:1], v[0:1], v[23:24]
	v_add_f64 v[2:3], v[2:3], v[19:20]
.LBB124_20:
	global_store_dwordx4 v[13:14], v[0:3], off
.LBB124_21:
	s_or_b32 exec_lo, exec_lo, s6
	v_add_nc_u32_e32 v19, 16, v27
	v_mad_i64_i32 v[0:1], null, v19, s3, 0
	v_cmp_le_i32_e32 vcc_lo, v19, v4
	s_and_b32 s0, vcc_lo, s0
	v_lshlrev_b64 v[0:1], 4, v[0:1]
	v_add_co_u32 v13, s2, s4, v0
	v_add_co_ci_u32_e64 v14, null, s5, v1, s2
	s_and_saveexec_b32 s2, s0
	s_cbranch_execz .LBB124_25
; %bb.22:
	v_mul_f64 v[0:1], s[18:19], v[17:18]
	v_mul_f64 v[2:3], s[16:17], v[17:18]
	v_lshlrev_b64 v[4:5], 4, v[4:5]
	v_cmp_ne_u32_e32 vcc_lo, 1, v6
	s_and_b32 vcc_lo, exec_lo, vcc_lo
	v_add_co_u32 v4, s0, v13, v4
	v_add_co_ci_u32_e64 v5, null, v14, v5, s0
	v_fma_f64 v[0:1], s[16:17], v[15:16], -v[0:1]
	v_fma_f64 v[2:3], s[18:19], v[15:16], v[2:3]
	s_cbranch_vccnz .LBB124_24
; %bb.23:
	global_load_dwordx4 v[15:18], v[4:5], off
	s_waitcnt vmcnt(0)
	v_mul_f64 v[20:21], s[14:15], v[17:18]
	v_mul_f64 v[17:18], s[12:13], v[17:18]
	v_fma_f64 v[20:21], s[12:13], v[15:16], -v[20:21]
	v_fma_f64 v[15:16], s[14:15], v[15:16], v[17:18]
	v_add_f64 v[0:1], v[0:1], v[20:21]
	v_add_f64 v[2:3], v[2:3], v[15:16]
.LBB124_24:
	global_store_dwordx4 v[4:5], v[0:3], off
.LBB124_25:
	s_or_b32 exec_lo, exec_lo, s2
	v_cmp_le_i32_e32 vcc_lo, v19, v11
	s_and_b32 s0, vcc_lo, s1
	s_and_saveexec_b32 s1, s0
	s_cbranch_execz .LBB124_30
; %bb.26:
	v_mul_f64 v[0:1], s[18:19], v[7:8]
	v_mul_f64 v[2:3], s[16:17], v[7:8]
	v_lshlrev_b64 v[4:5], 4, v[11:12]
	v_cmp_ne_u32_e32 vcc_lo, 1, v6
	s_and_b32 vcc_lo, exec_lo, vcc_lo
	v_add_co_u32 v4, s0, v13, v4
	v_add_co_ci_u32_e64 v5, null, v14, v5, s0
	v_fma_f64 v[0:1], s[16:17], v[9:10], -v[0:1]
	v_fma_f64 v[2:3], s[18:19], v[9:10], v[2:3]
	s_cbranch_vccnz .LBB124_28
; %bb.27:
	global_load_dwordx4 v[6:9], v[4:5], off
	s_waitcnt vmcnt(0)
	v_mul_f64 v[10:11], s[14:15], v[8:9]
	v_mul_f64 v[8:9], s[12:13], v[8:9]
	v_fma_f64 v[10:11], s[12:13], v[6:7], -v[10:11]
	v_fma_f64 v[6:7], s[14:15], v[6:7], v[8:9]
	v_add_f64 v[0:1], v[0:1], v[10:11]
	v_add_f64 v[2:3], v[2:3], v[6:7]
.LBB124_28:
	global_store_dwordx4 v[4:5], v[0:3], off
	s_endpgm
.LBB124_29:
.LBB124_30:
	s_endpgm
	.section	.rodata,"a",@progbits
	.p2align	6, 0x0
	.amdhsa_kernel _ZL29rocblas_internal_gemmt_kernelIiLi16ELi32ELi8ELc67ELc84ELc76ELb1ELb0E19rocblas_complex_numIdEPKS1_S3_PS1_EviT_T9_T10_S5_lS7_S5_lS6_T11_S5_li
		.amdhsa_group_segment_fixed_size 8192
		.amdhsa_private_segment_fixed_size 0
		.amdhsa_kernarg_size 100
		.amdhsa_user_sgpr_count 6
		.amdhsa_user_sgpr_private_segment_buffer 1
		.amdhsa_user_sgpr_dispatch_ptr 0
		.amdhsa_user_sgpr_queue_ptr 0
		.amdhsa_user_sgpr_kernarg_segment_ptr 1
		.amdhsa_user_sgpr_dispatch_id 0
		.amdhsa_user_sgpr_flat_scratch_init 0
		.amdhsa_user_sgpr_private_segment_size 0
		.amdhsa_wavefront_size32 1
		.amdhsa_uses_dynamic_stack 0
		.amdhsa_system_sgpr_private_segment_wavefront_offset 0
		.amdhsa_system_sgpr_workgroup_id_x 1
		.amdhsa_system_sgpr_workgroup_id_y 1
		.amdhsa_system_sgpr_workgroup_id_z 1
		.amdhsa_system_sgpr_workgroup_info 0
		.amdhsa_system_vgpr_workitem_id 1
		.amdhsa_next_free_vgpr 127
		.amdhsa_next_free_sgpr 31
		.amdhsa_reserve_vcc 1
		.amdhsa_reserve_flat_scratch 0
		.amdhsa_float_round_mode_32 0
		.amdhsa_float_round_mode_16_64 0
		.amdhsa_float_denorm_mode_32 3
		.amdhsa_float_denorm_mode_16_64 3
		.amdhsa_dx10_clamp 1
		.amdhsa_ieee_mode 1
		.amdhsa_fp16_overflow 0
		.amdhsa_workgroup_processor_mode 1
		.amdhsa_memory_ordered 1
		.amdhsa_forward_progress 1
		.amdhsa_shared_vgpr_count 0
		.amdhsa_exception_fp_ieee_invalid_op 0
		.amdhsa_exception_fp_denorm_src 0
		.amdhsa_exception_fp_ieee_div_zero 0
		.amdhsa_exception_fp_ieee_overflow 0
		.amdhsa_exception_fp_ieee_underflow 0
		.amdhsa_exception_fp_ieee_inexact 0
		.amdhsa_exception_int_div_zero 0
	.end_amdhsa_kernel
	.section	.text._ZL29rocblas_internal_gemmt_kernelIiLi16ELi32ELi8ELc67ELc84ELc76ELb1ELb0E19rocblas_complex_numIdEPKS1_S3_PS1_EviT_T9_T10_S5_lS7_S5_lS6_T11_S5_li,"axG",@progbits,_ZL29rocblas_internal_gemmt_kernelIiLi16ELi32ELi8ELc67ELc84ELc76ELb1ELb0E19rocblas_complex_numIdEPKS1_S3_PS1_EviT_T9_T10_S5_lS7_S5_lS6_T11_S5_li,comdat
.Lfunc_end124:
	.size	_ZL29rocblas_internal_gemmt_kernelIiLi16ELi32ELi8ELc67ELc84ELc76ELb1ELb0E19rocblas_complex_numIdEPKS1_S3_PS1_EviT_T9_T10_S5_lS7_S5_lS6_T11_S5_li, .Lfunc_end124-_ZL29rocblas_internal_gemmt_kernelIiLi16ELi32ELi8ELc67ELc84ELc76ELb1ELb0E19rocblas_complex_numIdEPKS1_S3_PS1_EviT_T9_T10_S5_lS7_S5_lS6_T11_S5_li
                                        ; -- End function
	.set _ZL29rocblas_internal_gemmt_kernelIiLi16ELi32ELi8ELc67ELc84ELc76ELb1ELb0E19rocblas_complex_numIdEPKS1_S3_PS1_EviT_T9_T10_S5_lS7_S5_lS6_T11_S5_li.num_vgpr, 127
	.set _ZL29rocblas_internal_gemmt_kernelIiLi16ELi32ELi8ELc67ELc84ELc76ELb1ELb0E19rocblas_complex_numIdEPKS1_S3_PS1_EviT_T9_T10_S5_lS7_S5_lS6_T11_S5_li.num_agpr, 0
	.set _ZL29rocblas_internal_gemmt_kernelIiLi16ELi32ELi8ELc67ELc84ELc76ELb1ELb0E19rocblas_complex_numIdEPKS1_S3_PS1_EviT_T9_T10_S5_lS7_S5_lS6_T11_S5_li.numbered_sgpr, 31
	.set _ZL29rocblas_internal_gemmt_kernelIiLi16ELi32ELi8ELc67ELc84ELc76ELb1ELb0E19rocblas_complex_numIdEPKS1_S3_PS1_EviT_T9_T10_S5_lS7_S5_lS6_T11_S5_li.num_named_barrier, 0
	.set _ZL29rocblas_internal_gemmt_kernelIiLi16ELi32ELi8ELc67ELc84ELc76ELb1ELb0E19rocblas_complex_numIdEPKS1_S3_PS1_EviT_T9_T10_S5_lS7_S5_lS6_T11_S5_li.private_seg_size, 0
	.set _ZL29rocblas_internal_gemmt_kernelIiLi16ELi32ELi8ELc67ELc84ELc76ELb1ELb0E19rocblas_complex_numIdEPKS1_S3_PS1_EviT_T9_T10_S5_lS7_S5_lS6_T11_S5_li.uses_vcc, 1
	.set _ZL29rocblas_internal_gemmt_kernelIiLi16ELi32ELi8ELc67ELc84ELc76ELb1ELb0E19rocblas_complex_numIdEPKS1_S3_PS1_EviT_T9_T10_S5_lS7_S5_lS6_T11_S5_li.uses_flat_scratch, 0
	.set _ZL29rocblas_internal_gemmt_kernelIiLi16ELi32ELi8ELc67ELc84ELc76ELb1ELb0E19rocblas_complex_numIdEPKS1_S3_PS1_EviT_T9_T10_S5_lS7_S5_lS6_T11_S5_li.has_dyn_sized_stack, 0
	.set _ZL29rocblas_internal_gemmt_kernelIiLi16ELi32ELi8ELc67ELc84ELc76ELb1ELb0E19rocblas_complex_numIdEPKS1_S3_PS1_EviT_T9_T10_S5_lS7_S5_lS6_T11_S5_li.has_recursion, 0
	.set _ZL29rocblas_internal_gemmt_kernelIiLi16ELi32ELi8ELc67ELc84ELc76ELb1ELb0E19rocblas_complex_numIdEPKS1_S3_PS1_EviT_T9_T10_S5_lS7_S5_lS6_T11_S5_li.has_indirect_call, 0
	.section	.AMDGPU.csdata,"",@progbits
; Kernel info:
; codeLenInByte = 3568
; TotalNumSgprs: 33
; NumVgprs: 127
; ScratchSize: 0
; MemoryBound: 1
; FloatMode: 240
; IeeeMode: 1
; LDSByteSize: 8192 bytes/workgroup (compile time only)
; SGPRBlocks: 0
; VGPRBlocks: 15
; NumSGPRsForWavesPerEU: 33
; NumVGPRsForWavesPerEU: 127
; Occupancy: 8
; WaveLimiterHint : 0
; COMPUTE_PGM_RSRC2:SCRATCH_EN: 0
; COMPUTE_PGM_RSRC2:USER_SGPR: 6
; COMPUTE_PGM_RSRC2:TRAP_HANDLER: 0
; COMPUTE_PGM_RSRC2:TGID_X_EN: 1
; COMPUTE_PGM_RSRC2:TGID_Y_EN: 1
; COMPUTE_PGM_RSRC2:TGID_Z_EN: 1
; COMPUTE_PGM_RSRC2:TIDIG_COMP_CNT: 1
	.section	.text._ZL29rocblas_internal_gemmt_kernelIiLi16ELi32ELi8ELc67ELc67ELc76ELb1ELb1E19rocblas_complex_numIdEPKS1_S3_PS1_EviT_T9_T10_S5_lS7_S5_lS6_T11_S5_li,"axG",@progbits,_ZL29rocblas_internal_gemmt_kernelIiLi16ELi32ELi8ELc67ELc67ELc76ELb1ELb1E19rocblas_complex_numIdEPKS1_S3_PS1_EviT_T9_T10_S5_lS7_S5_lS6_T11_S5_li,comdat
	.globl	_ZL29rocblas_internal_gemmt_kernelIiLi16ELi32ELi8ELc67ELc67ELc76ELb1ELb1E19rocblas_complex_numIdEPKS1_S3_PS1_EviT_T9_T10_S5_lS7_S5_lS6_T11_S5_li ; -- Begin function _ZL29rocblas_internal_gemmt_kernelIiLi16ELi32ELi8ELc67ELc67ELc76ELb1ELb1E19rocblas_complex_numIdEPKS1_S3_PS1_EviT_T9_T10_S5_lS7_S5_lS6_T11_S5_li
	.p2align	8
	.type	_ZL29rocblas_internal_gemmt_kernelIiLi16ELi32ELi8ELc67ELc67ELc76ELb1ELb1E19rocblas_complex_numIdEPKS1_S3_PS1_EviT_T9_T10_S5_lS7_S5_lS6_T11_S5_li,@function
_ZL29rocblas_internal_gemmt_kernelIiLi16ELi32ELi8ELc67ELc67ELc76ELb1ELb1E19rocblas_complex_numIdEPKS1_S3_PS1_EviT_T9_T10_S5_lS7_S5_lS6_T11_S5_li: ; @_ZL29rocblas_internal_gemmt_kernelIiLi16ELi32ELi8ELc67ELc67ELc76ELb1ELb1E19rocblas_complex_numIdEPKS1_S3_PS1_EviT_T9_T10_S5_lS7_S5_lS6_T11_S5_li
; %bb.0:
	s_load_dwordx4 s[20:23], s[4:5], 0x38
	s_waitcnt lgkmcnt(0)
	s_load_dwordx4 s[12:15], s[22:23], 0x0
	s_clause 0x1
	s_load_dwordx4 s[0:3], s[4:5], 0x8
	s_load_dwordx2 s[10:11], s[4:5], 0x0
	s_waitcnt lgkmcnt(0)
	s_load_dwordx4 s[16:19], s[0:1], 0x0
	v_cmp_eq_f64_e64 s22, s[12:13], 1.0
	v_cmp_eq_f64_e64 s9, s[14:15], 0
	s_and_b32 s0, s22, s9
	s_andn2_b32 vcc_lo, exec_lo, s0
	s_mov_b32 s0, -1
	s_cbranch_vccnz .LBB125_3
; %bb.1:
	s_cmp_lg_u32 s11, 0
	s_cbranch_scc0 .LBB125_27
; %bb.2:
	s_waitcnt lgkmcnt(0)
	v_cmp_neq_f64_e64 s0, s[16:17], 0
	v_cmp_neq_f64_e64 s1, s[18:19], 0
	s_or_b32 s0, s0, s1
.LBB125_3:
	s_and_b32 vcc_lo, exec_lo, s0
	s_cbranch_vccz .LBB125_28
; %bb.4:
	s_waitcnt lgkmcnt(0)
	v_cmp_eq_f64_e64 s0, s[16:17], 0
	v_cmp_eq_f64_e64 s1, s[18:19], 0
	s_load_dwordx2 s[22:23], s[4:5], 0x48
	s_lshl_b32 s28, s6, 5
	s_lshl_b32 s29, s7, 5
	v_mov_b32_e32 v26, 0
	v_mov_b32_e32 v28, 0
	;; [unrolled: 1-line block ×16, first 2 shown]
	s_mov_b32 s30, 0
	s_and_b32 s0, s0, s1
	s_cmp_lt_i32 s11, 1
	s_cselect_b32 s1, -1, 0
	s_or_b32 s0, s0, s1
	s_and_b32 vcc_lo, exec_lo, s0
	s_cbranch_vccnz .LBB125_11
; %bb.5:
	s_load_dword s0, s[4:5], 0x18
	v_lshl_add_u32 v2, v1, 4, v0
	s_clause 0x1
	s_load_dwordx4 s[24:27], s[4:5], 0x20
	s_load_dword s6, s[4:5], 0x30
	v_and_b32_e32 v30, 7, v0
	v_mov_b32_e32 v12, 0
	v_mov_b32_e32 v18, 0
	v_and_b32_e32 v3, 31, v2
	v_lshrrev_b32_e32 v4, 3, v2
	v_lshlrev_b32_e32 v5, 4, v30
	v_lshrrev_b32_e32 v33, 5, v2
	v_mov_b32_e32 v16, 0
	v_add_nc_u32_e32 v7, s28, v3
	v_add_nc_u32_e32 v2, s29, v4
	v_lshl_or_b32 v8, v4, 7, v5
	v_or_b32_e32 v6, s28, v3
	v_lshlrev_b32_e32 v3, 4, v3
	v_lshlrev_b32_e32 v10, 4, v33
	v_mov_b32_e32 v24, 0
	v_add_nc_u32_e32 v35, 0x1000, v8
	v_cmp_gt_i32_e32 vcc_lo, s10, v6
	s_waitcnt lgkmcnt(0)
	v_mad_i64_i32 v[4:5], null, s0, v7, 0
	s_mul_i32 s1, s25, s8
	s_mul_hi_u32 s7, s24, s8
	v_mad_i64_i32 v[6:7], null, s6, v30, 0
	s_mul_i32 s24, s24, s8
	s_add_i32 s25, s7, s1
	v_lshlrev_b64 v[4:5], 4, v[4:5]
	s_lshl_b64 s[24:25], s[24:25], 4
	v_lshl_or_b32 v34, v33, 9, v3
	v_ashrrev_i32_e32 v3, 31, v2
	s_mul_hi_u32 s7, s20, s8
	s_mul_i32 s20, s20, s8
	v_add_co_u32 v8, s1, v4, s24
	v_add_co_ci_u32_e64 v9, null, s25, v5, s1
	s_mul_i32 s1, s21, s8
	v_lshlrev_b64 v[4:5], 4, v[6:7]
	s_add_i32 s21, s7, s1
	v_add_co_u32 v6, s1, v8, v10
	s_lshl_b64 s[20:21], s[20:21], 4
	v_cmp_gt_i32_e64 s0, s10, v2
	v_lshlrev_b64 v[2:3], 4, v[2:3]
	v_add_co_ci_u32_e64 v7, null, 0, v9, s1
	v_add_co_u32 v4, s1, s20, v4
	v_add_co_ci_u32_e64 v5, null, s21, v5, s1
	v_add_co_u32 v6, s1, s2, v6
	;; [unrolled: 2-line block ×5, first 2 shown]
	v_add_co_ci_u32_e64 v3, null, s27, v3, s1
	v_mov_b32_e32 v10, 0
	v_add_co_u32 v20, s1, v2, 8
	v_mov_b32_e32 v22, 0
	v_mov_b32_e32 v28, 0
	;; [unrolled: 1-line block ×3, first 2 shown]
	v_lshlrev_b32_e32 v31, 4, v0
	v_lshl_add_u32 v32, v1, 7, 0x1000
	v_mov_b32_e32 v11, 0
	v_mov_b32_e32 v13, 0
	;; [unrolled: 1-line block ×8, first 2 shown]
	v_add_co_ci_u32_e64 v21, null, 0, v3, s1
	s_ashr_i32 s7, s6, 31
	s_lshl_b64 s[2:3], s[6:7], 7
	s_branch .LBB125_7
.LBB125_6:                              ;   in Loop: Header=BB125_7 Depth=1
	s_or_b32 exec_lo, exec_lo, s1
	ds_write_b128 v35, v[6:9]
	s_waitcnt lgkmcnt(0)
	s_barrier
	buffer_gl0_inv
	ds_read_b128 v[2:5], v32
	ds_read_b128 v[6:9], v31
	ds_read_b128 v[36:39], v31 offset:256
	ds_read_b128 v[40:43], v32 offset:2048
	ds_read_b128 v[44:47], v32 offset:16
	ds_read_b128 v[48:51], v31 offset:512
	ds_read_b128 v[52:55], v31 offset:768
	ds_read_b128 v[56:59], v32 offset:2064
	ds_read_b128 v[60:63], v32 offset:32
	ds_read_b128 v[64:67], v31 offset:1024
	ds_read_b128 v[68:71], v31 offset:1280
	ds_read_b128 v[72:75], v32 offset:2080
	ds_read_b128 v[76:79], v32 offset:48
	ds_read_b128 v[80:83], v32 offset:2096
	v_add_co_u32 v14, s1, 0x80, v14
	v_add_co_ci_u32_e64 v15, null, 0, v15, s1
	v_add_co_u32 v20, s1, v20, s2
	v_add_co_ci_u32_e64 v21, null, s3, v21, s1
	s_waitcnt lgkmcnt(12)
	v_mul_f64 v[84:85], v[4:5], v[8:9]
	v_mul_f64 v[86:87], v[2:3], v[8:9]
	s_waitcnt lgkmcnt(11)
	v_mul_f64 v[88:89], v[4:5], v[38:39]
	v_mul_f64 v[90:91], v[2:3], v[38:39]
	s_waitcnt lgkmcnt(10)
	v_mul_f64 v[92:93], v[42:43], v[8:9]
	v_mul_f64 v[8:9], v[40:41], v[8:9]
	v_mul_f64 v[94:95], v[42:43], v[38:39]
	v_mul_f64 v[38:39], v[40:41], v[38:39]
	s_waitcnt lgkmcnt(8)
	v_mul_f64 v[96:97], v[46:47], v[50:51]
	v_mul_f64 v[98:99], v[44:45], v[50:51]
	s_waitcnt lgkmcnt(7)
	;; [unrolled: 3-line block ×3, first 2 shown]
	v_mul_f64 v[104:105], v[58:59], v[50:51]
	v_mul_f64 v[50:51], v[56:57], v[50:51]
	;; [unrolled: 1-line block ×4, first 2 shown]
	s_waitcnt lgkmcnt(4)
	v_mul_f64 v[108:109], v[62:63], v[66:67]
	v_mul_f64 v[110:111], v[60:61], v[66:67]
	s_waitcnt lgkmcnt(3)
	v_mul_f64 v[112:113], v[62:63], v[70:71]
	v_mul_f64 v[114:115], v[60:61], v[70:71]
	;; [unrolled: 3-line block ×3, first 2 shown]
	v_fma_f64 v[84:85], v[2:3], v[6:7], -v[84:85]
	v_fma_f64 v[86:87], v[4:5], v[6:7], v[86:87]
	v_fma_f64 v[88:89], v[2:3], v[36:37], -v[88:89]
	v_fma_f64 v[90:91], v[4:5], v[36:37], v[90:91]
	;; [unrolled: 2-line block ×4, first 2 shown]
	v_mul_f64 v[122:123], v[74:75], v[70:71]
	v_mul_f64 v[70:71], v[72:73], v[70:71]
	ds_read_b128 v[2:5], v31 offset:1536
	ds_read_b128 v[6:9], v31 offset:1792
	v_fma_f64 v[96:97], v[44:45], v[48:49], -v[96:97]
	v_fma_f64 v[98:99], v[46:47], v[48:49], v[98:99]
	v_fma_f64 v[100:101], v[44:45], v[52:53], -v[100:101]
	v_fma_f64 v[102:103], v[46:47], v[52:53], v[102:103]
	;; [unrolled: 2-line block ×7, first 2 shown]
	v_add_f64 v[26:27], v[26:27], v[84:85]
	v_add_f64 v[28:29], v[86:87], v[28:29]
	;; [unrolled: 1-line block ×4, first 2 shown]
	s_waitcnt lgkmcnt(1)
	v_mul_f64 v[108:109], v[78:79], v[4:5]
	v_mul_f64 v[110:111], v[76:77], v[4:5]
	s_waitcnt lgkmcnt(0)
	v_mul_f64 v[66:67], v[78:79], v[8:9]
	v_fma_f64 v[72:73], v[72:73], v[68:69], -v[122:123]
	v_mul_f64 v[114:115], v[82:83], v[4:5]
	v_mul_f64 v[4:5], v[80:81], v[4:5]
	v_fma_f64 v[68:69], v[74:75], v[68:69], v[70:71]
	v_add_f64 v[70:71], v[16:17], v[92:93]
	v_add_f64 v[74:75], v[118:119], v[18:19]
	;; [unrolled: 1-line block ×4, first 2 shown]
	ds_read_b128 v[36:39], v32 offset:64
	ds_read_b128 v[40:43], v31 offset:2048
	;; [unrolled: 1-line block ×3, first 2 shown]
	v_mul_f64 v[112:113], v[76:77], v[8:9]
	v_mul_f64 v[86:87], v[82:83], v[8:9]
	;; [unrolled: 1-line block ×3, first 2 shown]
	ds_read_b128 v[48:51], v32 offset:2112
	ds_read_b128 v[16:19], v32 offset:2128
	v_add_f64 v[26:27], v[26:27], v[96:97]
	v_add_f64 v[28:29], v[98:99], v[28:29]
	;; [unrolled: 1-line block ×4, first 2 shown]
	v_fma_f64 v[88:89], v[76:77], v[2:3], -v[108:109]
	v_fma_f64 v[90:91], v[78:79], v[2:3], v[110:111]
	v_fma_f64 v[66:67], v[76:77], v[6:7], -v[66:67]
	ds_read_b128 v[8:11], v32 offset:80
	ds_read_b128 v[22:25], v31 offset:2816
	s_add_i32 s30, s30, 8
	v_add_f64 v[70:71], v[70:71], v[104:105]
	v_add_f64 v[74:75], v[124:125], v[74:75]
	s_waitcnt lgkmcnt(5)
	v_mul_f64 v[76:77], v[38:39], v[42:43]
	v_mul_f64 v[94:95], v[36:37], v[42:43]
	v_add_f64 v[12:13], v[12:13], v[56:57]
	v_add_f64 v[52:53], v[52:53], v[84:85]
	v_fma_f64 v[56:57], v[80:81], v[2:3], -v[114:115]
	v_fma_f64 v[84:85], v[82:83], v[2:3], v[4:5]
	ds_read_b128 v[2:5], v31 offset:2560
	s_waitcnt lgkmcnt(5)
	v_mul_f64 v[108:109], v[38:39], v[46:47]
	v_mul_f64 v[110:111], v[36:37], v[46:47]
	v_fma_f64 v[78:79], v[78:79], v[6:7], v[112:113]
	s_waitcnt lgkmcnt(4)
	v_mul_f64 v[112:113], v[50:51], v[42:43]
	v_mul_f64 v[42:43], v[48:49], v[42:43]
	v_fma_f64 v[80:81], v[80:81], v[6:7], -v[86:87]
	v_fma_f64 v[82:83], v[82:83], v[6:7], v[92:93]
	v_add_f64 v[54:55], v[26:27], v[54:55]
	v_add_f64 v[28:29], v[58:59], v[28:29]
	;; [unrolled: 1-line block ×4, first 2 shown]
	s_waitcnt lgkmcnt(1)
	v_mul_f64 v[102:103], v[18:19], v[24:25]
	v_mul_f64 v[104:105], v[16:17], v[24:25]
	v_add_f64 v[62:63], v[70:71], v[106:107]
	v_add_f64 v[64:65], v[64:65], v[74:75]
	v_fma_f64 v[76:77], v[36:37], v[40:41], -v[76:77]
	v_fma_f64 v[86:87], v[38:39], v[40:41], v[94:95]
	v_add_f64 v[12:13], v[12:13], v[72:73]
	v_add_f64 v[52:53], v[68:69], v[52:53]
	s_waitcnt lgkmcnt(0)
	v_mul_f64 v[68:69], v[10:11], v[4:5]
	v_mul_f64 v[70:71], v[8:9], v[4:5]
	;; [unrolled: 1-line block ×3, first 2 shown]
	v_fma_f64 v[92:93], v[36:37], v[44:45], -v[108:109]
	v_fma_f64 v[94:95], v[38:39], v[44:45], v[110:111]
	v_mul_f64 v[36:37], v[50:51], v[46:47]
	v_mul_f64 v[38:39], v[48:49], v[46:47]
	v_fma_f64 v[46:47], v[48:49], v[40:41], -v[112:113]
	v_fma_f64 v[100:101], v[50:51], v[40:41], v[42:43]
	v_mul_f64 v[74:75], v[8:9], v[24:25]
	v_mul_f64 v[96:97], v[18:19], v[4:5]
	;; [unrolled: 1-line block ×3, first 2 shown]
	v_add_f64 v[28:29], v[90:91], v[28:29]
	ds_read_b128 v[4:7], v32 offset:96
	ds_read_b128 v[24:27], v31 offset:3072
	s_cmp_lt_i32 s30, s11
	v_add_f64 v[56:57], v[62:63], v[56:57]
	v_add_f64 v[12:13], v[12:13], v[80:81]
	;; [unrolled: 1-line block ×3, first 2 shown]
	v_fma_f64 v[62:63], v[8:9], v[2:3], -v[68:69]
	v_fma_f64 v[48:49], v[48:49], v[44:45], -v[36:37]
	v_fma_f64 v[44:45], v[50:51], v[44:45], v[38:39]
	v_add_f64 v[50:51], v[54:55], v[88:89]
	v_add_f64 v[54:55], v[58:59], v[66:67]
	;; [unrolled: 1-line block ×4, first 2 shown]
	ds_read_b128 v[36:39], v31 offset:3328
	ds_read_b128 v[40:43], v32 offset:2144
	v_fma_f64 v[64:65], v[10:11], v[2:3], v[70:71]
	v_fma_f64 v[66:67], v[8:9], v[22:23], -v[72:73]
	v_fma_f64 v[68:69], v[10:11], v[22:23], v[74:75]
	v_fma_f64 v[70:71], v[16:17], v[2:3], -v[96:97]
	;; [unrolled: 2-line block ×3, first 2 shown]
	s_waitcnt lgkmcnt(2)
	v_mul_f64 v[74:75], v[6:7], v[26:27]
	v_fma_f64 v[22:23], v[18:19], v[22:23], v[104:105]
	v_mul_f64 v[78:79], v[4:5], v[26:27]
	v_add_f64 v[56:57], v[56:57], v[46:47]
	ds_read_b128 v[8:11], v32 offset:112
	ds_read_b128 v[16:19], v32 offset:2160
	v_add_f64 v[12:13], v[12:13], v[48:49]
	v_add_f64 v[48:49], v[44:45], v[52:53]
	;; [unrolled: 1-line block ×3, first 2 shown]
	s_waitcnt lgkmcnt(3)
	v_mul_f64 v[80:81], v[6:7], v[38:39]
	v_mul_f64 v[82:83], v[4:5], v[38:39]
	s_waitcnt lgkmcnt(2)
	v_mul_f64 v[84:85], v[42:43], v[26:27]
	v_mul_f64 v[88:89], v[40:41], v[26:27]
	v_add_f64 v[76:77], v[86:87], v[28:29]
	v_add_f64 v[54:55], v[54:55], v[92:93]
	;; [unrolled: 1-line block ×4, first 2 shown]
	v_mul_f64 v[52:53], v[42:43], v[38:39]
	v_mul_f64 v[38:39], v[40:41], v[38:39]
	ds_read_b128 v[26:29], v31 offset:3584
	ds_read_b128 v[44:47], v31 offset:3840
	v_fma_f64 v[74:75], v[4:5], v[24:25], -v[74:75]
	v_fma_f64 v[78:79], v[6:7], v[24:25], v[78:79]
	v_add_f64 v[56:57], v[56:57], v[70:71]
	s_waitcnt lgkmcnt(0)
	s_barrier
	buffer_gl0_inv
	v_add_f64 v[12:13], v[12:13], v[72:73]
	v_add_f64 v[22:23], v[22:23], v[48:49]
	;; [unrolled: 1-line block ×3, first 2 shown]
	v_fma_f64 v[4:5], v[4:5], v[36:37], -v[80:81]
	v_fma_f64 v[6:7], v[6:7], v[36:37], v[82:83]
	v_fma_f64 v[80:81], v[40:41], v[24:25], -v[84:85]
	v_fma_f64 v[24:25], v[42:43], v[24:25], v[88:89]
	v_add_f64 v[62:63], v[64:65], v[76:77]
	v_add_f64 v[54:55], v[54:55], v[66:67]
	;; [unrolled: 1-line block ×4, first 2 shown]
	v_fma_f64 v[40:41], v[40:41], v[36:37], -v[52:53]
	v_fma_f64 v[36:37], v[42:43], v[36:37], v[38:39]
	v_mul_f64 v[38:39], v[10:11], v[28:29]
	v_mul_f64 v[42:43], v[8:9], v[28:29]
	;; [unrolled: 1-line block ×8, first 2 shown]
	v_add_f64 v[50:51], v[50:51], v[74:75]
	v_add_f64 v[62:63], v[78:79], v[62:63]
	;; [unrolled: 1-line block ×8, first 2 shown]
	v_fma_f64 v[22:23], v[8:9], v[26:27], -v[38:39]
	v_fma_f64 v[24:25], v[10:11], v[26:27], v[42:43]
	v_fma_f64 v[8:9], v[8:9], v[44:45], -v[48:49]
	v_fma_f64 v[10:11], v[10:11], v[44:45], v[52:53]
	;; [unrolled: 2-line block ×4, first 2 shown]
	v_add_f64 v[26:27], v[50:51], v[22:23]
	v_add_f64 v[28:29], v[24:25], v[62:63]
	;; [unrolled: 1-line block ×8, first 2 shown]
	s_cbranch_scc0 .LBB125_11
.LBB125_7:                              ; =>This Inner Loop Header: Depth=1
	v_add_nc_u32_e32 v2, s30, v33
	v_mov_b32_e32 v4, 0
	v_mov_b32_e32 v5, 0
	v_cmp_gt_i32_e64 s1, s11, v2
	v_mov_b32_e32 v2, 0
	v_mov_b32_e32 v3, 0
	s_and_b32 s6, vcc_lo, s1
	s_and_saveexec_b32 s1, s6
	s_cbranch_execz .LBB125_9
; %bb.8:                                ;   in Loop: Header=BB125_7 Depth=1
	global_load_dwordx4 v[2:5], v[14:15], off offset:-8
	s_waitcnt vmcnt(0)
	v_xor_b32_e32 v5, 0x80000000, v5
.LBB125_9:                              ;   in Loop: Header=BB125_7 Depth=1
	s_or_b32 exec_lo, exec_lo, s1
	v_add_nc_u32_e32 v6, s30, v30
	v_mov_b32_e32 v8, 0
	v_mov_b32_e32 v9, 0
	ds_write_b128 v34, v[2:5]
	v_cmp_gt_i32_e64 s1, s11, v6
	v_mov_b32_e32 v6, 0
	v_mov_b32_e32 v7, 0
	s_and_b32 s6, s1, s0
	s_and_saveexec_b32 s1, s6
	s_cbranch_execz .LBB125_6
; %bb.10:                               ;   in Loop: Header=BB125_7 Depth=1
	global_load_dwordx4 v[6:9], v[20:21], off offset:-8
	s_waitcnt vmcnt(0)
	v_xor_b32_e32 v9, 0x80000000, v9
	s_branch .LBB125_6
.LBB125_11:
	s_clause 0x1
	s_load_dword s3, s[4:5], 0x50
	s_load_dwordx2 s[0:1], s[4:5], 0x58
	v_cmp_neq_f64_e64 s2, s[12:13], 0
	v_add_nc_u32_e32 v15, s29, v1
	v_add_nc_u32_e32 v4, s28, v0
	v_cmp_le_i32_e32 vcc_lo, v15, v4
	v_ashrrev_i32_e32 v5, 31, v4
	s_waitcnt lgkmcnt(0)
	v_mad_i64_i32 v[0:1], null, v15, s3, 0
	s_mul_i32 s1, s1, s8
	s_mul_hi_u32 s5, s0, s8
	s_mul_i32 s4, s0, s8
	s_add_i32 s5, s5, s1
	v_cmp_gt_i32_e64 s0, s10, v4
	s_lshl_b64 s[4:5], s[4:5], 4
	v_lshlrev_b64 v[0:1], 4, v[0:1]
	s_add_u32 s4, s22, s4
	s_addc_u32 s5, s23, s5
	s_xor_b32 s6, s9, -1
	s_or_b32 s2, s2, s6
	v_add_co_u32 v8, s1, s4, v0
	v_add_co_ci_u32_e64 v9, null, s5, v1, s1
	v_cndmask_b32_e64 v14, 0, 1, s2
	s_and_b32 s6, vcc_lo, s0
	s_and_saveexec_b32 s1, s6
	s_cbranch_execz .LBB125_15
; %bb.12:
	v_mul_f64 v[0:1], s[18:19], v[28:29]
	v_mul_f64 v[2:3], s[16:17], v[28:29]
	v_lshlrev_b64 v[6:7], 4, v[4:5]
	v_add_co_u32 v6, vcc_lo, v8, v6
	v_add_co_ci_u32_e64 v7, null, v9, v7, vcc_lo
	s_andn2_b32 vcc_lo, exec_lo, s2
	v_fma_f64 v[0:1], s[16:17], v[26:27], -v[0:1]
	v_fma_f64 v[2:3], s[18:19], v[26:27], v[2:3]
	s_cbranch_vccnz .LBB125_14
; %bb.13:
	global_load_dwordx4 v[26:29], v[6:7], off
	s_waitcnt vmcnt(0)
	v_mul_f64 v[20:21], s[14:15], v[28:29]
	v_mul_f64 v[28:29], s[12:13], v[28:29]
	v_fma_f64 v[20:21], s[12:13], v[26:27], -v[20:21]
	v_fma_f64 v[26:27], s[14:15], v[26:27], v[28:29]
	v_add_f64 v[0:1], v[0:1], v[20:21]
	v_add_f64 v[2:3], v[2:3], v[26:27]
.LBB125_14:
	global_store_dwordx4 v[6:7], v[0:3], off
.LBB125_15:
	s_or_b32 exec_lo, exec_lo, s1
	v_add_nc_u32_e32 v6, 16, v4
	v_cmp_le_i32_e32 vcc_lo, v15, v6
	v_cmp_gt_i32_e64 s1, s10, v6
	v_ashrrev_i32_e32 v7, 31, v6
	s_and_b32 s2, vcc_lo, s1
	s_and_saveexec_b32 s6, s2
	s_cbranch_execz .LBB125_19
; %bb.16:
	v_mul_f64 v[0:1], s[18:19], v[24:25]
	v_mul_f64 v[2:3], s[16:17], v[24:25]
	v_lshlrev_b64 v[20:21], 4, v[6:7]
	v_cmp_ne_u32_e32 vcc_lo, 1, v14
	s_and_b32 vcc_lo, exec_lo, vcc_lo
	v_add_co_u32 v8, s2, v8, v20
	v_add_co_ci_u32_e64 v9, null, v9, v21, s2
	v_fma_f64 v[0:1], s[16:17], v[22:23], -v[0:1]
	v_fma_f64 v[2:3], s[18:19], v[22:23], v[2:3]
	s_cbranch_vccnz .LBB125_18
; %bb.17:
	global_load_dwordx4 v[20:23], v[8:9], off
	s_waitcnt vmcnt(0)
	v_mul_f64 v[24:25], s[14:15], v[22:23]
	v_mul_f64 v[22:23], s[12:13], v[22:23]
	v_fma_f64 v[24:25], s[12:13], v[20:21], -v[24:25]
	v_fma_f64 v[20:21], s[14:15], v[20:21], v[22:23]
	v_add_f64 v[0:1], v[0:1], v[24:25]
	v_add_f64 v[2:3], v[2:3], v[20:21]
.LBB125_18:
	global_store_dwordx4 v[8:9], v[0:3], off
.LBB125_19:
	s_or_b32 exec_lo, exec_lo, s6
	v_add_nc_u32_e32 v15, 16, v15
	v_mad_i64_i32 v[0:1], null, v15, s3, 0
	v_cmp_le_i32_e32 vcc_lo, v15, v4
	s_and_b32 s0, vcc_lo, s0
	v_lshlrev_b64 v[0:1], 4, v[0:1]
	v_add_co_u32 v8, s2, s4, v0
	v_add_co_ci_u32_e64 v9, null, s5, v1, s2
	s_and_saveexec_b32 s2, s0
	s_cbranch_execz .LBB125_23
; %bb.20:
	v_mul_f64 v[0:1], s[18:19], v[18:19]
	v_mul_f64 v[2:3], s[16:17], v[18:19]
	v_lshlrev_b64 v[4:5], 4, v[4:5]
	v_cmp_ne_u32_e32 vcc_lo, 1, v14
	s_and_b32 vcc_lo, exec_lo, vcc_lo
	v_add_co_u32 v4, s0, v8, v4
	v_add_co_ci_u32_e64 v5, null, v9, v5, s0
	v_fma_f64 v[0:1], s[16:17], v[16:17], -v[0:1]
	v_fma_f64 v[2:3], s[18:19], v[16:17], v[2:3]
	s_cbranch_vccnz .LBB125_22
; %bb.21:
	global_load_dwordx4 v[16:19], v[4:5], off
	s_waitcnt vmcnt(0)
	v_mul_f64 v[20:21], s[14:15], v[18:19]
	v_mul_f64 v[18:19], s[12:13], v[18:19]
	v_fma_f64 v[20:21], s[12:13], v[16:17], -v[20:21]
	v_fma_f64 v[16:17], s[14:15], v[16:17], v[18:19]
	v_add_f64 v[0:1], v[0:1], v[20:21]
	v_add_f64 v[2:3], v[2:3], v[16:17]
.LBB125_22:
	global_store_dwordx4 v[4:5], v[0:3], off
.LBB125_23:
	s_or_b32 exec_lo, exec_lo, s2
	v_cmp_le_i32_e32 vcc_lo, v15, v6
	s_and_b32 s0, vcc_lo, s1
	s_and_saveexec_b32 s1, s0
	s_cbranch_execz .LBB125_28
; %bb.24:
	v_mul_f64 v[0:1], s[18:19], v[10:11]
	v_mul_f64 v[2:3], s[16:17], v[10:11]
	v_lshlrev_b64 v[4:5], 4, v[6:7]
	v_cmp_ne_u32_e32 vcc_lo, 1, v14
	s_and_b32 vcc_lo, exec_lo, vcc_lo
	v_add_co_u32 v4, s0, v8, v4
	v_add_co_ci_u32_e64 v5, null, v9, v5, s0
	v_fma_f64 v[0:1], s[16:17], v[12:13], -v[0:1]
	v_fma_f64 v[2:3], s[18:19], v[12:13], v[2:3]
	s_cbranch_vccnz .LBB125_26
; %bb.25:
	global_load_dwordx4 v[6:9], v[4:5], off
	s_waitcnt vmcnt(0)
	v_mul_f64 v[10:11], s[14:15], v[8:9]
	v_mul_f64 v[8:9], s[12:13], v[8:9]
	v_fma_f64 v[10:11], s[12:13], v[6:7], -v[10:11]
	v_fma_f64 v[6:7], s[14:15], v[6:7], v[8:9]
	v_add_f64 v[0:1], v[0:1], v[10:11]
	v_add_f64 v[2:3], v[2:3], v[6:7]
.LBB125_26:
	global_store_dwordx4 v[4:5], v[0:3], off
	s_endpgm
.LBB125_27:
.LBB125_28:
	s_endpgm
	.section	.rodata,"a",@progbits
	.p2align	6, 0x0
	.amdhsa_kernel _ZL29rocblas_internal_gemmt_kernelIiLi16ELi32ELi8ELc67ELc67ELc76ELb1ELb1E19rocblas_complex_numIdEPKS1_S3_PS1_EviT_T9_T10_S5_lS7_S5_lS6_T11_S5_li
		.amdhsa_group_segment_fixed_size 8192
		.amdhsa_private_segment_fixed_size 0
		.amdhsa_kernarg_size 100
		.amdhsa_user_sgpr_count 6
		.amdhsa_user_sgpr_private_segment_buffer 1
		.amdhsa_user_sgpr_dispatch_ptr 0
		.amdhsa_user_sgpr_queue_ptr 0
		.amdhsa_user_sgpr_kernarg_segment_ptr 1
		.amdhsa_user_sgpr_dispatch_id 0
		.amdhsa_user_sgpr_flat_scratch_init 0
		.amdhsa_user_sgpr_private_segment_size 0
		.amdhsa_wavefront_size32 1
		.amdhsa_uses_dynamic_stack 0
		.amdhsa_system_sgpr_private_segment_wavefront_offset 0
		.amdhsa_system_sgpr_workgroup_id_x 1
		.amdhsa_system_sgpr_workgroup_id_y 1
		.amdhsa_system_sgpr_workgroup_id_z 1
		.amdhsa_system_sgpr_workgroup_info 0
		.amdhsa_system_vgpr_workitem_id 1
		.amdhsa_next_free_vgpr 126
		.amdhsa_next_free_sgpr 31
		.amdhsa_reserve_vcc 1
		.amdhsa_reserve_flat_scratch 0
		.amdhsa_float_round_mode_32 0
		.amdhsa_float_round_mode_16_64 0
		.amdhsa_float_denorm_mode_32 3
		.amdhsa_float_denorm_mode_16_64 3
		.amdhsa_dx10_clamp 1
		.amdhsa_ieee_mode 1
		.amdhsa_fp16_overflow 0
		.amdhsa_workgroup_processor_mode 1
		.amdhsa_memory_ordered 1
		.amdhsa_forward_progress 1
		.amdhsa_shared_vgpr_count 0
		.amdhsa_exception_fp_ieee_invalid_op 0
		.amdhsa_exception_fp_denorm_src 0
		.amdhsa_exception_fp_ieee_div_zero 0
		.amdhsa_exception_fp_ieee_overflow 0
		.amdhsa_exception_fp_ieee_underflow 0
		.amdhsa_exception_fp_ieee_inexact 0
		.amdhsa_exception_int_div_zero 0
	.end_amdhsa_kernel
	.section	.text._ZL29rocblas_internal_gemmt_kernelIiLi16ELi32ELi8ELc67ELc67ELc76ELb1ELb1E19rocblas_complex_numIdEPKS1_S3_PS1_EviT_T9_T10_S5_lS7_S5_lS6_T11_S5_li,"axG",@progbits,_ZL29rocblas_internal_gemmt_kernelIiLi16ELi32ELi8ELc67ELc67ELc76ELb1ELb1E19rocblas_complex_numIdEPKS1_S3_PS1_EviT_T9_T10_S5_lS7_S5_lS6_T11_S5_li,comdat
.Lfunc_end125:
	.size	_ZL29rocblas_internal_gemmt_kernelIiLi16ELi32ELi8ELc67ELc67ELc76ELb1ELb1E19rocblas_complex_numIdEPKS1_S3_PS1_EviT_T9_T10_S5_lS7_S5_lS6_T11_S5_li, .Lfunc_end125-_ZL29rocblas_internal_gemmt_kernelIiLi16ELi32ELi8ELc67ELc67ELc76ELb1ELb1E19rocblas_complex_numIdEPKS1_S3_PS1_EviT_T9_T10_S5_lS7_S5_lS6_T11_S5_li
                                        ; -- End function
	.set _ZL29rocblas_internal_gemmt_kernelIiLi16ELi32ELi8ELc67ELc67ELc76ELb1ELb1E19rocblas_complex_numIdEPKS1_S3_PS1_EviT_T9_T10_S5_lS7_S5_lS6_T11_S5_li.num_vgpr, 126
	.set _ZL29rocblas_internal_gemmt_kernelIiLi16ELi32ELi8ELc67ELc67ELc76ELb1ELb1E19rocblas_complex_numIdEPKS1_S3_PS1_EviT_T9_T10_S5_lS7_S5_lS6_T11_S5_li.num_agpr, 0
	.set _ZL29rocblas_internal_gemmt_kernelIiLi16ELi32ELi8ELc67ELc67ELc76ELb1ELb1E19rocblas_complex_numIdEPKS1_S3_PS1_EviT_T9_T10_S5_lS7_S5_lS6_T11_S5_li.numbered_sgpr, 31
	.set _ZL29rocblas_internal_gemmt_kernelIiLi16ELi32ELi8ELc67ELc67ELc76ELb1ELb1E19rocblas_complex_numIdEPKS1_S3_PS1_EviT_T9_T10_S5_lS7_S5_lS6_T11_S5_li.num_named_barrier, 0
	.set _ZL29rocblas_internal_gemmt_kernelIiLi16ELi32ELi8ELc67ELc67ELc76ELb1ELb1E19rocblas_complex_numIdEPKS1_S3_PS1_EviT_T9_T10_S5_lS7_S5_lS6_T11_S5_li.private_seg_size, 0
	.set _ZL29rocblas_internal_gemmt_kernelIiLi16ELi32ELi8ELc67ELc67ELc76ELb1ELb1E19rocblas_complex_numIdEPKS1_S3_PS1_EviT_T9_T10_S5_lS7_S5_lS6_T11_S5_li.uses_vcc, 1
	.set _ZL29rocblas_internal_gemmt_kernelIiLi16ELi32ELi8ELc67ELc67ELc76ELb1ELb1E19rocblas_complex_numIdEPKS1_S3_PS1_EviT_T9_T10_S5_lS7_S5_lS6_T11_S5_li.uses_flat_scratch, 0
	.set _ZL29rocblas_internal_gemmt_kernelIiLi16ELi32ELi8ELc67ELc67ELc76ELb1ELb1E19rocblas_complex_numIdEPKS1_S3_PS1_EviT_T9_T10_S5_lS7_S5_lS6_T11_S5_li.has_dyn_sized_stack, 0
	.set _ZL29rocblas_internal_gemmt_kernelIiLi16ELi32ELi8ELc67ELc67ELc76ELb1ELb1E19rocblas_complex_numIdEPKS1_S3_PS1_EviT_T9_T10_S5_lS7_S5_lS6_T11_S5_li.has_recursion, 0
	.set _ZL29rocblas_internal_gemmt_kernelIiLi16ELi32ELi8ELc67ELc67ELc76ELb1ELb1E19rocblas_complex_numIdEPKS1_S3_PS1_EviT_T9_T10_S5_lS7_S5_lS6_T11_S5_li.has_indirect_call, 0
	.section	.AMDGPU.csdata,"",@progbits
; Kernel info:
; codeLenInByte = 3572
; TotalNumSgprs: 33
; NumVgprs: 126
; ScratchSize: 0
; MemoryBound: 1
; FloatMode: 240
; IeeeMode: 1
; LDSByteSize: 8192 bytes/workgroup (compile time only)
; SGPRBlocks: 0
; VGPRBlocks: 15
; NumSGPRsForWavesPerEU: 33
; NumVGPRsForWavesPerEU: 126
; Occupancy: 8
; WaveLimiterHint : 0
; COMPUTE_PGM_RSRC2:SCRATCH_EN: 0
; COMPUTE_PGM_RSRC2:USER_SGPR: 6
; COMPUTE_PGM_RSRC2:TRAP_HANDLER: 0
; COMPUTE_PGM_RSRC2:TGID_X_EN: 1
; COMPUTE_PGM_RSRC2:TGID_Y_EN: 1
; COMPUTE_PGM_RSRC2:TGID_Z_EN: 1
; COMPUTE_PGM_RSRC2:TIDIG_COMP_CNT: 1
	.section	.text._ZL29rocblas_internal_gemmt_kernelIiLi16ELi32ELi8ELc78ELc78ELc85ELb0ELb0E19rocblas_complex_numIdES1_PKS1_PS1_EviT_T9_T10_S5_lS7_S5_lS6_T11_S5_li,"axG",@progbits,_ZL29rocblas_internal_gemmt_kernelIiLi16ELi32ELi8ELc78ELc78ELc85ELb0ELb0E19rocblas_complex_numIdES1_PKS1_PS1_EviT_T9_T10_S5_lS7_S5_lS6_T11_S5_li,comdat
	.globl	_ZL29rocblas_internal_gemmt_kernelIiLi16ELi32ELi8ELc78ELc78ELc85ELb0ELb0E19rocblas_complex_numIdES1_PKS1_PS1_EviT_T9_T10_S5_lS7_S5_lS6_T11_S5_li ; -- Begin function _ZL29rocblas_internal_gemmt_kernelIiLi16ELi32ELi8ELc78ELc78ELc85ELb0ELb0E19rocblas_complex_numIdES1_PKS1_PS1_EviT_T9_T10_S5_lS7_S5_lS6_T11_S5_li
	.p2align	8
	.type	_ZL29rocblas_internal_gemmt_kernelIiLi16ELi32ELi8ELc78ELc78ELc85ELb0ELb0E19rocblas_complex_numIdES1_PKS1_PS1_EviT_T9_T10_S5_lS7_S5_lS6_T11_S5_li,@function
_ZL29rocblas_internal_gemmt_kernelIiLi16ELi32ELi8ELc78ELc78ELc85ELb0ELb0E19rocblas_complex_numIdES1_PKS1_PS1_EviT_T9_T10_S5_lS7_S5_lS6_T11_S5_li: ; @_ZL29rocblas_internal_gemmt_kernelIiLi16ELi32ELi8ELc78ELc78ELc85ELb0ELb0E19rocblas_complex_numIdES1_PKS1_PS1_EviT_T9_T10_S5_lS7_S5_lS6_T11_S5_li
; %bb.0:
	s_clause 0x2
	s_load_dwordx8 s[12:19], s[4:5], 0x40
	s_load_dwordx2 s[2:3], s[4:5], 0x0
	s_load_dwordx4 s[20:23], s[4:5], 0x8
	s_waitcnt lgkmcnt(0)
	v_cmp_eq_f64_e64 s0, s[14:15], 1.0
	v_cmp_eq_f64_e64 s9, s[16:17], 0
	s_and_b32 s0, s0, s9
	s_andn2_b32 vcc_lo, exec_lo, s0
	s_mov_b32 s0, -1
	s_cbranch_vccnz .LBB126_3
; %bb.1:
	s_cmp_lg_u32 s3, 0
	s_cbranch_scc0 .LBB126_31
; %bb.2:
	v_cmp_neq_f64_e64 s0, s[20:21], 0
	v_cmp_neq_f64_e64 s1, s[22:23], 0
	s_or_b32 s0, s0, s1
.LBB126_3:
	s_and_b32 vcc_lo, exec_lo, s0
	s_cbranch_vccz .LBB126_32
; %bb.4:
	v_cmp_eq_f64_e64 s0, s[20:21], 0
	v_cmp_eq_f64_e64 s1, s[22:23], 0
	s_lshl_b32 s10, s6, 5
	s_lshl_b32 s11, s7, 5
	v_mov_b32_e32 v22, 0
	v_mov_b32_e32 v24, 0
	;; [unrolled: 1-line block ×16, first 2 shown]
	s_mov_b32 s28, 0
	s_and_b32 s0, s0, s1
	s_cmp_lt_i32 s3, 1
	s_cselect_b32 s1, -1, 0
	s_or_b32 s0, s0, s1
	s_and_b32 vcc_lo, exec_lo, s0
	s_cbranch_vccnz .LBB126_15
; %bb.5:
	s_clause 0x3
	s_load_dword s6, s[4:5], 0x20
	s_load_dwordx2 s[30:31], s[4:5], 0x18
	s_load_dwordx4 s[24:27], s[4:5], 0x28
	s_load_dword s1, s[4:5], 0x38
	v_lshl_add_u32 v2, v1, 4, v0
	v_and_b32_e32 v26, 7, v0
	v_mov_b32_e32 v10, 0
	v_mov_b32_e32 v12, 0
	;; [unrolled: 1-line block ×3, first 2 shown]
	v_and_b32_e32 v3, 31, v2
	v_lshrrev_b32_e32 v4, 3, v2
	v_lshlrev_b32_e32 v7, 4, v26
	v_lshrrev_b32_e32 v29, 5, v2
	v_mov_b32_e32 v18, 0
	v_or_b32_e32 v5, s10, v3
	v_add_nc_u32_e32 v6, s11, v4
	v_lshlrev_b32_e32 v8, 4, v3
	v_lshl_or_b32 v9, v4, 7, v7
	v_add_nc_u32_e32 v2, s10, v3
	v_cmp_gt_i32_e32 vcc_lo, s2, v5
	v_cmp_gt_i32_e64 s0, s2, v6
	s_waitcnt lgkmcnt(0)
	v_mad_i64_i32 v[3:4], null, v29, s6, 0
	s_mul_i32 s25, s25, s8
	s_mul_hi_u32 s29, s24, s8
	v_mad_i64_i32 v[5:6], null, s1, v6, 0
	s_mul_i32 s24, s24, s8
	s_add_i32 s25, s29, s25
	v_lshlrev_b64 v[3:4], 4, v[3:4]
	s_lshl_b64 s[24:25], s[24:25], 4
	v_lshl_or_b32 v30, v29, 9, v8
	v_add_nc_u32_e32 v31, 0x1000, v9
	v_mov_b32_e32 v16, 0
	v_mov_b32_e32 v14, 0
	v_add_co_u32 v8, s1, v3, s24
	v_ashrrev_i32_e32 v3, 31, v2
	v_add_co_ci_u32_e64 v9, null, s25, v4, s1
	s_mul_i32 s1, s13, s8
	s_mul_hi_u32 s13, s12, s8
	v_lshlrev_b64 v[4:5], 4, v[5:6]
	s_add_i32 s13, s13, s1
	s_mul_i32 s12, s12, s8
	v_lshlrev_b64 v[2:3], 4, v[2:3]
	s_lshl_b64 s[12:13], s[12:13], 4
	v_mov_b32_e32 v24, 0
	v_add_co_u32 v4, s1, v4, s12
	v_add_co_ci_u32_e64 v5, null, s13, v5, s1
	v_add_co_u32 v2, s1, v8, v2
	v_add_co_ci_u32_e64 v3, null, v9, v3, s1
	;; [unrolled: 2-line block ×4, first 2 shown]
	v_add_co_u32 v8, s1, s26, v4
	v_mov_b32_e32 v22, 0
	v_lshlrev_b32_e32 v27, 4, v0
	v_lshl_add_u32 v28, v1, 7, 0x1000
	v_add_co_ci_u32_e64 v9, null, s27, v5, s1
	v_mov_b32_e32 v11, 0
	v_mov_b32_e32 v13, 0
	;; [unrolled: 1-line block ×9, first 2 shown]
	s_ashr_i32 s7, s6, 31
	s_xor_b32 s1, vcc_lo, -1
	s_lshl_b64 s[6:7], s[6:7], 7
	s_xor_b32 s0, s0, -1
	s_branch .LBB126_7
.LBB126_6:                              ;   in Loop: Header=BB126_7 Depth=1
	s_or_b32 exec_lo, exec_lo, s12
	s_waitcnt lgkmcnt(0)
	s_barrier
	buffer_gl0_inv
	ds_read_b128 v[32:35], v28
	ds_read_b128 v[36:39], v28 offset:16
	ds_read_b128 v[40:43], v28 offset:32
	;; [unrolled: 1-line block ×3, first 2 shown]
	ds_read_b128 v[48:51], v27
	v_add_co_u32 v6, vcc_lo, v6, s6
	v_add_co_ci_u32_e64 v7, null, s7, v7, vcc_lo
	v_add_co_u32 v8, vcc_lo, 0x80, v8
	v_add_co_ci_u32_e64 v9, null, 0, v9, vcc_lo
	s_add_i32 s28, s28, 8
	s_cmp_lt_i32 s28, s3
	s_waitcnt lgkmcnt(0)
	v_mul_f64 v[3:4], v[34:35], v[50:51]
	v_mul_f64 v[52:53], v[32:33], v[50:51]
	v_fma_f64 v[3:4], v[32:33], v[48:49], -v[3:4]
	v_fma_f64 v[52:53], v[34:35], v[48:49], v[52:53]
	v_add_f64 v[3:4], v[22:23], v[3:4]
	v_add_f64 v[52:53], v[52:53], v[24:25]
	ds_read_b128 v[22:25], v27 offset:256
	s_waitcnt lgkmcnt(0)
	v_mul_f64 v[54:55], v[34:35], v[24:25]
	v_fma_f64 v[54:55], v[32:33], v[22:23], -v[54:55]
	v_mul_f64 v[32:33], v[32:33], v[24:25]
	v_fma_f64 v[32:33], v[34:35], v[22:23], v[32:33]
	v_add_f64 v[34:35], v[14:15], v[54:55]
	v_add_f64 v[32:33], v[32:33], v[16:17]
	ds_read_b128 v[14:17], v28 offset:2048
	s_waitcnt lgkmcnt(0)
	v_mul_f64 v[54:55], v[16:17], v[50:51]
	v_mul_f64 v[50:51], v[14:15], v[50:51]
	v_fma_f64 v[54:55], v[14:15], v[48:49], -v[54:55]
	v_fma_f64 v[48:49], v[16:17], v[48:49], v[50:51]
	v_add_f64 v[50:51], v[18:19], v[54:55]
	v_mul_f64 v[18:19], v[16:17], v[24:25]
	v_add_f64 v[48:49], v[48:49], v[20:21]
	v_fma_f64 v[18:19], v[14:15], v[22:23], -v[18:19]
	v_mul_f64 v[14:15], v[14:15], v[24:25]
	v_fma_f64 v[14:15], v[16:17], v[22:23], v[14:15]
	v_add_f64 v[22:23], v[12:13], v[18:19]
	v_add_f64 v[24:25], v[14:15], v[10:11]
	ds_read_b128 v[10:13], v27 offset:512
	s_waitcnt lgkmcnt(0)
	v_mul_f64 v[14:15], v[38:39], v[12:13]
	v_mul_f64 v[16:17], v[36:37], v[12:13]
	v_fma_f64 v[14:15], v[36:37], v[10:11], -v[14:15]
	v_fma_f64 v[16:17], v[38:39], v[10:11], v[16:17]
	v_add_f64 v[3:4], v[3:4], v[14:15]
	v_add_f64 v[52:53], v[16:17], v[52:53]
	ds_read_b128 v[14:17], v27 offset:768
	s_waitcnt lgkmcnt(0)
	v_mul_f64 v[18:19], v[38:39], v[16:17]
	v_mul_f64 v[20:21], v[36:37], v[16:17]
	v_fma_f64 v[18:19], v[36:37], v[14:15], -v[18:19]
	;; [unrolled: 8-line block ×3, first 2 shown]
	v_fma_f64 v[10:11], v[20:21], v[10:11], v[12:13]
	v_mul_f64 v[12:13], v[18:19], v[16:17]
	v_add_f64 v[36:37], v[50:51], v[36:37]
	v_add_f64 v[38:39], v[10:11], v[48:49]
	v_mul_f64 v[10:11], v[20:21], v[16:17]
	v_fma_f64 v[12:13], v[20:21], v[14:15], v[12:13]
	v_fma_f64 v[10:11], v[18:19], v[14:15], -v[10:11]
	v_add_f64 v[24:25], v[12:13], v[24:25]
	v_add_f64 v[22:23], v[22:23], v[10:11]
	ds_read_b128 v[10:13], v27 offset:1024
	s_waitcnt lgkmcnt(0)
	v_mul_f64 v[14:15], v[42:43], v[12:13]
	v_mul_f64 v[16:17], v[40:41], v[12:13]
	v_fma_f64 v[14:15], v[40:41], v[10:11], -v[14:15]
	v_fma_f64 v[16:17], v[42:43], v[10:11], v[16:17]
	v_add_f64 v[3:4], v[3:4], v[14:15]
	v_add_f64 v[48:49], v[16:17], v[52:53]
	ds_read_b128 v[14:17], v27 offset:1280
	s_waitcnt lgkmcnt(0)
	v_mul_f64 v[18:19], v[42:43], v[16:17]
	v_mul_f64 v[20:21], v[40:41], v[16:17]
	v_fma_f64 v[18:19], v[40:41], v[14:15], -v[18:19]
	v_fma_f64 v[20:21], v[42:43], v[14:15], v[20:21]
	;; [unrolled: 8-line block ×3, first 2 shown]
	v_mul_f64 v[12:13], v[18:19], v[16:17]
	v_add_f64 v[36:37], v[36:37], v[40:41]
	v_add_f64 v[38:39], v[10:11], v[38:39]
	v_mul_f64 v[10:11], v[20:21], v[16:17]
	v_fma_f64 v[12:13], v[20:21], v[14:15], v[12:13]
	v_fma_f64 v[10:11], v[18:19], v[14:15], -v[10:11]
	v_add_f64 v[24:25], v[12:13], v[24:25]
	v_add_f64 v[22:23], v[22:23], v[10:11]
	ds_read_b128 v[10:13], v27 offset:1536
	s_waitcnt lgkmcnt(0)
	v_mul_f64 v[14:15], v[46:47], v[12:13]
	v_mul_f64 v[16:17], v[44:45], v[12:13]
	v_fma_f64 v[14:15], v[44:45], v[10:11], -v[14:15]
	v_fma_f64 v[16:17], v[46:47], v[10:11], v[16:17]
	v_add_f64 v[3:4], v[3:4], v[14:15]
	v_add_f64 v[40:41], v[16:17], v[48:49]
	ds_read_b128 v[14:17], v27 offset:1792
	s_waitcnt lgkmcnt(0)
	v_mul_f64 v[18:19], v[46:47], v[16:17]
	v_mul_f64 v[20:21], v[44:45], v[16:17]
	v_fma_f64 v[18:19], v[44:45], v[14:15], -v[18:19]
	v_fma_f64 v[20:21], v[46:47], v[14:15], v[20:21]
	;; [unrolled: 8-line block ×3, first 2 shown]
	v_mul_f64 v[12:13], v[18:19], v[16:17]
	v_add_f64 v[36:37], v[36:37], v[42:43]
	v_add_f64 v[38:39], v[10:11], v[38:39]
	v_mul_f64 v[10:11], v[20:21], v[16:17]
	v_fma_f64 v[12:13], v[20:21], v[14:15], v[12:13]
	v_fma_f64 v[10:11], v[18:19], v[14:15], -v[10:11]
	v_add_f64 v[24:25], v[12:13], v[24:25]
	v_add_f64 v[22:23], v[22:23], v[10:11]
	ds_read_b128 v[10:13], v28 offset:64
	ds_read_b128 v[14:17], v27 offset:2048
	s_waitcnt lgkmcnt(0)
	v_mul_f64 v[18:19], v[12:13], v[16:17]
	v_mul_f64 v[20:21], v[10:11], v[16:17]
	v_fma_f64 v[18:19], v[10:11], v[14:15], -v[18:19]
	v_fma_f64 v[20:21], v[12:13], v[14:15], v[20:21]
	v_add_f64 v[3:4], v[3:4], v[18:19]
	v_add_f64 v[40:41], v[20:21], v[40:41]
	ds_read_b128 v[18:21], v27 offset:2304
	s_waitcnt lgkmcnt(0)
	v_mul_f64 v[42:43], v[12:13], v[20:21]
	v_fma_f64 v[42:43], v[10:11], v[18:19], -v[42:43]
	v_mul_f64 v[10:11], v[10:11], v[20:21]
	v_add_f64 v[34:35], v[34:35], v[42:43]
	v_fma_f64 v[10:11], v[12:13], v[18:19], v[10:11]
	v_add_f64 v[32:33], v[10:11], v[32:33]
	ds_read_b128 v[10:13], v28 offset:2112
	s_waitcnt lgkmcnt(0)
	v_mul_f64 v[42:43], v[12:13], v[16:17]
	v_mul_f64 v[16:17], v[10:11], v[16:17]
	v_fma_f64 v[42:43], v[10:11], v[14:15], -v[42:43]
	v_fma_f64 v[14:15], v[12:13], v[14:15], v[16:17]
	v_add_f64 v[36:37], v[36:37], v[42:43]
	v_add_f64 v[38:39], v[14:15], v[38:39]
	v_mul_f64 v[14:15], v[12:13], v[20:21]
	v_fma_f64 v[14:15], v[10:11], v[18:19], -v[14:15]
	v_mul_f64 v[10:11], v[10:11], v[20:21]
	v_add_f64 v[22:23], v[22:23], v[14:15]
	v_fma_f64 v[10:11], v[12:13], v[18:19], v[10:11]
	v_add_f64 v[24:25], v[10:11], v[24:25]
	ds_read_b128 v[10:13], v28 offset:80
	ds_read_b128 v[14:17], v27 offset:2560
	s_waitcnt lgkmcnt(0)
	v_mul_f64 v[18:19], v[12:13], v[16:17]
	v_mul_f64 v[20:21], v[10:11], v[16:17]
	v_fma_f64 v[18:19], v[10:11], v[14:15], -v[18:19]
	v_fma_f64 v[20:21], v[12:13], v[14:15], v[20:21]
	v_add_f64 v[3:4], v[3:4], v[18:19]
	v_add_f64 v[40:41], v[20:21], v[40:41]
	ds_read_b128 v[18:21], v27 offset:2816
	s_waitcnt lgkmcnt(0)
	v_mul_f64 v[42:43], v[12:13], v[20:21]
	v_fma_f64 v[42:43], v[10:11], v[18:19], -v[42:43]
	v_mul_f64 v[10:11], v[10:11], v[20:21]
	v_add_f64 v[34:35], v[34:35], v[42:43]
	v_fma_f64 v[10:11], v[12:13], v[18:19], v[10:11]
	v_add_f64 v[32:33], v[10:11], v[32:33]
	ds_read_b128 v[10:13], v28 offset:2128
	s_waitcnt lgkmcnt(0)
	v_mul_f64 v[42:43], v[12:13], v[16:17]
	v_mul_f64 v[16:17], v[10:11], v[16:17]
	v_fma_f64 v[42:43], v[10:11], v[14:15], -v[42:43]
	v_fma_f64 v[14:15], v[12:13], v[14:15], v[16:17]
	v_add_f64 v[36:37], v[36:37], v[42:43]
	v_add_f64 v[38:39], v[14:15], v[38:39]
	v_mul_f64 v[14:15], v[12:13], v[20:21]
	v_fma_f64 v[14:15], v[10:11], v[18:19], -v[14:15]
	v_mul_f64 v[10:11], v[10:11], v[20:21]
	v_add_f64 v[22:23], v[22:23], v[14:15]
	v_fma_f64 v[10:11], v[12:13], v[18:19], v[10:11]
	;; [unrolled: 31-line block ×3, first 2 shown]
	v_add_f64 v[48:49], v[10:11], v[24:25]
	ds_read_b128 v[10:13], v28 offset:112
	ds_read_b128 v[18:21], v27 offset:3584
	;; [unrolled: 1-line block ×3, first 2 shown]
	s_waitcnt lgkmcnt(1)
	v_mul_f64 v[14:15], v[12:13], v[20:21]
	v_mul_f64 v[16:17], v[10:11], v[20:21]
	v_fma_f64 v[14:15], v[10:11], v[18:19], -v[14:15]
	v_fma_f64 v[16:17], v[12:13], v[18:19], v[16:17]
	v_add_f64 v[22:23], v[3:4], v[14:15]
	s_waitcnt lgkmcnt(0)
	v_mul_f64 v[3:4], v[12:13], v[34:35]
	v_add_f64 v[24:25], v[16:17], v[40:41]
	v_fma_f64 v[3:4], v[10:11], v[32:33], -v[3:4]
	v_mul_f64 v[10:11], v[10:11], v[34:35]
	v_add_f64 v[14:15], v[42:43], v[3:4]
	v_fma_f64 v[10:11], v[12:13], v[32:33], v[10:11]
	v_add_f64 v[16:17], v[10:11], v[44:45]
	ds_read_b128 v[10:13], v28 offset:2160
	s_waitcnt lgkmcnt(0)
	s_barrier
	buffer_gl0_inv
	v_mul_f64 v[3:4], v[12:13], v[20:21]
	v_mul_f64 v[20:21], v[10:11], v[20:21]
	v_fma_f64 v[3:4], v[10:11], v[18:19], -v[3:4]
	v_fma_f64 v[20:21], v[12:13], v[18:19], v[20:21]
	v_add_f64 v[18:19], v[36:37], v[3:4]
	v_mul_f64 v[3:4], v[12:13], v[34:35]
	v_add_f64 v[20:21], v[20:21], v[38:39]
	v_fma_f64 v[3:4], v[10:11], v[32:33], -v[3:4]
	v_mul_f64 v[10:11], v[10:11], v[34:35]
	v_fma_f64 v[10:11], v[12:13], v[32:33], v[10:11]
	v_add_f64 v[12:13], v[46:47], v[3:4]
	v_add_f64 v[10:11], v[10:11], v[48:49]
	s_cbranch_scc0 .LBB126_15
.LBB126_7:                              ; =>This Inner Loop Header: Depth=1
	v_add_nc_u32_e32 v3, s28, v29
	v_cmp_le_i32_e32 vcc_lo, s3, v3
	s_or_b32 s12, s1, vcc_lo
	s_and_saveexec_b32 s13, s12
	s_xor_b32 s12, exec_lo, s13
	s_cbranch_execz .LBB126_9
; %bb.8:                                ;   in Loop: Header=BB126_7 Depth=1
	v_mov_b32_e32 v3, v2
	v_mov_b32_e32 v4, v2
	;; [unrolled: 1-line block ×3, first 2 shown]
	ds_write_b128 v30, v[2:5]
.LBB126_9:                              ;   in Loop: Header=BB126_7 Depth=1
	s_andn2_saveexec_b32 s12, s12
	s_cbranch_execz .LBB126_11
; %bb.10:                               ;   in Loop: Header=BB126_7 Depth=1
	global_load_dwordx4 v[32:35], v[6:7], off
	s_waitcnt vmcnt(0)
	ds_write2_b64 v30, v[32:33], v[34:35] offset1:1
.LBB126_11:                             ;   in Loop: Header=BB126_7 Depth=1
	s_or_b32 exec_lo, exec_lo, s12
	v_add_nc_u32_e32 v3, s28, v26
	v_cmp_le_i32_e32 vcc_lo, s3, v3
	s_or_b32 s12, vcc_lo, s0
	s_and_saveexec_b32 s13, s12
	s_xor_b32 s12, exec_lo, s13
	s_cbranch_execz .LBB126_13
; %bb.12:                               ;   in Loop: Header=BB126_7 Depth=1
	v_mov_b32_e32 v3, v2
	v_mov_b32_e32 v4, v2
	;; [unrolled: 1-line block ×3, first 2 shown]
	ds_write_b128 v31, v[2:5]
.LBB126_13:                             ;   in Loop: Header=BB126_7 Depth=1
	s_andn2_saveexec_b32 s12, s12
	s_cbranch_execz .LBB126_6
; %bb.14:                               ;   in Loop: Header=BB126_7 Depth=1
	global_load_dwordx4 v[32:35], v[8:9], off
	s_waitcnt vmcnt(0)
	ds_write2_b64 v31, v[32:33], v[34:35] offset1:1
	s_branch .LBB126_6
.LBB126_15:
	s_clause 0x1
	s_load_dword s3, s[4:5], 0x60
	s_load_dwordx2 s[4:5], s[4:5], 0x68
	v_cmp_neq_f64_e64 s6, s[14:15], 0
	v_add_nc_u32_e32 v27, s11, v1
	v_add_nc_u32_e32 v4, s10, v0
	v_cmp_gt_i32_e64 s0, s2, v27
	v_cmp_le_i32_e32 vcc_lo, v4, v27
	v_ashrrev_i32_e32 v5, 31, v4
	s_waitcnt lgkmcnt(0)
	v_mad_i64_i32 v[0:1], null, v27, s3, 0
	s_mul_i32 s1, s5, s8
	s_mul_hi_u32 s5, s4, s8
	s_mul_i32 s4, s4, s8
	s_add_i32 s5, s5, s1
	s_lshl_b64 s[4:5], s[4:5], 4
	v_lshlrev_b64 v[0:1], 4, v[0:1]
	s_add_u32 s4, s18, s4
	s_addc_u32 s5, s19, s5
	s_xor_b32 s7, s9, -1
	s_or_b32 s6, s6, s7
	v_add_co_u32 v8, s1, s4, v0
	v_add_co_ci_u32_e64 v9, null, s5, v1, s1
	v_cndmask_b32_e64 v26, 0, 1, s6
	s_and_b32 s7, s0, vcc_lo
	s_and_saveexec_b32 s1, s7
	s_cbranch_execz .LBB126_19
; %bb.16:
	v_mul_f64 v[0:1], s[22:23], v[24:25]
	v_mul_f64 v[2:3], s[20:21], v[24:25]
	v_lshlrev_b64 v[6:7], 4, v[4:5]
	v_add_co_u32 v6, vcc_lo, v8, v6
	v_add_co_ci_u32_e64 v7, null, v9, v7, vcc_lo
	s_andn2_b32 vcc_lo, exec_lo, s6
	v_fma_f64 v[0:1], s[20:21], v[22:23], -v[0:1]
	v_fma_f64 v[2:3], s[22:23], v[22:23], v[2:3]
	s_cbranch_vccnz .LBB126_18
; %bb.17:
	global_load_dwordx4 v[22:25], v[6:7], off
	s_waitcnt vmcnt(0)
	v_mul_f64 v[28:29], s[16:17], v[24:25]
	v_mul_f64 v[24:25], s[14:15], v[24:25]
	v_fma_f64 v[28:29], s[14:15], v[22:23], -v[28:29]
	v_fma_f64 v[22:23], s[16:17], v[22:23], v[24:25]
	v_add_f64 v[0:1], v[0:1], v[28:29]
	v_add_f64 v[2:3], v[2:3], v[22:23]
.LBB126_18:
	global_store_dwordx4 v[6:7], v[0:3], off
.LBB126_19:
	s_or_b32 exec_lo, exec_lo, s1
	v_add_nc_u32_e32 v6, 16, v4
	v_cmp_le_i32_e32 vcc_lo, v6, v27
	v_ashrrev_i32_e32 v7, 31, v6
	s_and_b32 s0, s0, vcc_lo
	s_and_saveexec_b32 s1, s0
	s_cbranch_execz .LBB126_23
; %bb.20:
	v_mul_f64 v[0:1], s[22:23], v[16:17]
	v_mul_f64 v[2:3], s[20:21], v[16:17]
	v_cmp_ne_u32_e32 vcc_lo, 1, v26
	s_and_b32 vcc_lo, exec_lo, vcc_lo
	v_fma_f64 v[0:1], s[20:21], v[14:15], -v[0:1]
	v_fma_f64 v[2:3], s[22:23], v[14:15], v[2:3]
	v_lshlrev_b64 v[14:15], 4, v[6:7]
	v_add_co_u32 v8, s0, v8, v14
	v_add_co_ci_u32_e64 v9, null, v9, v15, s0
	s_cbranch_vccnz .LBB126_22
; %bb.21:
	global_load_dwordx4 v[14:17], v[8:9], off
	s_waitcnt vmcnt(0)
	v_mul_f64 v[22:23], s[16:17], v[16:17]
	v_mul_f64 v[16:17], s[14:15], v[16:17]
	v_fma_f64 v[22:23], s[14:15], v[14:15], -v[22:23]
	v_fma_f64 v[14:15], s[16:17], v[14:15], v[16:17]
	v_add_f64 v[0:1], v[0:1], v[22:23]
	v_add_f64 v[2:3], v[2:3], v[14:15]
.LBB126_22:
	global_store_dwordx4 v[8:9], v[0:3], off
.LBB126_23:
	s_or_b32 exec_lo, exec_lo, s1
	v_add_nc_u32_e32 v14, 16, v27
	v_mad_i64_i32 v[0:1], null, v14, s3, 0
	v_cmp_gt_i32_e64 s0, s2, v14
	v_cmp_le_i32_e32 vcc_lo, v4, v14
	v_lshlrev_b64 v[0:1], 4, v[0:1]
	v_add_co_u32 v8, s1, s4, v0
	v_add_co_ci_u32_e64 v9, null, s5, v1, s1
	s_and_b32 s1, s0, vcc_lo
	s_and_saveexec_b32 s2, s1
	s_cbranch_execz .LBB126_27
; %bb.24:
	v_mul_f64 v[0:1], s[22:23], v[20:21]
	v_mul_f64 v[2:3], s[20:21], v[20:21]
	v_lshlrev_b64 v[4:5], 4, v[4:5]
	v_cmp_ne_u32_e32 vcc_lo, 1, v26
	s_and_b32 vcc_lo, exec_lo, vcc_lo
	v_add_co_u32 v4, s1, v8, v4
	v_add_co_ci_u32_e64 v5, null, v9, v5, s1
	v_fma_f64 v[0:1], s[20:21], v[18:19], -v[0:1]
	v_fma_f64 v[2:3], s[22:23], v[18:19], v[2:3]
	s_cbranch_vccnz .LBB126_26
; %bb.25:
	global_load_dwordx4 v[15:18], v[4:5], off
	s_waitcnt vmcnt(0)
	v_mul_f64 v[19:20], s[16:17], v[17:18]
	v_mul_f64 v[17:18], s[14:15], v[17:18]
	v_fma_f64 v[19:20], s[14:15], v[15:16], -v[19:20]
	v_fma_f64 v[15:16], s[16:17], v[15:16], v[17:18]
	v_add_f64 v[0:1], v[0:1], v[19:20]
	v_add_f64 v[2:3], v[2:3], v[15:16]
.LBB126_26:
	global_store_dwordx4 v[4:5], v[0:3], off
.LBB126_27:
	s_or_b32 exec_lo, exec_lo, s2
	v_cmp_le_i32_e32 vcc_lo, v6, v14
	s_and_b32 s0, s0, vcc_lo
	s_and_saveexec_b32 s1, s0
	s_cbranch_execz .LBB126_32
; %bb.28:
	v_mul_f64 v[0:1], s[22:23], v[10:11]
	v_mul_f64 v[2:3], s[20:21], v[10:11]
	v_lshlrev_b64 v[4:5], 4, v[6:7]
	v_cmp_ne_u32_e32 vcc_lo, 1, v26
	s_and_b32 vcc_lo, exec_lo, vcc_lo
	v_add_co_u32 v4, s0, v8, v4
	v_add_co_ci_u32_e64 v5, null, v9, v5, s0
	v_fma_f64 v[0:1], s[20:21], v[12:13], -v[0:1]
	v_fma_f64 v[2:3], s[22:23], v[12:13], v[2:3]
	s_cbranch_vccnz .LBB126_30
; %bb.29:
	global_load_dwordx4 v[6:9], v[4:5], off
	s_waitcnt vmcnt(0)
	v_mul_f64 v[10:11], s[16:17], v[8:9]
	v_mul_f64 v[8:9], s[14:15], v[8:9]
	v_fma_f64 v[10:11], s[14:15], v[6:7], -v[10:11]
	v_fma_f64 v[6:7], s[16:17], v[6:7], v[8:9]
	v_add_f64 v[0:1], v[0:1], v[10:11]
	v_add_f64 v[2:3], v[2:3], v[6:7]
.LBB126_30:
	global_store_dwordx4 v[4:5], v[0:3], off
	s_endpgm
.LBB126_31:
.LBB126_32:
	s_endpgm
	.section	.rodata,"a",@progbits
	.p2align	6, 0x0
	.amdhsa_kernel _ZL29rocblas_internal_gemmt_kernelIiLi16ELi32ELi8ELc78ELc78ELc85ELb0ELb0E19rocblas_complex_numIdES1_PKS1_PS1_EviT_T9_T10_S5_lS7_S5_lS6_T11_S5_li
		.amdhsa_group_segment_fixed_size 8192
		.amdhsa_private_segment_fixed_size 0
		.amdhsa_kernarg_size 116
		.amdhsa_user_sgpr_count 6
		.amdhsa_user_sgpr_private_segment_buffer 1
		.amdhsa_user_sgpr_dispatch_ptr 0
		.amdhsa_user_sgpr_queue_ptr 0
		.amdhsa_user_sgpr_kernarg_segment_ptr 1
		.amdhsa_user_sgpr_dispatch_id 0
		.amdhsa_user_sgpr_flat_scratch_init 0
		.amdhsa_user_sgpr_private_segment_size 0
		.amdhsa_wavefront_size32 1
		.amdhsa_uses_dynamic_stack 0
		.amdhsa_system_sgpr_private_segment_wavefront_offset 0
		.amdhsa_system_sgpr_workgroup_id_x 1
		.amdhsa_system_sgpr_workgroup_id_y 1
		.amdhsa_system_sgpr_workgroup_id_z 1
		.amdhsa_system_sgpr_workgroup_info 0
		.amdhsa_system_vgpr_workitem_id 1
		.amdhsa_next_free_vgpr 56
		.amdhsa_next_free_sgpr 32
		.amdhsa_reserve_vcc 1
		.amdhsa_reserve_flat_scratch 0
		.amdhsa_float_round_mode_32 0
		.amdhsa_float_round_mode_16_64 0
		.amdhsa_float_denorm_mode_32 3
		.amdhsa_float_denorm_mode_16_64 3
		.amdhsa_dx10_clamp 1
		.amdhsa_ieee_mode 1
		.amdhsa_fp16_overflow 0
		.amdhsa_workgroup_processor_mode 1
		.amdhsa_memory_ordered 1
		.amdhsa_forward_progress 1
		.amdhsa_shared_vgpr_count 0
		.amdhsa_exception_fp_ieee_invalid_op 0
		.amdhsa_exception_fp_denorm_src 0
		.amdhsa_exception_fp_ieee_div_zero 0
		.amdhsa_exception_fp_ieee_overflow 0
		.amdhsa_exception_fp_ieee_underflow 0
		.amdhsa_exception_fp_ieee_inexact 0
		.amdhsa_exception_int_div_zero 0
	.end_amdhsa_kernel
	.section	.text._ZL29rocblas_internal_gemmt_kernelIiLi16ELi32ELi8ELc78ELc78ELc85ELb0ELb0E19rocblas_complex_numIdES1_PKS1_PS1_EviT_T9_T10_S5_lS7_S5_lS6_T11_S5_li,"axG",@progbits,_ZL29rocblas_internal_gemmt_kernelIiLi16ELi32ELi8ELc78ELc78ELc85ELb0ELb0E19rocblas_complex_numIdES1_PKS1_PS1_EviT_T9_T10_S5_lS7_S5_lS6_T11_S5_li,comdat
.Lfunc_end126:
	.size	_ZL29rocblas_internal_gemmt_kernelIiLi16ELi32ELi8ELc78ELc78ELc85ELb0ELb0E19rocblas_complex_numIdES1_PKS1_PS1_EviT_T9_T10_S5_lS7_S5_lS6_T11_S5_li, .Lfunc_end126-_ZL29rocblas_internal_gemmt_kernelIiLi16ELi32ELi8ELc78ELc78ELc85ELb0ELb0E19rocblas_complex_numIdES1_PKS1_PS1_EviT_T9_T10_S5_lS7_S5_lS6_T11_S5_li
                                        ; -- End function
	.set _ZL29rocblas_internal_gemmt_kernelIiLi16ELi32ELi8ELc78ELc78ELc85ELb0ELb0E19rocblas_complex_numIdES1_PKS1_PS1_EviT_T9_T10_S5_lS7_S5_lS6_T11_S5_li.num_vgpr, 56
	.set _ZL29rocblas_internal_gemmt_kernelIiLi16ELi32ELi8ELc78ELc78ELc85ELb0ELb0E19rocblas_complex_numIdES1_PKS1_PS1_EviT_T9_T10_S5_lS7_S5_lS6_T11_S5_li.num_agpr, 0
	.set _ZL29rocblas_internal_gemmt_kernelIiLi16ELi32ELi8ELc78ELc78ELc85ELb0ELb0E19rocblas_complex_numIdES1_PKS1_PS1_EviT_T9_T10_S5_lS7_S5_lS6_T11_S5_li.numbered_sgpr, 32
	.set _ZL29rocblas_internal_gemmt_kernelIiLi16ELi32ELi8ELc78ELc78ELc85ELb0ELb0E19rocblas_complex_numIdES1_PKS1_PS1_EviT_T9_T10_S5_lS7_S5_lS6_T11_S5_li.num_named_barrier, 0
	.set _ZL29rocblas_internal_gemmt_kernelIiLi16ELi32ELi8ELc78ELc78ELc85ELb0ELb0E19rocblas_complex_numIdES1_PKS1_PS1_EviT_T9_T10_S5_lS7_S5_lS6_T11_S5_li.private_seg_size, 0
	.set _ZL29rocblas_internal_gemmt_kernelIiLi16ELi32ELi8ELc78ELc78ELc85ELb0ELb0E19rocblas_complex_numIdES1_PKS1_PS1_EviT_T9_T10_S5_lS7_S5_lS6_T11_S5_li.uses_vcc, 1
	.set _ZL29rocblas_internal_gemmt_kernelIiLi16ELi32ELi8ELc78ELc78ELc85ELb0ELb0E19rocblas_complex_numIdES1_PKS1_PS1_EviT_T9_T10_S5_lS7_S5_lS6_T11_S5_li.uses_flat_scratch, 0
	.set _ZL29rocblas_internal_gemmt_kernelIiLi16ELi32ELi8ELc78ELc78ELc85ELb0ELb0E19rocblas_complex_numIdES1_PKS1_PS1_EviT_T9_T10_S5_lS7_S5_lS6_T11_S5_li.has_dyn_sized_stack, 0
	.set _ZL29rocblas_internal_gemmt_kernelIiLi16ELi32ELi8ELc78ELc78ELc85ELb0ELb0E19rocblas_complex_numIdES1_PKS1_PS1_EviT_T9_T10_S5_lS7_S5_lS6_T11_S5_li.has_recursion, 0
	.set _ZL29rocblas_internal_gemmt_kernelIiLi16ELi32ELi8ELc78ELc78ELc85ELb0ELb0E19rocblas_complex_numIdES1_PKS1_PS1_EviT_T9_T10_S5_lS7_S5_lS6_T11_S5_li.has_indirect_call, 0
	.section	.AMDGPU.csdata,"",@progbits
; Kernel info:
; codeLenInByte = 3544
; TotalNumSgprs: 34
; NumVgprs: 56
; ScratchSize: 0
; MemoryBound: 0
; FloatMode: 240
; IeeeMode: 1
; LDSByteSize: 8192 bytes/workgroup (compile time only)
; SGPRBlocks: 0
; VGPRBlocks: 6
; NumSGPRsForWavesPerEU: 34
; NumVGPRsForWavesPerEU: 56
; Occupancy: 16
; WaveLimiterHint : 0
; COMPUTE_PGM_RSRC2:SCRATCH_EN: 0
; COMPUTE_PGM_RSRC2:USER_SGPR: 6
; COMPUTE_PGM_RSRC2:TRAP_HANDLER: 0
; COMPUTE_PGM_RSRC2:TGID_X_EN: 1
; COMPUTE_PGM_RSRC2:TGID_Y_EN: 1
; COMPUTE_PGM_RSRC2:TGID_Z_EN: 1
; COMPUTE_PGM_RSRC2:TIDIG_COMP_CNT: 1
	.section	.text._ZL29rocblas_internal_gemmt_kernelIiLi16ELi32ELi8ELc78ELc84ELc85ELb0ELb0E19rocblas_complex_numIdES1_PKS1_PS1_EviT_T9_T10_S5_lS7_S5_lS6_T11_S5_li,"axG",@progbits,_ZL29rocblas_internal_gemmt_kernelIiLi16ELi32ELi8ELc78ELc84ELc85ELb0ELb0E19rocblas_complex_numIdES1_PKS1_PS1_EviT_T9_T10_S5_lS7_S5_lS6_T11_S5_li,comdat
	.globl	_ZL29rocblas_internal_gemmt_kernelIiLi16ELi32ELi8ELc78ELc84ELc85ELb0ELb0E19rocblas_complex_numIdES1_PKS1_PS1_EviT_T9_T10_S5_lS7_S5_lS6_T11_S5_li ; -- Begin function _ZL29rocblas_internal_gemmt_kernelIiLi16ELi32ELi8ELc78ELc84ELc85ELb0ELb0E19rocblas_complex_numIdES1_PKS1_PS1_EviT_T9_T10_S5_lS7_S5_lS6_T11_S5_li
	.p2align	8
	.type	_ZL29rocblas_internal_gemmt_kernelIiLi16ELi32ELi8ELc78ELc84ELc85ELb0ELb0E19rocblas_complex_numIdES1_PKS1_PS1_EviT_T9_T10_S5_lS7_S5_lS6_T11_S5_li,@function
_ZL29rocblas_internal_gemmt_kernelIiLi16ELi32ELi8ELc78ELc84ELc85ELb0ELb0E19rocblas_complex_numIdES1_PKS1_PS1_EviT_T9_T10_S5_lS7_S5_lS6_T11_S5_li: ; @_ZL29rocblas_internal_gemmt_kernelIiLi16ELi32ELi8ELc78ELc84ELc85ELb0ELb0E19rocblas_complex_numIdES1_PKS1_PS1_EviT_T9_T10_S5_lS7_S5_lS6_T11_S5_li
; %bb.0:
	s_clause 0x2
	s_load_dwordx8 s[12:19], s[4:5], 0x40
	s_load_dwordx2 s[2:3], s[4:5], 0x0
	s_load_dwordx4 s[20:23], s[4:5], 0x8
	s_waitcnt lgkmcnt(0)
	v_cmp_eq_f64_e64 s0, s[14:15], 1.0
	v_cmp_eq_f64_e64 s9, s[16:17], 0
	s_and_b32 s0, s0, s9
	s_andn2_b32 vcc_lo, exec_lo, s0
	s_mov_b32 s0, -1
	s_cbranch_vccnz .LBB127_3
; %bb.1:
	s_cmp_lg_u32 s3, 0
	s_cbranch_scc0 .LBB127_31
; %bb.2:
	v_cmp_neq_f64_e64 s0, s[20:21], 0
	v_cmp_neq_f64_e64 s1, s[22:23], 0
	s_or_b32 s0, s0, s1
.LBB127_3:
	s_and_b32 vcc_lo, exec_lo, s0
	s_cbranch_vccz .LBB127_32
; %bb.4:
	v_cmp_eq_f64_e64 s0, s[20:21], 0
	v_cmp_eq_f64_e64 s1, s[22:23], 0
	s_lshl_b32 s28, s6, 5
	s_lshl_b32 s29, s7, 5
	v_mov_b32_e32 v22, 0
	v_mov_b32_e32 v24, 0
	;; [unrolled: 1-line block ×16, first 2 shown]
	s_mov_b32 s30, 0
	s_and_b32 s0, s0, s1
	s_cmp_lt_i32 s3, 1
	s_cselect_b32 s1, -1, 0
	s_or_b32 s0, s0, s1
	s_and_b32 vcc_lo, exec_lo, s0
	s_cbranch_vccnz .LBB127_15
; %bb.5:
	s_clause 0x1
	s_load_dword s6, s[4:5], 0x20
	s_load_dword s10, s[4:5], 0x38
	v_lshl_add_u32 v2, v1, 4, v0
	s_clause 0x1
	s_load_dwordx4 s[24:27], s[4:5], 0x28
	s_load_dwordx2 s[34:35], s[4:5], 0x18
	v_and_b32_e32 v26, 7, v0
	s_mul_i32 s13, s13, s8
	v_and_b32_e32 v6, 31, v2
	v_lshrrev_b32_e32 v3, 3, v2
	v_lshrrev_b32_e32 v27, 5, v2
	v_lshlrev_b32_e32 v4, 4, v26
	s_mul_hi_u32 s31, s12, s8
	v_or_b32_e32 v5, s28, v6
	v_add_nc_u32_e32 v2, s29, v3
	v_lshlrev_b32_e32 v7, 4, v6
	v_lshl_or_b32 v3, v3, 7, v4
	v_add_nc_u32_e32 v6, s28, v6
	v_cmp_gt_i32_e32 vcc_lo, s2, v5
	s_add_i32 s13, s31, s13
	v_lshl_or_b32 v28, v27, 9, v7
	s_waitcnt lgkmcnt(0)
	v_mad_i64_i32 v[4:5], null, v27, s6, 0
	v_mad_i64_i32 v[8:9], null, s10, v26, 0
	s_mul_i32 s1, s25, s8
	s_mul_hi_u32 s25, s24, s8
	v_ashrrev_i32_e32 v7, 31, v6
	s_add_i32 s25, s25, s1
	v_lshlrev_b64 v[4:5], 4, v[4:5]
	s_mul_i32 s24, s24, s8
	v_add_nc_u32_e32 v29, 0x1000, v3
	s_lshl_b64 s[24:25], s[24:25], 4
	v_lshlrev_b64 v[6:7], 4, v[6:7]
	v_ashrrev_i32_e32 v3, 31, v2
	v_add_co_u32 v10, s1, v4, s24
	v_add_co_ci_u32_e64 v11, null, s25, v5, s1
	v_lshlrev_b64 v[4:5], 4, v[8:9]
	s_mul_i32 s12, s12, s8
	v_add_co_u32 v6, s1, v10, v6
	s_lshl_b64 s[12:13], s[12:13], 4
	v_cmp_gt_i32_e64 s0, s2, v2
	v_lshlrev_b64 v[2:3], 4, v[2:3]
	v_add_co_ci_u32_e64 v7, null, v11, v7, s1
	v_add_co_u32 v4, s1, s12, v4
	v_add_co_ci_u32_e64 v5, null, s13, v5, s1
	v_add_co_u32 v6, s1, s34, v6
	;; [unrolled: 2-line block ×3, first 2 shown]
	v_add_co_ci_u32_e64 v3, null, v5, v3, s1
	v_mov_b32_e32 v10, 0
	v_add_co_u32 v8, s1, s26, v2
	v_mov_b32_e32 v12, 0
	v_mov_b32_e32 v20, 0
	;; [unrolled: 1-line block ×7, first 2 shown]
	v_lshlrev_b32_e32 v30, 4, v0
	v_lshl_add_u32 v31, v1, 7, 0x1000
	v_add_co_ci_u32_e64 v9, null, s27, v3, s1
	v_mov_b32_e32 v11, 0
	v_mov_b32_e32 v13, 0
	;; [unrolled: 1-line block ×9, first 2 shown]
	s_ashr_i32 s7, s6, 31
	s_ashr_i32 s11, s10, 31
	s_lshl_b64 s[6:7], s[6:7], 7
	s_lshl_b64 s[10:11], s[10:11], 7
	s_xor_b32 s1, vcc_lo, -1
	s_xor_b32 s0, s0, -1
	s_branch .LBB127_7
.LBB127_6:                              ;   in Loop: Header=BB127_7 Depth=1
	s_or_b32 exec_lo, exec_lo, s12
	s_waitcnt lgkmcnt(0)
	s_barrier
	buffer_gl0_inv
	ds_read_b128 v[32:35], v31
	ds_read_b128 v[36:39], v31 offset:16
	ds_read_b128 v[40:43], v31 offset:32
	ds_read_b128 v[44:47], v31 offset:48
	ds_read_b128 v[48:51], v30
	v_add_co_u32 v6, vcc_lo, v6, s6
	v_add_co_ci_u32_e64 v7, null, s7, v7, vcc_lo
	v_add_co_u32 v8, vcc_lo, v8, s10
	v_add_co_ci_u32_e64 v9, null, s11, v9, vcc_lo
	s_add_i32 s30, s30, 8
	s_cmp_lt_i32 s30, s3
	s_waitcnt lgkmcnt(0)
	v_mul_f64 v[3:4], v[34:35], v[50:51]
	v_mul_f64 v[52:53], v[32:33], v[50:51]
	v_fma_f64 v[3:4], v[32:33], v[48:49], -v[3:4]
	v_fma_f64 v[52:53], v[34:35], v[48:49], v[52:53]
	v_add_f64 v[3:4], v[22:23], v[3:4]
	v_add_f64 v[52:53], v[52:53], v[24:25]
	ds_read_b128 v[22:25], v30 offset:256
	s_waitcnt lgkmcnt(0)
	v_mul_f64 v[54:55], v[34:35], v[24:25]
	v_fma_f64 v[54:55], v[32:33], v[22:23], -v[54:55]
	v_mul_f64 v[32:33], v[32:33], v[24:25]
	v_fma_f64 v[32:33], v[34:35], v[22:23], v[32:33]
	v_add_f64 v[34:35], v[14:15], v[54:55]
	v_add_f64 v[32:33], v[32:33], v[16:17]
	ds_read_b128 v[14:17], v31 offset:2048
	s_waitcnt lgkmcnt(0)
	v_mul_f64 v[54:55], v[16:17], v[50:51]
	v_mul_f64 v[50:51], v[14:15], v[50:51]
	v_fma_f64 v[54:55], v[14:15], v[48:49], -v[54:55]
	v_fma_f64 v[48:49], v[16:17], v[48:49], v[50:51]
	v_add_f64 v[50:51], v[18:19], v[54:55]
	v_mul_f64 v[18:19], v[16:17], v[24:25]
	v_add_f64 v[48:49], v[48:49], v[20:21]
	v_fma_f64 v[18:19], v[14:15], v[22:23], -v[18:19]
	v_mul_f64 v[14:15], v[14:15], v[24:25]
	v_fma_f64 v[14:15], v[16:17], v[22:23], v[14:15]
	v_add_f64 v[22:23], v[12:13], v[18:19]
	v_add_f64 v[24:25], v[14:15], v[10:11]
	ds_read_b128 v[10:13], v30 offset:512
	s_waitcnt lgkmcnt(0)
	v_mul_f64 v[14:15], v[38:39], v[12:13]
	v_mul_f64 v[16:17], v[36:37], v[12:13]
	v_fma_f64 v[14:15], v[36:37], v[10:11], -v[14:15]
	v_fma_f64 v[16:17], v[38:39], v[10:11], v[16:17]
	v_add_f64 v[3:4], v[3:4], v[14:15]
	v_add_f64 v[52:53], v[16:17], v[52:53]
	ds_read_b128 v[14:17], v30 offset:768
	s_waitcnt lgkmcnt(0)
	v_mul_f64 v[18:19], v[38:39], v[16:17]
	v_mul_f64 v[20:21], v[36:37], v[16:17]
	v_fma_f64 v[18:19], v[36:37], v[14:15], -v[18:19]
	;; [unrolled: 8-line block ×3, first 2 shown]
	v_fma_f64 v[10:11], v[20:21], v[10:11], v[12:13]
	v_mul_f64 v[12:13], v[18:19], v[16:17]
	v_add_f64 v[36:37], v[50:51], v[36:37]
	v_add_f64 v[38:39], v[10:11], v[48:49]
	v_mul_f64 v[10:11], v[20:21], v[16:17]
	v_fma_f64 v[12:13], v[20:21], v[14:15], v[12:13]
	v_fma_f64 v[10:11], v[18:19], v[14:15], -v[10:11]
	v_add_f64 v[24:25], v[12:13], v[24:25]
	v_add_f64 v[22:23], v[22:23], v[10:11]
	ds_read_b128 v[10:13], v30 offset:1024
	s_waitcnt lgkmcnt(0)
	v_mul_f64 v[14:15], v[42:43], v[12:13]
	v_mul_f64 v[16:17], v[40:41], v[12:13]
	v_fma_f64 v[14:15], v[40:41], v[10:11], -v[14:15]
	v_fma_f64 v[16:17], v[42:43], v[10:11], v[16:17]
	v_add_f64 v[3:4], v[3:4], v[14:15]
	v_add_f64 v[48:49], v[16:17], v[52:53]
	ds_read_b128 v[14:17], v30 offset:1280
	s_waitcnt lgkmcnt(0)
	v_mul_f64 v[18:19], v[42:43], v[16:17]
	v_mul_f64 v[20:21], v[40:41], v[16:17]
	v_fma_f64 v[18:19], v[40:41], v[14:15], -v[18:19]
	v_fma_f64 v[20:21], v[42:43], v[14:15], v[20:21]
	;; [unrolled: 8-line block ×3, first 2 shown]
	v_mul_f64 v[12:13], v[18:19], v[16:17]
	v_add_f64 v[36:37], v[36:37], v[40:41]
	v_add_f64 v[38:39], v[10:11], v[38:39]
	v_mul_f64 v[10:11], v[20:21], v[16:17]
	v_fma_f64 v[12:13], v[20:21], v[14:15], v[12:13]
	v_fma_f64 v[10:11], v[18:19], v[14:15], -v[10:11]
	v_add_f64 v[24:25], v[12:13], v[24:25]
	v_add_f64 v[22:23], v[22:23], v[10:11]
	ds_read_b128 v[10:13], v30 offset:1536
	s_waitcnt lgkmcnt(0)
	v_mul_f64 v[14:15], v[46:47], v[12:13]
	v_mul_f64 v[16:17], v[44:45], v[12:13]
	v_fma_f64 v[14:15], v[44:45], v[10:11], -v[14:15]
	v_fma_f64 v[16:17], v[46:47], v[10:11], v[16:17]
	v_add_f64 v[3:4], v[3:4], v[14:15]
	v_add_f64 v[40:41], v[16:17], v[48:49]
	ds_read_b128 v[14:17], v30 offset:1792
	s_waitcnt lgkmcnt(0)
	v_mul_f64 v[18:19], v[46:47], v[16:17]
	v_mul_f64 v[20:21], v[44:45], v[16:17]
	v_fma_f64 v[18:19], v[44:45], v[14:15], -v[18:19]
	v_fma_f64 v[20:21], v[46:47], v[14:15], v[20:21]
	;; [unrolled: 8-line block ×3, first 2 shown]
	v_mul_f64 v[12:13], v[18:19], v[16:17]
	v_add_f64 v[36:37], v[36:37], v[42:43]
	v_add_f64 v[38:39], v[10:11], v[38:39]
	v_mul_f64 v[10:11], v[20:21], v[16:17]
	v_fma_f64 v[12:13], v[20:21], v[14:15], v[12:13]
	v_fma_f64 v[10:11], v[18:19], v[14:15], -v[10:11]
	v_add_f64 v[24:25], v[12:13], v[24:25]
	v_add_f64 v[22:23], v[22:23], v[10:11]
	ds_read_b128 v[10:13], v31 offset:64
	ds_read_b128 v[14:17], v30 offset:2048
	s_waitcnt lgkmcnt(0)
	v_mul_f64 v[18:19], v[12:13], v[16:17]
	v_mul_f64 v[20:21], v[10:11], v[16:17]
	v_fma_f64 v[18:19], v[10:11], v[14:15], -v[18:19]
	v_fma_f64 v[20:21], v[12:13], v[14:15], v[20:21]
	v_add_f64 v[3:4], v[3:4], v[18:19]
	v_add_f64 v[40:41], v[20:21], v[40:41]
	ds_read_b128 v[18:21], v30 offset:2304
	s_waitcnt lgkmcnt(0)
	v_mul_f64 v[42:43], v[12:13], v[20:21]
	v_fma_f64 v[42:43], v[10:11], v[18:19], -v[42:43]
	v_mul_f64 v[10:11], v[10:11], v[20:21]
	v_add_f64 v[34:35], v[34:35], v[42:43]
	v_fma_f64 v[10:11], v[12:13], v[18:19], v[10:11]
	v_add_f64 v[32:33], v[10:11], v[32:33]
	ds_read_b128 v[10:13], v31 offset:2112
	s_waitcnt lgkmcnt(0)
	v_mul_f64 v[42:43], v[12:13], v[16:17]
	v_mul_f64 v[16:17], v[10:11], v[16:17]
	v_fma_f64 v[42:43], v[10:11], v[14:15], -v[42:43]
	v_fma_f64 v[14:15], v[12:13], v[14:15], v[16:17]
	v_add_f64 v[36:37], v[36:37], v[42:43]
	v_add_f64 v[38:39], v[14:15], v[38:39]
	v_mul_f64 v[14:15], v[12:13], v[20:21]
	v_fma_f64 v[14:15], v[10:11], v[18:19], -v[14:15]
	v_mul_f64 v[10:11], v[10:11], v[20:21]
	v_add_f64 v[22:23], v[22:23], v[14:15]
	v_fma_f64 v[10:11], v[12:13], v[18:19], v[10:11]
	v_add_f64 v[24:25], v[10:11], v[24:25]
	ds_read_b128 v[10:13], v31 offset:80
	ds_read_b128 v[14:17], v30 offset:2560
	s_waitcnt lgkmcnt(0)
	v_mul_f64 v[18:19], v[12:13], v[16:17]
	v_mul_f64 v[20:21], v[10:11], v[16:17]
	v_fma_f64 v[18:19], v[10:11], v[14:15], -v[18:19]
	v_fma_f64 v[20:21], v[12:13], v[14:15], v[20:21]
	v_add_f64 v[3:4], v[3:4], v[18:19]
	v_add_f64 v[40:41], v[20:21], v[40:41]
	ds_read_b128 v[18:21], v30 offset:2816
	s_waitcnt lgkmcnt(0)
	v_mul_f64 v[42:43], v[12:13], v[20:21]
	v_fma_f64 v[42:43], v[10:11], v[18:19], -v[42:43]
	v_mul_f64 v[10:11], v[10:11], v[20:21]
	v_add_f64 v[34:35], v[34:35], v[42:43]
	v_fma_f64 v[10:11], v[12:13], v[18:19], v[10:11]
	v_add_f64 v[32:33], v[10:11], v[32:33]
	ds_read_b128 v[10:13], v31 offset:2128
	s_waitcnt lgkmcnt(0)
	v_mul_f64 v[42:43], v[12:13], v[16:17]
	v_mul_f64 v[16:17], v[10:11], v[16:17]
	v_fma_f64 v[42:43], v[10:11], v[14:15], -v[42:43]
	v_fma_f64 v[14:15], v[12:13], v[14:15], v[16:17]
	v_add_f64 v[36:37], v[36:37], v[42:43]
	v_add_f64 v[38:39], v[14:15], v[38:39]
	v_mul_f64 v[14:15], v[12:13], v[20:21]
	v_fma_f64 v[14:15], v[10:11], v[18:19], -v[14:15]
	v_mul_f64 v[10:11], v[10:11], v[20:21]
	v_add_f64 v[22:23], v[22:23], v[14:15]
	v_fma_f64 v[10:11], v[12:13], v[18:19], v[10:11]
	;; [unrolled: 31-line block ×3, first 2 shown]
	v_add_f64 v[48:49], v[10:11], v[24:25]
	ds_read_b128 v[10:13], v31 offset:112
	ds_read_b128 v[18:21], v30 offset:3584
	;; [unrolled: 1-line block ×3, first 2 shown]
	s_waitcnt lgkmcnt(1)
	v_mul_f64 v[14:15], v[12:13], v[20:21]
	v_mul_f64 v[16:17], v[10:11], v[20:21]
	v_fma_f64 v[14:15], v[10:11], v[18:19], -v[14:15]
	v_fma_f64 v[16:17], v[12:13], v[18:19], v[16:17]
	v_add_f64 v[22:23], v[3:4], v[14:15]
	s_waitcnt lgkmcnt(0)
	v_mul_f64 v[3:4], v[12:13], v[34:35]
	v_add_f64 v[24:25], v[16:17], v[40:41]
	v_fma_f64 v[3:4], v[10:11], v[32:33], -v[3:4]
	v_mul_f64 v[10:11], v[10:11], v[34:35]
	v_add_f64 v[14:15], v[42:43], v[3:4]
	v_fma_f64 v[10:11], v[12:13], v[32:33], v[10:11]
	v_add_f64 v[16:17], v[10:11], v[44:45]
	ds_read_b128 v[10:13], v31 offset:2160
	s_waitcnt lgkmcnt(0)
	s_barrier
	buffer_gl0_inv
	v_mul_f64 v[3:4], v[12:13], v[20:21]
	v_mul_f64 v[20:21], v[10:11], v[20:21]
	v_fma_f64 v[3:4], v[10:11], v[18:19], -v[3:4]
	v_fma_f64 v[20:21], v[12:13], v[18:19], v[20:21]
	v_add_f64 v[18:19], v[36:37], v[3:4]
	v_mul_f64 v[3:4], v[12:13], v[34:35]
	v_add_f64 v[20:21], v[20:21], v[38:39]
	v_fma_f64 v[3:4], v[10:11], v[32:33], -v[3:4]
	v_mul_f64 v[10:11], v[10:11], v[34:35]
	v_fma_f64 v[10:11], v[12:13], v[32:33], v[10:11]
	v_add_f64 v[12:13], v[46:47], v[3:4]
	v_add_f64 v[10:11], v[10:11], v[48:49]
	s_cbranch_scc0 .LBB127_15
.LBB127_7:                              ; =>This Inner Loop Header: Depth=1
	v_add_nc_u32_e32 v3, s30, v27
	v_cmp_le_i32_e32 vcc_lo, s3, v3
	s_or_b32 s12, s1, vcc_lo
	s_and_saveexec_b32 s13, s12
	s_xor_b32 s12, exec_lo, s13
	s_cbranch_execz .LBB127_9
; %bb.8:                                ;   in Loop: Header=BB127_7 Depth=1
	v_mov_b32_e32 v3, v2
	v_mov_b32_e32 v4, v2
	;; [unrolled: 1-line block ×3, first 2 shown]
	ds_write_b128 v28, v[2:5]
.LBB127_9:                              ;   in Loop: Header=BB127_7 Depth=1
	s_andn2_saveexec_b32 s12, s12
	s_cbranch_execz .LBB127_11
; %bb.10:                               ;   in Loop: Header=BB127_7 Depth=1
	global_load_dwordx4 v[32:35], v[6:7], off
	s_waitcnt vmcnt(0)
	ds_write2_b64 v28, v[32:33], v[34:35] offset1:1
.LBB127_11:                             ;   in Loop: Header=BB127_7 Depth=1
	s_or_b32 exec_lo, exec_lo, s12
	v_add_nc_u32_e32 v3, s30, v26
	v_cmp_le_i32_e32 vcc_lo, s3, v3
	s_or_b32 s12, vcc_lo, s0
	s_and_saveexec_b32 s13, s12
	s_xor_b32 s12, exec_lo, s13
	s_cbranch_execz .LBB127_13
; %bb.12:                               ;   in Loop: Header=BB127_7 Depth=1
	v_mov_b32_e32 v3, v2
	v_mov_b32_e32 v4, v2
	;; [unrolled: 1-line block ×3, first 2 shown]
	ds_write_b128 v29, v[2:5]
.LBB127_13:                             ;   in Loop: Header=BB127_7 Depth=1
	s_andn2_saveexec_b32 s12, s12
	s_cbranch_execz .LBB127_6
; %bb.14:                               ;   in Loop: Header=BB127_7 Depth=1
	global_load_dwordx4 v[32:35], v[8:9], off
	s_waitcnt vmcnt(0)
	ds_write2_b64 v29, v[32:33], v[34:35] offset1:1
	s_branch .LBB127_6
.LBB127_15:
	s_clause 0x1
	s_load_dword s3, s[4:5], 0x60
	s_load_dwordx2 s[4:5], s[4:5], 0x68
	v_cmp_neq_f64_e64 s6, s[14:15], 0
	v_add_nc_u32_e32 v27, s29, v1
	v_add_nc_u32_e32 v4, s28, v0
	v_cmp_gt_i32_e64 s0, s2, v27
	v_cmp_le_i32_e32 vcc_lo, v4, v27
	v_ashrrev_i32_e32 v5, 31, v4
	s_waitcnt lgkmcnt(0)
	v_mad_i64_i32 v[0:1], null, v27, s3, 0
	s_mul_i32 s1, s5, s8
	s_mul_hi_u32 s5, s4, s8
	s_mul_i32 s4, s4, s8
	s_add_i32 s5, s5, s1
	s_lshl_b64 s[4:5], s[4:5], 4
	v_lshlrev_b64 v[0:1], 4, v[0:1]
	s_add_u32 s4, s18, s4
	s_addc_u32 s5, s19, s5
	s_xor_b32 s7, s9, -1
	s_or_b32 s6, s6, s7
	v_add_co_u32 v8, s1, s4, v0
	v_add_co_ci_u32_e64 v9, null, s5, v1, s1
	v_cndmask_b32_e64 v26, 0, 1, s6
	s_and_b32 s7, s0, vcc_lo
	s_and_saveexec_b32 s1, s7
	s_cbranch_execz .LBB127_19
; %bb.16:
	v_mul_f64 v[0:1], s[22:23], v[24:25]
	v_mul_f64 v[2:3], s[20:21], v[24:25]
	v_lshlrev_b64 v[6:7], 4, v[4:5]
	v_add_co_u32 v6, vcc_lo, v8, v6
	v_add_co_ci_u32_e64 v7, null, v9, v7, vcc_lo
	s_andn2_b32 vcc_lo, exec_lo, s6
	v_fma_f64 v[0:1], s[20:21], v[22:23], -v[0:1]
	v_fma_f64 v[2:3], s[22:23], v[22:23], v[2:3]
	s_cbranch_vccnz .LBB127_18
; %bb.17:
	global_load_dwordx4 v[22:25], v[6:7], off
	s_waitcnt vmcnt(0)
	v_mul_f64 v[28:29], s[16:17], v[24:25]
	v_mul_f64 v[24:25], s[14:15], v[24:25]
	v_fma_f64 v[28:29], s[14:15], v[22:23], -v[28:29]
	v_fma_f64 v[22:23], s[16:17], v[22:23], v[24:25]
	v_add_f64 v[0:1], v[0:1], v[28:29]
	v_add_f64 v[2:3], v[2:3], v[22:23]
.LBB127_18:
	global_store_dwordx4 v[6:7], v[0:3], off
.LBB127_19:
	s_or_b32 exec_lo, exec_lo, s1
	v_add_nc_u32_e32 v6, 16, v4
	v_cmp_le_i32_e32 vcc_lo, v6, v27
	v_ashrrev_i32_e32 v7, 31, v6
	s_and_b32 s0, s0, vcc_lo
	s_and_saveexec_b32 s1, s0
	s_cbranch_execz .LBB127_23
; %bb.20:
	v_mul_f64 v[0:1], s[22:23], v[16:17]
	v_mul_f64 v[2:3], s[20:21], v[16:17]
	v_cmp_ne_u32_e32 vcc_lo, 1, v26
	s_and_b32 vcc_lo, exec_lo, vcc_lo
	v_fma_f64 v[0:1], s[20:21], v[14:15], -v[0:1]
	v_fma_f64 v[2:3], s[22:23], v[14:15], v[2:3]
	v_lshlrev_b64 v[14:15], 4, v[6:7]
	v_add_co_u32 v8, s0, v8, v14
	v_add_co_ci_u32_e64 v9, null, v9, v15, s0
	s_cbranch_vccnz .LBB127_22
; %bb.21:
	global_load_dwordx4 v[14:17], v[8:9], off
	s_waitcnt vmcnt(0)
	v_mul_f64 v[22:23], s[16:17], v[16:17]
	v_mul_f64 v[16:17], s[14:15], v[16:17]
	v_fma_f64 v[22:23], s[14:15], v[14:15], -v[22:23]
	v_fma_f64 v[14:15], s[16:17], v[14:15], v[16:17]
	v_add_f64 v[0:1], v[0:1], v[22:23]
	v_add_f64 v[2:3], v[2:3], v[14:15]
.LBB127_22:
	global_store_dwordx4 v[8:9], v[0:3], off
.LBB127_23:
	s_or_b32 exec_lo, exec_lo, s1
	v_add_nc_u32_e32 v14, 16, v27
	v_mad_i64_i32 v[0:1], null, v14, s3, 0
	v_cmp_gt_i32_e64 s0, s2, v14
	v_cmp_le_i32_e32 vcc_lo, v4, v14
	v_lshlrev_b64 v[0:1], 4, v[0:1]
	v_add_co_u32 v8, s1, s4, v0
	v_add_co_ci_u32_e64 v9, null, s5, v1, s1
	s_and_b32 s1, s0, vcc_lo
	s_and_saveexec_b32 s2, s1
	s_cbranch_execz .LBB127_27
; %bb.24:
	v_mul_f64 v[0:1], s[22:23], v[20:21]
	v_mul_f64 v[2:3], s[20:21], v[20:21]
	v_lshlrev_b64 v[4:5], 4, v[4:5]
	v_cmp_ne_u32_e32 vcc_lo, 1, v26
	s_and_b32 vcc_lo, exec_lo, vcc_lo
	v_add_co_u32 v4, s1, v8, v4
	v_add_co_ci_u32_e64 v5, null, v9, v5, s1
	v_fma_f64 v[0:1], s[20:21], v[18:19], -v[0:1]
	v_fma_f64 v[2:3], s[22:23], v[18:19], v[2:3]
	s_cbranch_vccnz .LBB127_26
; %bb.25:
	global_load_dwordx4 v[15:18], v[4:5], off
	s_waitcnt vmcnt(0)
	v_mul_f64 v[19:20], s[16:17], v[17:18]
	v_mul_f64 v[17:18], s[14:15], v[17:18]
	v_fma_f64 v[19:20], s[14:15], v[15:16], -v[19:20]
	v_fma_f64 v[15:16], s[16:17], v[15:16], v[17:18]
	v_add_f64 v[0:1], v[0:1], v[19:20]
	v_add_f64 v[2:3], v[2:3], v[15:16]
.LBB127_26:
	global_store_dwordx4 v[4:5], v[0:3], off
.LBB127_27:
	s_or_b32 exec_lo, exec_lo, s2
	v_cmp_le_i32_e32 vcc_lo, v6, v14
	s_and_b32 s0, s0, vcc_lo
	s_and_saveexec_b32 s1, s0
	s_cbranch_execz .LBB127_32
; %bb.28:
	v_mul_f64 v[0:1], s[22:23], v[10:11]
	v_mul_f64 v[2:3], s[20:21], v[10:11]
	v_lshlrev_b64 v[4:5], 4, v[6:7]
	v_cmp_ne_u32_e32 vcc_lo, 1, v26
	s_and_b32 vcc_lo, exec_lo, vcc_lo
	v_add_co_u32 v4, s0, v8, v4
	v_add_co_ci_u32_e64 v5, null, v9, v5, s0
	v_fma_f64 v[0:1], s[20:21], v[12:13], -v[0:1]
	v_fma_f64 v[2:3], s[22:23], v[12:13], v[2:3]
	s_cbranch_vccnz .LBB127_30
; %bb.29:
	global_load_dwordx4 v[6:9], v[4:5], off
	s_waitcnt vmcnt(0)
	v_mul_f64 v[10:11], s[16:17], v[8:9]
	v_mul_f64 v[8:9], s[14:15], v[8:9]
	v_fma_f64 v[10:11], s[14:15], v[6:7], -v[10:11]
	v_fma_f64 v[6:7], s[16:17], v[6:7], v[8:9]
	v_add_f64 v[0:1], v[0:1], v[10:11]
	v_add_f64 v[2:3], v[2:3], v[6:7]
.LBB127_30:
	global_store_dwordx4 v[4:5], v[0:3], off
	s_endpgm
.LBB127_31:
.LBB127_32:
	s_endpgm
	.section	.rodata,"a",@progbits
	.p2align	6, 0x0
	.amdhsa_kernel _ZL29rocblas_internal_gemmt_kernelIiLi16ELi32ELi8ELc78ELc84ELc85ELb0ELb0E19rocblas_complex_numIdES1_PKS1_PS1_EviT_T9_T10_S5_lS7_S5_lS6_T11_S5_li
		.amdhsa_group_segment_fixed_size 8192
		.amdhsa_private_segment_fixed_size 0
		.amdhsa_kernarg_size 116
		.amdhsa_user_sgpr_count 6
		.amdhsa_user_sgpr_private_segment_buffer 1
		.amdhsa_user_sgpr_dispatch_ptr 0
		.amdhsa_user_sgpr_queue_ptr 0
		.amdhsa_user_sgpr_kernarg_segment_ptr 1
		.amdhsa_user_sgpr_dispatch_id 0
		.amdhsa_user_sgpr_flat_scratch_init 0
		.amdhsa_user_sgpr_private_segment_size 0
		.amdhsa_wavefront_size32 1
		.amdhsa_uses_dynamic_stack 0
		.amdhsa_system_sgpr_private_segment_wavefront_offset 0
		.amdhsa_system_sgpr_workgroup_id_x 1
		.amdhsa_system_sgpr_workgroup_id_y 1
		.amdhsa_system_sgpr_workgroup_id_z 1
		.amdhsa_system_sgpr_workgroup_info 0
		.amdhsa_system_vgpr_workitem_id 1
		.amdhsa_next_free_vgpr 56
		.amdhsa_next_free_sgpr 36
		.amdhsa_reserve_vcc 1
		.amdhsa_reserve_flat_scratch 0
		.amdhsa_float_round_mode_32 0
		.amdhsa_float_round_mode_16_64 0
		.amdhsa_float_denorm_mode_32 3
		.amdhsa_float_denorm_mode_16_64 3
		.amdhsa_dx10_clamp 1
		.amdhsa_ieee_mode 1
		.amdhsa_fp16_overflow 0
		.amdhsa_workgroup_processor_mode 1
		.amdhsa_memory_ordered 1
		.amdhsa_forward_progress 1
		.amdhsa_shared_vgpr_count 0
		.amdhsa_exception_fp_ieee_invalid_op 0
		.amdhsa_exception_fp_denorm_src 0
		.amdhsa_exception_fp_ieee_div_zero 0
		.amdhsa_exception_fp_ieee_overflow 0
		.amdhsa_exception_fp_ieee_underflow 0
		.amdhsa_exception_fp_ieee_inexact 0
		.amdhsa_exception_int_div_zero 0
	.end_amdhsa_kernel
	.section	.text._ZL29rocblas_internal_gemmt_kernelIiLi16ELi32ELi8ELc78ELc84ELc85ELb0ELb0E19rocblas_complex_numIdES1_PKS1_PS1_EviT_T9_T10_S5_lS7_S5_lS6_T11_S5_li,"axG",@progbits,_ZL29rocblas_internal_gemmt_kernelIiLi16ELi32ELi8ELc78ELc84ELc85ELb0ELb0E19rocblas_complex_numIdES1_PKS1_PS1_EviT_T9_T10_S5_lS7_S5_lS6_T11_S5_li,comdat
.Lfunc_end127:
	.size	_ZL29rocblas_internal_gemmt_kernelIiLi16ELi32ELi8ELc78ELc84ELc85ELb0ELb0E19rocblas_complex_numIdES1_PKS1_PS1_EviT_T9_T10_S5_lS7_S5_lS6_T11_S5_li, .Lfunc_end127-_ZL29rocblas_internal_gemmt_kernelIiLi16ELi32ELi8ELc78ELc84ELc85ELb0ELb0E19rocblas_complex_numIdES1_PKS1_PS1_EviT_T9_T10_S5_lS7_S5_lS6_T11_S5_li
                                        ; -- End function
	.set _ZL29rocblas_internal_gemmt_kernelIiLi16ELi32ELi8ELc78ELc84ELc85ELb0ELb0E19rocblas_complex_numIdES1_PKS1_PS1_EviT_T9_T10_S5_lS7_S5_lS6_T11_S5_li.num_vgpr, 56
	.set _ZL29rocblas_internal_gemmt_kernelIiLi16ELi32ELi8ELc78ELc84ELc85ELb0ELb0E19rocblas_complex_numIdES1_PKS1_PS1_EviT_T9_T10_S5_lS7_S5_lS6_T11_S5_li.num_agpr, 0
	.set _ZL29rocblas_internal_gemmt_kernelIiLi16ELi32ELi8ELc78ELc84ELc85ELb0ELb0E19rocblas_complex_numIdES1_PKS1_PS1_EviT_T9_T10_S5_lS7_S5_lS6_T11_S5_li.numbered_sgpr, 36
	.set _ZL29rocblas_internal_gemmt_kernelIiLi16ELi32ELi8ELc78ELc84ELc85ELb0ELb0E19rocblas_complex_numIdES1_PKS1_PS1_EviT_T9_T10_S5_lS7_S5_lS6_T11_S5_li.num_named_barrier, 0
	.set _ZL29rocblas_internal_gemmt_kernelIiLi16ELi32ELi8ELc78ELc84ELc85ELb0ELb0E19rocblas_complex_numIdES1_PKS1_PS1_EviT_T9_T10_S5_lS7_S5_lS6_T11_S5_li.private_seg_size, 0
	.set _ZL29rocblas_internal_gemmt_kernelIiLi16ELi32ELi8ELc78ELc84ELc85ELb0ELb0E19rocblas_complex_numIdES1_PKS1_PS1_EviT_T9_T10_S5_lS7_S5_lS6_T11_S5_li.uses_vcc, 1
	.set _ZL29rocblas_internal_gemmt_kernelIiLi16ELi32ELi8ELc78ELc84ELc85ELb0ELb0E19rocblas_complex_numIdES1_PKS1_PS1_EviT_T9_T10_S5_lS7_S5_lS6_T11_S5_li.uses_flat_scratch, 0
	.set _ZL29rocblas_internal_gemmt_kernelIiLi16ELi32ELi8ELc78ELc84ELc85ELb0ELb0E19rocblas_complex_numIdES1_PKS1_PS1_EviT_T9_T10_S5_lS7_S5_lS6_T11_S5_li.has_dyn_sized_stack, 0
	.set _ZL29rocblas_internal_gemmt_kernelIiLi16ELi32ELi8ELc78ELc84ELc85ELb0ELb0E19rocblas_complex_numIdES1_PKS1_PS1_EviT_T9_T10_S5_lS7_S5_lS6_T11_S5_li.has_recursion, 0
	.set _ZL29rocblas_internal_gemmt_kernelIiLi16ELi32ELi8ELc78ELc84ELc85ELb0ELb0E19rocblas_complex_numIdES1_PKS1_PS1_EviT_T9_T10_S5_lS7_S5_lS6_T11_S5_li.has_indirect_call, 0
	.section	.AMDGPU.csdata,"",@progbits
; Kernel info:
; codeLenInByte = 3564
; TotalNumSgprs: 38
; NumVgprs: 56
; ScratchSize: 0
; MemoryBound: 0
; FloatMode: 240
; IeeeMode: 1
; LDSByteSize: 8192 bytes/workgroup (compile time only)
; SGPRBlocks: 0
; VGPRBlocks: 6
; NumSGPRsForWavesPerEU: 38
; NumVGPRsForWavesPerEU: 56
; Occupancy: 16
; WaveLimiterHint : 0
; COMPUTE_PGM_RSRC2:SCRATCH_EN: 0
; COMPUTE_PGM_RSRC2:USER_SGPR: 6
; COMPUTE_PGM_RSRC2:TRAP_HANDLER: 0
; COMPUTE_PGM_RSRC2:TGID_X_EN: 1
; COMPUTE_PGM_RSRC2:TGID_Y_EN: 1
; COMPUTE_PGM_RSRC2:TGID_Z_EN: 1
; COMPUTE_PGM_RSRC2:TIDIG_COMP_CNT: 1
	.section	.text._ZL29rocblas_internal_gemmt_kernelIiLi16ELi32ELi8ELc78ELc67ELc85ELb0ELb1E19rocblas_complex_numIdES1_PKS1_PS1_EviT_T9_T10_S5_lS7_S5_lS6_T11_S5_li,"axG",@progbits,_ZL29rocblas_internal_gemmt_kernelIiLi16ELi32ELi8ELc78ELc67ELc85ELb0ELb1E19rocblas_complex_numIdES1_PKS1_PS1_EviT_T9_T10_S5_lS7_S5_lS6_T11_S5_li,comdat
	.globl	_ZL29rocblas_internal_gemmt_kernelIiLi16ELi32ELi8ELc78ELc67ELc85ELb0ELb1E19rocblas_complex_numIdES1_PKS1_PS1_EviT_T9_T10_S5_lS7_S5_lS6_T11_S5_li ; -- Begin function _ZL29rocblas_internal_gemmt_kernelIiLi16ELi32ELi8ELc78ELc67ELc85ELb0ELb1E19rocblas_complex_numIdES1_PKS1_PS1_EviT_T9_T10_S5_lS7_S5_lS6_T11_S5_li
	.p2align	8
	.type	_ZL29rocblas_internal_gemmt_kernelIiLi16ELi32ELi8ELc78ELc67ELc85ELb0ELb1E19rocblas_complex_numIdES1_PKS1_PS1_EviT_T9_T10_S5_lS7_S5_lS6_T11_S5_li,@function
_ZL29rocblas_internal_gemmt_kernelIiLi16ELi32ELi8ELc78ELc67ELc85ELb0ELb1E19rocblas_complex_numIdES1_PKS1_PS1_EviT_T9_T10_S5_lS7_S5_lS6_T11_S5_li: ; @_ZL29rocblas_internal_gemmt_kernelIiLi16ELi32ELi8ELc78ELc67ELc85ELb0ELb1E19rocblas_complex_numIdES1_PKS1_PS1_EviT_T9_T10_S5_lS7_S5_lS6_T11_S5_li
; %bb.0:
	s_clause 0x2
	s_load_dwordx8 s[12:19], s[4:5], 0x40
	s_load_dwordx2 s[2:3], s[4:5], 0x0
	s_load_dwordx4 s[20:23], s[4:5], 0x8
	s_waitcnt lgkmcnt(0)
	v_cmp_eq_f64_e64 s0, s[14:15], 1.0
	v_cmp_eq_f64_e64 s9, s[16:17], 0
	s_and_b32 s0, s0, s9
	s_andn2_b32 vcc_lo, exec_lo, s0
	s_mov_b32 s0, -1
	s_cbranch_vccnz .LBB128_3
; %bb.1:
	s_cmp_lg_u32 s3, 0
	s_cbranch_scc0 .LBB128_29
; %bb.2:
	v_cmp_neq_f64_e64 s0, s[20:21], 0
	v_cmp_neq_f64_e64 s1, s[22:23], 0
	s_or_b32 s0, s0, s1
.LBB128_3:
	s_and_b32 vcc_lo, exec_lo, s0
	s_cbranch_vccz .LBB128_30
; %bb.4:
	v_cmp_eq_f64_e64 s0, s[20:21], 0
	v_cmp_eq_f64_e64 s1, s[22:23], 0
	s_lshl_b32 s28, s6, 5
	s_lshl_b32 s29, s7, 5
	v_mov_b32_e32 v23, 0
	v_mov_b32_e32 v25, 0
	;; [unrolled: 1-line block ×16, first 2 shown]
	s_mov_b32 s30, 0
	s_and_b32 s0, s0, s1
	s_cmp_lt_i32 s3, 1
	s_cselect_b32 s1, -1, 0
	s_or_b32 s0, s0, s1
	s_and_b32 vcc_lo, exec_lo, s0
	s_cbranch_vccnz .LBB128_13
; %bb.5:
	s_clause 0x1
	s_load_dword s6, s[4:5], 0x20
	s_load_dword s10, s[4:5], 0x38
	v_lshl_add_u32 v2, v1, 4, v0
	s_clause 0x1
	s_load_dwordx4 s[24:27], s[4:5], 0x28
	s_load_dwordx2 s[34:35], s[4:5], 0x18
	v_and_b32_e32 v27, 7, v0
	s_mul_i32 s13, s13, s8
	v_and_b32_e32 v6, 31, v2
	v_lshrrev_b32_e32 v3, 3, v2
	v_lshrrev_b32_e32 v28, 5, v2
	v_lshlrev_b32_e32 v4, 4, v27
	s_mul_hi_u32 s31, s12, s8
	v_or_b32_e32 v5, s28, v6
	v_add_nc_u32_e32 v2, s29, v3
	v_lshlrev_b32_e32 v7, 4, v6
	v_lshl_or_b32 v3, v3, 7, v4
	v_add_nc_u32_e32 v6, s28, v6
	v_cmp_gt_i32_e64 s0, s2, v5
	s_add_i32 s13, s31, s13
	v_lshl_or_b32 v29, v28, 9, v7
	s_waitcnt lgkmcnt(0)
	v_mad_i64_i32 v[4:5], null, v28, s6, 0
	v_mad_i64_i32 v[7:8], null, s10, v27, 0
	s_mul_i32 s1, s25, s8
	s_mul_hi_u32 s25, s24, s8
	s_mul_i32 s24, s24, s8
	s_add_i32 s25, s25, s1
	v_lshlrev_b64 v[4:5], 4, v[4:5]
	s_lshl_b64 s[24:25], s[24:25], 4
	v_add_nc_u32_e32 v30, 0x1000, v3
	v_ashrrev_i32_e32 v3, 31, v2
	s_mul_i32 s12, s12, s8
	v_cmp_gt_i32_e32 vcc_lo, s2, v2
	v_add_co_u32 v9, s1, v4, s24
	v_add_co_ci_u32_e64 v10, null, s25, v5, s1
	v_lshlrev_b64 v[4:5], 4, v[7:8]
	v_ashrrev_i32_e32 v7, 31, v6
	s_lshl_b64 s[12:13], s[12:13], 4
	v_lshlrev_b64 v[2:3], 4, v[2:3]
	v_mov_b32_e32 v17, 0
	v_mov_b32_e32 v15, 0
	v_add_co_u32 v8, s1, s12, v4
	v_add_co_ci_u32_e64 v11, null, s13, v5, s1
	v_lshlrev_b64 v[4:5], 4, v[6:7]
	v_add_co_u32 v2, s1, v8, v2
	v_add_co_ci_u32_e64 v3, null, v11, v3, s1
	v_mov_b32_e32 v7, 0
	v_add_co_u32 v4, s1, v9, v4
	v_add_co_ci_u32_e64 v5, null, v10, v5, s1
	v_add_co_u32 v2, s1, s26, v2
	v_add_co_ci_u32_e64 v3, null, s27, v3, s1
	;; [unrolled: 2-line block ×3, first 2 shown]
	v_add_co_u32 v13, s1, v2, 8
	v_mov_b32_e32 v9, 0
	v_mov_b32_e32 v21, 0
	;; [unrolled: 1-line block ×5, first 2 shown]
	v_lshlrev_b32_e32 v31, 4, v0
	v_lshl_add_u32 v32, v1, 7, 0x1000
	v_add_co_ci_u32_e64 v14, null, 0, v3, s1
	v_mov_b32_e32 v8, 0
	v_mov_b32_e32 v10, 0
	;; [unrolled: 1-line block ×9, first 2 shown]
	s_ashr_i32 s7, s6, 31
	s_ashr_i32 s11, s10, 31
	s_lshl_b64 s[6:7], s[6:7], 7
	s_lshl_b64 s[10:11], s[10:11], 7
	s_xor_b32 s1, s0, -1
	s_branch .LBB128_7
.LBB128_6:                              ;   in Loop: Header=BB128_7 Depth=1
	s_or_b32 exec_lo, exec_lo, s0
	ds_write_b128 v30, v[3:6]
	s_waitcnt lgkmcnt(0)
	s_barrier
	buffer_gl0_inv
	ds_read_b128 v[3:6], v32
	ds_read_b128 v[33:36], v31
	ds_read_b128 v[37:40], v31 offset:256
	ds_read_b128 v[41:44], v32 offset:2048
	;; [unrolled: 1-line block ×12, first 2 shown]
	v_add_co_u32 v11, s0, v11, s6
	v_add_co_ci_u32_e64 v12, null, s7, v12, s0
	v_add_co_u32 v13, s0, v13, s10
	v_add_co_ci_u32_e64 v14, null, s11, v14, s0
	s_waitcnt lgkmcnt(12)
	v_mul_f64 v[85:86], v[5:6], v[35:36]
	v_mul_f64 v[87:88], v[3:4], v[35:36]
	s_waitcnt lgkmcnt(11)
	v_mul_f64 v[89:90], v[5:6], v[39:40]
	v_mul_f64 v[91:92], v[3:4], v[39:40]
	;; [unrolled: 3-line block ×3, first 2 shown]
	v_mul_f64 v[95:96], v[43:44], v[39:40]
	v_mul_f64 v[39:40], v[41:42], v[39:40]
	s_waitcnt lgkmcnt(8)
	v_mul_f64 v[97:98], v[47:48], v[51:52]
	v_mul_f64 v[99:100], v[45:46], v[51:52]
	s_waitcnt lgkmcnt(7)
	;; [unrolled: 3-line block ×3, first 2 shown]
	v_mul_f64 v[105:106], v[59:60], v[51:52]
	v_mul_f64 v[51:52], v[57:58], v[51:52]
	;; [unrolled: 1-line block ×4, first 2 shown]
	s_waitcnt lgkmcnt(4)
	v_mul_f64 v[109:110], v[63:64], v[67:68]
	v_mul_f64 v[111:112], v[61:62], v[67:68]
	s_waitcnt lgkmcnt(3)
	v_mul_f64 v[113:114], v[63:64], v[71:72]
	v_mul_f64 v[115:116], v[61:62], v[71:72]
	;; [unrolled: 3-line block ×3, first 2 shown]
	v_fma_f64 v[85:86], v[3:4], v[33:34], -v[85:86]
	v_fma_f64 v[87:88], v[5:6], v[33:34], v[87:88]
	v_fma_f64 v[89:90], v[3:4], v[37:38], -v[89:90]
	v_fma_f64 v[91:92], v[5:6], v[37:38], v[91:92]
	v_fma_f64 v[93:94], v[41:42], v[33:34], -v[93:94]
	v_fma_f64 v[119:120], v[43:44], v[33:34], v[35:36]
	v_fma_f64 v[95:96], v[41:42], v[37:38], -v[95:96]
	v_fma_f64 v[121:122], v[43:44], v[37:38], v[39:40]
	v_mul_f64 v[123:124], v[75:76], v[71:72]
	v_mul_f64 v[71:72], v[73:74], v[71:72]
	v_fma_f64 v[97:98], v[45:46], v[49:50], -v[97:98]
	v_fma_f64 v[99:100], v[47:48], v[49:50], v[99:100]
	v_fma_f64 v[101:102], v[45:46], v[53:54], -v[101:102]
	v_fma_f64 v[103:104], v[47:48], v[53:54], v[103:104]
	;; [unrolled: 2-line block ×7, first 2 shown]
	v_add_f64 v[23:24], v[23:24], v[85:86]
	v_add_f64 v[25:26], v[87:88], v[25:26]
	;; [unrolled: 1-line block ×6, first 2 shown]
	v_fma_f64 v[73:74], v[73:74], v[69:70], -v[123:124]
	v_fma_f64 v[69:70], v[75:76], v[69:70], v[71:72]
	v_add_f64 v[71:72], v[15:16], v[93:94]
	v_add_f64 v[75:76], v[119:120], v[17:18]
	ds_read_b128 v[3:6], v31 offset:1536
	ds_read_b128 v[33:36], v31 offset:1792
	;; [unrolled: 1-line block ×7, first 2 shown]
	s_add_i32 s30, s30, 8
	s_cmp_lt_i32 s30, s3
	v_add_f64 v[97:98], v[23:24], v[97:98]
	v_add_f64 v[99:100], v[99:100], v[25:26]
	;; [unrolled: 1-line block ×6, first 2 shown]
	ds_read_b128 v[19:22], v31 offset:2560
	ds_read_b128 v[23:26], v31 offset:2816
	s_waitcnt lgkmcnt(8)
	v_mul_f64 v[109:110], v[79:80], v[5:6]
	v_mul_f64 v[111:112], v[77:78], v[5:6]
	s_waitcnt lgkmcnt(7)
	v_mul_f64 v[67:68], v[79:80], v[35:36]
	v_mul_f64 v[113:114], v[77:78], v[35:36]
	;; [unrolled: 1-line block ×6, first 2 shown]
	s_waitcnt lgkmcnt(4)
	v_mul_f64 v[95:96], v[39:40], v[47:48]
	v_add_f64 v[71:72], v[71:72], v[105:106]
	v_add_f64 v[75:76], v[125:126], v[75:76]
	v_mul_f64 v[93:94], v[37:38], v[43:44]
	ds_read_b128 v[5:8], v32 offset:80
	v_add_f64 v[55:56], v[97:98], v[55:56]
	v_add_f64 v[59:60], v[59:60], v[99:100]
	;; [unrolled: 1-line block ×6, first 2 shown]
	s_waitcnt lgkmcnt(2)
	v_mul_f64 v[99:100], v[17:18], v[21:22]
	s_waitcnt lgkmcnt(1)
	v_mul_f64 v[101:102], v[17:18], v[25:26]
	v_fma_f64 v[89:90], v[77:78], v[3:4], -v[109:110]
	v_fma_f64 v[91:92], v[79:80], v[3:4], v[111:112]
	v_fma_f64 v[67:68], v[77:78], v[33:34], -v[67:68]
	v_mul_f64 v[77:78], v[39:40], v[43:44]
	v_mul_f64 v[109:110], v[37:38], v[47:48]
	v_fma_f64 v[79:80], v[79:80], v[33:34], v[113:114]
	v_mul_f64 v[111:112], v[51:52], v[43:44]
	v_mul_f64 v[43:44], v[49:50], v[43:44]
	v_fma_f64 v[57:58], v[81:82], v[3:4], -v[115:116]
	v_fma_f64 v[3:4], v[83:84], v[3:4], v[117:118]
	v_fma_f64 v[81:82], v[81:82], v[33:34], -v[87:88]
	v_fma_f64 v[83:84], v[83:84], v[33:34], v[35:36]
	v_fma_f64 v[87:88], v[37:38], v[45:46], -v[95:96]
	v_mul_f64 v[95:96], v[51:52], v[47:48]
	v_mul_f64 v[47:48], v[49:50], v[47:48]
	v_add_f64 v[71:72], v[71:72], v[107:108]
	v_add_f64 v[65:66], v[65:66], v[75:76]
	v_fma_f64 v[85:86], v[39:40], v[41:42], v[93:94]
	s_waitcnt lgkmcnt(0)
	v_mul_f64 v[69:70], v[7:8], v[21:22]
	v_mul_f64 v[73:74], v[5:6], v[21:22]
	;; [unrolled: 1-line block ×6, first 2 shown]
	v_add_f64 v[55:56], v[55:56], v[89:90]
	v_fma_f64 v[77:78], v[37:38], v[41:42], -v[77:78]
	v_fma_f64 v[93:94], v[39:40], v[45:46], v[109:110]
	v_add_f64 v[59:60], v[91:92], v[59:60]
	v_fma_f64 v[105:106], v[49:50], v[41:42], -v[111:112]
	v_fma_f64 v[109:110], v[51:52], v[41:42], v[43:44]
	v_add_f64 v[61:62], v[61:62], v[67:68]
	v_add_f64 v[63:64], v[79:80], v[63:64]
	;; [unrolled: 1-line block ×4, first 2 shown]
	ds_read_b128 v[33:36], v32 offset:96
	ds_read_b128 v[37:40], v31 offset:3072
	v_fma_f64 v[49:50], v[49:50], v[45:46], -v[95:96]
	v_fma_f64 v[51:52], v[51:52], v[45:46], v[47:48]
	v_add_f64 v[57:58], v[71:72], v[57:58]
	v_add_f64 v[65:66], v[3:4], v[65:66]
	ds_read_b128 v[41:44], v31 offset:3328
	ds_read_b128 v[45:48], v32 offset:2144
	v_fma_f64 v[69:70], v[5:6], v[19:20], -v[69:70]
	v_fma_f64 v[71:72], v[7:8], v[19:20], v[73:74]
	v_fma_f64 v[73:74], v[5:6], v[23:24], -v[75:76]
	v_fma_f64 v[75:76], v[7:8], v[23:24], v[97:98]
	;; [unrolled: 2-line block ×4, first 2 shown]
	v_add_f64 v[55:56], v[55:56], v[77:78]
	v_add_f64 v[59:60], v[85:86], v[59:60]
	ds_read_b128 v[3:6], v32 offset:112
	ds_read_b128 v[7:10], v32 offset:2160
	v_add_f64 v[61:62], v[61:62], v[87:88]
	v_add_f64 v[63:64], v[93:94], v[63:64]
	s_waitcnt lgkmcnt(4)
	v_mul_f64 v[89:90], v[35:36], v[39:40]
	v_mul_f64 v[25:26], v[33:34], v[39:40]
	ds_read_b128 v[15:18], v31 offset:3584
	ds_read_b128 v[19:22], v31 offset:3840
	v_add_f64 v[49:50], v[67:68], v[49:50]
	s_waitcnt lgkmcnt(5)
	v_mul_f64 v[91:92], v[35:36], v[43:44]
	v_mul_f64 v[95:96], v[33:34], v[43:44]
	s_waitcnt lgkmcnt(4)
	v_mul_f64 v[97:98], v[47:48], v[39:40]
	v_mul_f64 v[39:40], v[45:46], v[39:40]
	v_add_f64 v[57:58], v[57:58], v[105:106]
	v_add_f64 v[65:66], v[109:110], v[65:66]
	v_add_f64 v[51:52], v[51:52], v[53:54]
	v_mul_f64 v[53:54], v[47:48], v[43:44]
	v_mul_f64 v[43:44], v[45:46], v[43:44]
	s_waitcnt lgkmcnt(0)
	s_barrier
	buffer_gl0_inv
	v_fma_f64 v[67:68], v[33:34], v[37:38], -v[89:90]
	v_fma_f64 v[25:26], v[35:36], v[37:38], v[25:26]
	v_add_f64 v[49:50], v[49:50], v[83:84]
	v_fma_f64 v[33:34], v[33:34], v[41:42], -v[91:92]
	v_fma_f64 v[35:36], v[35:36], v[41:42], v[95:96]
	v_fma_f64 v[77:78], v[45:46], v[37:38], -v[97:98]
	v_fma_f64 v[37:38], v[47:48], v[37:38], v[39:40]
	v_add_f64 v[39:40], v[55:56], v[69:70]
	v_add_f64 v[55:56], v[71:72], v[59:60]
	;; [unrolled: 1-line block ×7, first 2 shown]
	v_fma_f64 v[45:46], v[45:46], v[41:42], -v[53:54]
	v_fma_f64 v[41:42], v[47:48], v[41:42], v[43:44]
	v_mul_f64 v[43:44], v[5:6], v[17:18]
	v_mul_f64 v[47:48], v[3:4], v[17:18]
	;; [unrolled: 1-line block ×8, first 2 shown]
	v_add_f64 v[39:40], v[39:40], v[67:68]
	v_add_f64 v[25:26], v[25:26], v[55:56]
	;; [unrolled: 1-line block ×8, first 2 shown]
	v_fma_f64 v[23:24], v[3:4], v[15:16], -v[43:44]
	v_fma_f64 v[43:44], v[5:6], v[15:16], v[47:48]
	v_fma_f64 v[3:4], v[3:4], v[19:20], -v[51:52]
	v_fma_f64 v[5:6], v[5:6], v[19:20], v[53:54]
	;; [unrolled: 2-line block ×4, first 2 shown]
	v_add_f64 v[23:24], v[39:40], v[23:24]
	v_add_f64 v[25:26], v[43:44], v[25:26]
	;; [unrolled: 1-line block ×8, first 2 shown]
	s_cbranch_scc0 .LBB128_13
.LBB128_7:                              ; =>This Inner Loop Header: Depth=1
	v_add_nc_u32_e32 v3, s30, v28
	v_cmp_le_i32_e64 s0, s3, v3
	s_or_b32 s0, s1, s0
	s_and_saveexec_b32 s12, s0
	s_xor_b32 s0, exec_lo, s12
	s_cbranch_execz .LBB128_9
; %bb.8:                                ;   in Loop: Header=BB128_7 Depth=1
	v_mov_b32_e32 v3, v2
	v_mov_b32_e32 v4, v2
	;; [unrolled: 1-line block ×3, first 2 shown]
	ds_write_b128 v29, v[2:5]
.LBB128_9:                              ;   in Loop: Header=BB128_7 Depth=1
	s_andn2_saveexec_b32 s0, s0
	s_cbranch_execz .LBB128_11
; %bb.10:                               ;   in Loop: Header=BB128_7 Depth=1
	global_load_dwordx4 v[3:6], v[11:12], off
	s_waitcnt vmcnt(0)
	ds_write2_b64 v29, v[3:4], v[5:6] offset1:1
.LBB128_11:                             ;   in Loop: Header=BB128_7 Depth=1
	s_or_b32 exec_lo, exec_lo, s0
	v_add_nc_u32_e32 v3, s30, v27
	v_mov_b32_e32 v5, 0
	v_mov_b32_e32 v6, 0
	v_cmp_gt_i32_e64 s0, s3, v3
	v_mov_b32_e32 v3, 0
	v_mov_b32_e32 v4, 0
	s_and_b32 s12, s0, vcc_lo
	s_and_saveexec_b32 s0, s12
	s_cbranch_execz .LBB128_6
; %bb.12:                               ;   in Loop: Header=BB128_7 Depth=1
	global_load_dwordx4 v[3:6], v[13:14], off offset:-8
	s_waitcnt vmcnt(0)
	v_xor_b32_e32 v6, 0x80000000, v6
	s_branch .LBB128_6
.LBB128_13:
	s_clause 0x1
	s_load_dword s3, s[4:5], 0x60
	s_load_dwordx2 s[4:5], s[4:5], 0x68
	v_cmp_neq_f64_e64 s6, s[14:15], 0
	v_add_nc_u32_e32 v27, s29, v1
	v_add_nc_u32_e32 v4, s28, v0
	v_cmp_gt_i32_e64 s0, s2, v27
	v_cmp_le_i32_e32 vcc_lo, v4, v27
	v_ashrrev_i32_e32 v5, 31, v4
	s_waitcnt lgkmcnt(0)
	v_mad_i64_i32 v[0:1], null, v27, s3, 0
	s_mul_i32 s1, s5, s8
	s_mul_hi_u32 s5, s4, s8
	s_mul_i32 s4, s4, s8
	s_add_i32 s5, s5, s1
	s_lshl_b64 s[4:5], s[4:5], 4
	v_lshlrev_b64 v[0:1], 4, v[0:1]
	s_add_u32 s4, s18, s4
	s_addc_u32 s5, s19, s5
	s_xor_b32 s7, s9, -1
	s_or_b32 s6, s6, s7
	v_add_co_u32 v13, s1, s4, v0
	v_add_co_ci_u32_e64 v14, null, s5, v1, s1
	v_cndmask_b32_e64 v6, 0, 1, s6
	s_and_b32 s7, s0, vcc_lo
	s_and_saveexec_b32 s1, s7
	s_cbranch_execz .LBB128_17
; %bb.14:
	v_mul_f64 v[0:1], s[22:23], v[25:26]
	v_mul_f64 v[2:3], s[20:21], v[25:26]
	v_lshlrev_b64 v[11:12], 4, v[4:5]
	v_add_co_u32 v11, vcc_lo, v13, v11
	v_add_co_ci_u32_e64 v12, null, v14, v12, vcc_lo
	s_andn2_b32 vcc_lo, exec_lo, s6
	v_fma_f64 v[0:1], s[20:21], v[23:24], -v[0:1]
	v_fma_f64 v[2:3], s[22:23], v[23:24], v[2:3]
	s_cbranch_vccnz .LBB128_16
; %bb.15:
	global_load_dwordx4 v[23:26], v[11:12], off
	s_waitcnt vmcnt(0)
	v_mul_f64 v[28:29], s[16:17], v[25:26]
	v_mul_f64 v[25:26], s[14:15], v[25:26]
	v_fma_f64 v[28:29], s[14:15], v[23:24], -v[28:29]
	v_fma_f64 v[23:24], s[16:17], v[23:24], v[25:26]
	v_add_f64 v[0:1], v[0:1], v[28:29]
	v_add_f64 v[2:3], v[2:3], v[23:24]
.LBB128_16:
	global_store_dwordx4 v[11:12], v[0:3], off
.LBB128_17:
	s_or_b32 exec_lo, exec_lo, s1
	v_add_nc_u32_e32 v11, 16, v4
	v_cmp_le_i32_e32 vcc_lo, v11, v27
	v_ashrrev_i32_e32 v12, 31, v11
	s_and_b32 s0, s0, vcc_lo
	s_and_saveexec_b32 s1, s0
	s_cbranch_execz .LBB128_21
; %bb.18:
	v_mul_f64 v[0:1], s[22:23], v[21:22]
	v_mul_f64 v[2:3], s[20:21], v[21:22]
	v_cmp_ne_u32_e32 vcc_lo, 1, v6
	s_and_b32 vcc_lo, exec_lo, vcc_lo
	v_fma_f64 v[0:1], s[20:21], v[19:20], -v[0:1]
	v_fma_f64 v[2:3], s[22:23], v[19:20], v[2:3]
	v_lshlrev_b64 v[19:20], 4, v[11:12]
	v_add_co_u32 v13, s0, v13, v19
	v_add_co_ci_u32_e64 v14, null, v14, v20, s0
	s_cbranch_vccnz .LBB128_20
; %bb.19:
	global_load_dwordx4 v[19:22], v[13:14], off
	s_waitcnt vmcnt(0)
	v_mul_f64 v[23:24], s[16:17], v[21:22]
	v_mul_f64 v[21:22], s[14:15], v[21:22]
	v_fma_f64 v[23:24], s[14:15], v[19:20], -v[23:24]
	v_fma_f64 v[19:20], s[16:17], v[19:20], v[21:22]
	v_add_f64 v[0:1], v[0:1], v[23:24]
	v_add_f64 v[2:3], v[2:3], v[19:20]
.LBB128_20:
	global_store_dwordx4 v[13:14], v[0:3], off
.LBB128_21:
	s_or_b32 exec_lo, exec_lo, s1
	v_add_nc_u32_e32 v19, 16, v27
	v_mad_i64_i32 v[0:1], null, v19, s3, 0
	v_cmp_gt_i32_e64 s0, s2, v19
	v_cmp_le_i32_e32 vcc_lo, v4, v19
	v_lshlrev_b64 v[0:1], 4, v[0:1]
	v_add_co_u32 v13, s1, s4, v0
	v_add_co_ci_u32_e64 v14, null, s5, v1, s1
	s_and_b32 s1, s0, vcc_lo
	s_and_saveexec_b32 s2, s1
	s_cbranch_execz .LBB128_25
; %bb.22:
	v_mul_f64 v[0:1], s[22:23], v[17:18]
	v_mul_f64 v[2:3], s[20:21], v[17:18]
	v_lshlrev_b64 v[4:5], 4, v[4:5]
	v_cmp_ne_u32_e32 vcc_lo, 1, v6
	s_and_b32 vcc_lo, exec_lo, vcc_lo
	v_add_co_u32 v4, s1, v13, v4
	v_add_co_ci_u32_e64 v5, null, v14, v5, s1
	v_fma_f64 v[0:1], s[20:21], v[15:16], -v[0:1]
	v_fma_f64 v[2:3], s[22:23], v[15:16], v[2:3]
	s_cbranch_vccnz .LBB128_24
; %bb.23:
	global_load_dwordx4 v[15:18], v[4:5], off
	s_waitcnt vmcnt(0)
	v_mul_f64 v[20:21], s[16:17], v[17:18]
	v_mul_f64 v[17:18], s[14:15], v[17:18]
	v_fma_f64 v[20:21], s[14:15], v[15:16], -v[20:21]
	v_fma_f64 v[15:16], s[16:17], v[15:16], v[17:18]
	v_add_f64 v[0:1], v[0:1], v[20:21]
	v_add_f64 v[2:3], v[2:3], v[15:16]
.LBB128_24:
	global_store_dwordx4 v[4:5], v[0:3], off
.LBB128_25:
	s_or_b32 exec_lo, exec_lo, s2
	v_cmp_le_i32_e32 vcc_lo, v11, v19
	s_and_b32 s0, s0, vcc_lo
	s_and_saveexec_b32 s1, s0
	s_cbranch_execz .LBB128_30
; %bb.26:
	v_mul_f64 v[0:1], s[22:23], v[7:8]
	v_mul_f64 v[2:3], s[20:21], v[7:8]
	v_lshlrev_b64 v[4:5], 4, v[11:12]
	v_cmp_ne_u32_e32 vcc_lo, 1, v6
	s_and_b32 vcc_lo, exec_lo, vcc_lo
	v_add_co_u32 v4, s0, v13, v4
	v_add_co_ci_u32_e64 v5, null, v14, v5, s0
	v_fma_f64 v[0:1], s[20:21], v[9:10], -v[0:1]
	v_fma_f64 v[2:3], s[22:23], v[9:10], v[2:3]
	s_cbranch_vccnz .LBB128_28
; %bb.27:
	global_load_dwordx4 v[6:9], v[4:5], off
	s_waitcnt vmcnt(0)
	v_mul_f64 v[10:11], s[16:17], v[8:9]
	v_mul_f64 v[8:9], s[14:15], v[8:9]
	v_fma_f64 v[10:11], s[14:15], v[6:7], -v[10:11]
	v_fma_f64 v[6:7], s[16:17], v[6:7], v[8:9]
	v_add_f64 v[0:1], v[0:1], v[10:11]
	v_add_f64 v[2:3], v[2:3], v[6:7]
.LBB128_28:
	global_store_dwordx4 v[4:5], v[0:3], off
	s_endpgm
.LBB128_29:
.LBB128_30:
	s_endpgm
	.section	.rodata,"a",@progbits
	.p2align	6, 0x0
	.amdhsa_kernel _ZL29rocblas_internal_gemmt_kernelIiLi16ELi32ELi8ELc78ELc67ELc85ELb0ELb1E19rocblas_complex_numIdES1_PKS1_PS1_EviT_T9_T10_S5_lS7_S5_lS6_T11_S5_li
		.amdhsa_group_segment_fixed_size 8192
		.amdhsa_private_segment_fixed_size 0
		.amdhsa_kernarg_size 116
		.amdhsa_user_sgpr_count 6
		.amdhsa_user_sgpr_private_segment_buffer 1
		.amdhsa_user_sgpr_dispatch_ptr 0
		.amdhsa_user_sgpr_queue_ptr 0
		.amdhsa_user_sgpr_kernarg_segment_ptr 1
		.amdhsa_user_sgpr_dispatch_id 0
		.amdhsa_user_sgpr_flat_scratch_init 0
		.amdhsa_user_sgpr_private_segment_size 0
		.amdhsa_wavefront_size32 1
		.amdhsa_uses_dynamic_stack 0
		.amdhsa_system_sgpr_private_segment_wavefront_offset 0
		.amdhsa_system_sgpr_workgroup_id_x 1
		.amdhsa_system_sgpr_workgroup_id_y 1
		.amdhsa_system_sgpr_workgroup_id_z 1
		.amdhsa_system_sgpr_workgroup_info 0
		.amdhsa_system_vgpr_workitem_id 1
		.amdhsa_next_free_vgpr 127
		.amdhsa_next_free_sgpr 36
		.amdhsa_reserve_vcc 1
		.amdhsa_reserve_flat_scratch 0
		.amdhsa_float_round_mode_32 0
		.amdhsa_float_round_mode_16_64 0
		.amdhsa_float_denorm_mode_32 3
		.amdhsa_float_denorm_mode_16_64 3
		.amdhsa_dx10_clamp 1
		.amdhsa_ieee_mode 1
		.amdhsa_fp16_overflow 0
		.amdhsa_workgroup_processor_mode 1
		.amdhsa_memory_ordered 1
		.amdhsa_forward_progress 1
		.amdhsa_shared_vgpr_count 0
		.amdhsa_exception_fp_ieee_invalid_op 0
		.amdhsa_exception_fp_denorm_src 0
		.amdhsa_exception_fp_ieee_div_zero 0
		.amdhsa_exception_fp_ieee_overflow 0
		.amdhsa_exception_fp_ieee_underflow 0
		.amdhsa_exception_fp_ieee_inexact 0
		.amdhsa_exception_int_div_zero 0
	.end_amdhsa_kernel
	.section	.text._ZL29rocblas_internal_gemmt_kernelIiLi16ELi32ELi8ELc78ELc67ELc85ELb0ELb1E19rocblas_complex_numIdES1_PKS1_PS1_EviT_T9_T10_S5_lS7_S5_lS6_T11_S5_li,"axG",@progbits,_ZL29rocblas_internal_gemmt_kernelIiLi16ELi32ELi8ELc78ELc67ELc85ELb0ELb1E19rocblas_complex_numIdES1_PKS1_PS1_EviT_T9_T10_S5_lS7_S5_lS6_T11_S5_li,comdat
.Lfunc_end128:
	.size	_ZL29rocblas_internal_gemmt_kernelIiLi16ELi32ELi8ELc78ELc67ELc85ELb0ELb1E19rocblas_complex_numIdES1_PKS1_PS1_EviT_T9_T10_S5_lS7_S5_lS6_T11_S5_li, .Lfunc_end128-_ZL29rocblas_internal_gemmt_kernelIiLi16ELi32ELi8ELc78ELc67ELc85ELb0ELb1E19rocblas_complex_numIdES1_PKS1_PS1_EviT_T9_T10_S5_lS7_S5_lS6_T11_S5_li
                                        ; -- End function
	.set _ZL29rocblas_internal_gemmt_kernelIiLi16ELi32ELi8ELc78ELc67ELc85ELb0ELb1E19rocblas_complex_numIdES1_PKS1_PS1_EviT_T9_T10_S5_lS7_S5_lS6_T11_S5_li.num_vgpr, 127
	.set _ZL29rocblas_internal_gemmt_kernelIiLi16ELi32ELi8ELc78ELc67ELc85ELb0ELb1E19rocblas_complex_numIdES1_PKS1_PS1_EviT_T9_T10_S5_lS7_S5_lS6_T11_S5_li.num_agpr, 0
	.set _ZL29rocblas_internal_gemmt_kernelIiLi16ELi32ELi8ELc78ELc67ELc85ELb0ELb1E19rocblas_complex_numIdES1_PKS1_PS1_EviT_T9_T10_S5_lS7_S5_lS6_T11_S5_li.numbered_sgpr, 36
	.set _ZL29rocblas_internal_gemmt_kernelIiLi16ELi32ELi8ELc78ELc67ELc85ELb0ELb1E19rocblas_complex_numIdES1_PKS1_PS1_EviT_T9_T10_S5_lS7_S5_lS6_T11_S5_li.num_named_barrier, 0
	.set _ZL29rocblas_internal_gemmt_kernelIiLi16ELi32ELi8ELc78ELc67ELc85ELb0ELb1E19rocblas_complex_numIdES1_PKS1_PS1_EviT_T9_T10_S5_lS7_S5_lS6_T11_S5_li.private_seg_size, 0
	.set _ZL29rocblas_internal_gemmt_kernelIiLi16ELi32ELi8ELc78ELc67ELc85ELb0ELb1E19rocblas_complex_numIdES1_PKS1_PS1_EviT_T9_T10_S5_lS7_S5_lS6_T11_S5_li.uses_vcc, 1
	.set _ZL29rocblas_internal_gemmt_kernelIiLi16ELi32ELi8ELc78ELc67ELc85ELb0ELb1E19rocblas_complex_numIdES1_PKS1_PS1_EviT_T9_T10_S5_lS7_S5_lS6_T11_S5_li.uses_flat_scratch, 0
	.set _ZL29rocblas_internal_gemmt_kernelIiLi16ELi32ELi8ELc78ELc67ELc85ELb0ELb1E19rocblas_complex_numIdES1_PKS1_PS1_EviT_T9_T10_S5_lS7_S5_lS6_T11_S5_li.has_dyn_sized_stack, 0
	.set _ZL29rocblas_internal_gemmt_kernelIiLi16ELi32ELi8ELc78ELc67ELc85ELb0ELb1E19rocblas_complex_numIdES1_PKS1_PS1_EviT_T9_T10_S5_lS7_S5_lS6_T11_S5_li.has_recursion, 0
	.set _ZL29rocblas_internal_gemmt_kernelIiLi16ELi32ELi8ELc78ELc67ELc85ELb0ELb1E19rocblas_complex_numIdES1_PKS1_PS1_EviT_T9_T10_S5_lS7_S5_lS6_T11_S5_li.has_indirect_call, 0
	.section	.AMDGPU.csdata,"",@progbits
; Kernel info:
; codeLenInByte = 3556
; TotalNumSgprs: 38
; NumVgprs: 127
; ScratchSize: 0
; MemoryBound: 1
; FloatMode: 240
; IeeeMode: 1
; LDSByteSize: 8192 bytes/workgroup (compile time only)
; SGPRBlocks: 0
; VGPRBlocks: 15
; NumSGPRsForWavesPerEU: 38
; NumVGPRsForWavesPerEU: 127
; Occupancy: 8
; WaveLimiterHint : 0
; COMPUTE_PGM_RSRC2:SCRATCH_EN: 0
; COMPUTE_PGM_RSRC2:USER_SGPR: 6
; COMPUTE_PGM_RSRC2:TRAP_HANDLER: 0
; COMPUTE_PGM_RSRC2:TGID_X_EN: 1
; COMPUTE_PGM_RSRC2:TGID_Y_EN: 1
; COMPUTE_PGM_RSRC2:TGID_Z_EN: 1
; COMPUTE_PGM_RSRC2:TIDIG_COMP_CNT: 1
	.section	.text._ZL29rocblas_internal_gemmt_kernelIiLi16ELi32ELi8ELc84ELc78ELc85ELb0ELb0E19rocblas_complex_numIdES1_PKS1_PS1_EviT_T9_T10_S5_lS7_S5_lS6_T11_S5_li,"axG",@progbits,_ZL29rocblas_internal_gemmt_kernelIiLi16ELi32ELi8ELc84ELc78ELc85ELb0ELb0E19rocblas_complex_numIdES1_PKS1_PS1_EviT_T9_T10_S5_lS7_S5_lS6_T11_S5_li,comdat
	.globl	_ZL29rocblas_internal_gemmt_kernelIiLi16ELi32ELi8ELc84ELc78ELc85ELb0ELb0E19rocblas_complex_numIdES1_PKS1_PS1_EviT_T9_T10_S5_lS7_S5_lS6_T11_S5_li ; -- Begin function _ZL29rocblas_internal_gemmt_kernelIiLi16ELi32ELi8ELc84ELc78ELc85ELb0ELb0E19rocblas_complex_numIdES1_PKS1_PS1_EviT_T9_T10_S5_lS7_S5_lS6_T11_S5_li
	.p2align	8
	.type	_ZL29rocblas_internal_gemmt_kernelIiLi16ELi32ELi8ELc84ELc78ELc85ELb0ELb0E19rocblas_complex_numIdES1_PKS1_PS1_EviT_T9_T10_S5_lS7_S5_lS6_T11_S5_li,@function
_ZL29rocblas_internal_gemmt_kernelIiLi16ELi32ELi8ELc84ELc78ELc85ELb0ELb0E19rocblas_complex_numIdES1_PKS1_PS1_EviT_T9_T10_S5_lS7_S5_lS6_T11_S5_li: ; @_ZL29rocblas_internal_gemmt_kernelIiLi16ELi32ELi8ELc84ELc78ELc85ELb0ELb0E19rocblas_complex_numIdES1_PKS1_PS1_EviT_T9_T10_S5_lS7_S5_lS6_T11_S5_li
; %bb.0:
	s_clause 0x2
	s_load_dwordx8 s[12:19], s[4:5], 0x40
	s_load_dwordx2 s[2:3], s[4:5], 0x0
	s_load_dwordx4 s[20:23], s[4:5], 0x8
	s_waitcnt lgkmcnt(0)
	v_cmp_eq_f64_e64 s0, s[14:15], 1.0
	v_cmp_eq_f64_e64 s9, s[16:17], 0
	s_and_b32 s0, s0, s9
	s_andn2_b32 vcc_lo, exec_lo, s0
	s_mov_b32 s0, -1
	s_cbranch_vccnz .LBB129_3
; %bb.1:
	s_cmp_lg_u32 s3, 0
	s_cbranch_scc0 .LBB129_31
; %bb.2:
	v_cmp_neq_f64_e64 s0, s[20:21], 0
	v_cmp_neq_f64_e64 s1, s[22:23], 0
	s_or_b32 s0, s0, s1
.LBB129_3:
	s_and_b32 vcc_lo, exec_lo, s0
	s_cbranch_vccz .LBB129_32
; %bb.4:
	v_cmp_eq_f64_e64 s0, s[20:21], 0
	v_cmp_eq_f64_e64 s1, s[22:23], 0
	s_lshl_b32 s6, s6, 5
	s_lshl_b32 s7, s7, 5
	v_mov_b32_e32 v22, 0
	v_mov_b32_e32 v24, 0
	;; [unrolled: 1-line block ×16, first 2 shown]
	s_mov_b32 s10, 0
	s_and_b32 s0, s0, s1
	s_cmp_lt_i32 s3, 1
	s_cselect_b32 s1, -1, 0
	s_or_b32 s0, s0, s1
	s_and_b32 vcc_lo, exec_lo, s0
	s_cbranch_vccnz .LBB129_15
; %bb.5:
	s_clause 0x1
	s_load_dword s0, s[4:5], 0x20
	s_load_dwordx2 s[28:29], s[4:5], 0x18
	v_lshl_add_u32 v2, v1, 4, v0
	s_clause 0x1
	s_load_dwordx4 s[24:27], s[4:5], 0x28
	s_load_dword s1, s[4:5], 0x38
	v_and_b32_e32 v26, 7, v0
	v_mov_b32_e32 v10, 0
	v_and_b32_e32 v4, 31, v2
	v_lshrrev_b32_e32 v3, 3, v2
	v_lshrrev_b32_e32 v29, 5, v2
	v_lshlrev_b32_e32 v6, 4, v26
	v_mov_b32_e32 v12, 0
	v_add_nc_u32_e32 v2, s6, v4
	v_add_nc_u32_e32 v5, s7, v3
	v_or_b32_e32 v7, s6, v4
	v_lshl_or_b32 v8, v3, 7, v6
	v_lshlrev_b32_e32 v4, 4, v4
	v_mov_b32_e32 v20, 0
	v_mov_b32_e32 v18, 0
	v_cmp_gt_i32_e32 vcc_lo, s2, v7
	s_waitcnt lgkmcnt(0)
	v_mad_i64_i32 v[2:3], null, s0, v2, 0
	v_lshl_or_b32 v30, v29, 9, v4
	v_cmp_gt_i32_e64 s0, s2, v5
	s_mul_i32 s11, s25, s8
	s_mul_hi_u32 s25, s24, s8
	v_mad_i64_i32 v[4:5], null, s1, v5, 0
	v_lshlrev_b64 v[2:3], 4, v[2:3]
	s_mul_i32 s24, s24, s8
	s_add_i32 s25, s25, s11
	v_add_nc_u32_e32 v31, 0x1000, v8
	s_lshl_b64 s[24:25], s[24:25], 4
	s_mul_hi_u32 s11, s12, s8
	v_add_co_u32 v7, s1, v2, s24
	v_add_co_ci_u32_e64 v8, null, s25, v3, s1
	s_mul_i32 s1, s13, s8
	v_lshlrev_b64 v[2:3], 4, v[4:5]
	s_add_i32 s13, s11, s1
	s_mul_i32 s12, s12, s8
	v_lshlrev_b32_e32 v4, 4, v29
	s_lshl_b64 s[12:13], s[12:13], 4
	v_mov_b32_e32 v16, 0
	v_add_co_u32 v2, s1, v2, s12
	v_add_co_ci_u32_e64 v3, null, s13, v3, s1
	v_add_co_u32 v4, s1, v7, v4
	v_add_co_ci_u32_e64 v5, null, 0, v8, s1
	;; [unrolled: 2-line block ×4, first 2 shown]
	v_add_co_u32 v8, s1, s26, v2
	v_mov_b32_e32 v14, 0
	v_mov_b32_e32 v24, 0
	;; [unrolled: 1-line block ×3, first 2 shown]
	v_lshlrev_b32_e32 v27, 4, v0
	v_lshl_add_u32 v28, v1, 7, 0x1000
	v_add_co_ci_u32_e64 v9, null, s27, v3, s1
	v_mov_b32_e32 v11, 0
	v_mov_b32_e32 v13, 0
	;; [unrolled: 1-line block ×9, first 2 shown]
	s_xor_b32 s1, vcc_lo, -1
	s_xor_b32 s0, s0, -1
	s_branch .LBB129_7
.LBB129_6:                              ;   in Loop: Header=BB129_7 Depth=1
	s_or_b32 exec_lo, exec_lo, s11
	s_waitcnt lgkmcnt(0)
	s_barrier
	buffer_gl0_inv
	ds_read_b128 v[32:35], v28
	ds_read_b128 v[36:39], v28 offset:16
	ds_read_b128 v[40:43], v28 offset:32
	;; [unrolled: 1-line block ×3, first 2 shown]
	ds_read_b128 v[48:51], v27
	v_add_co_u32 v6, vcc_lo, 0x80, v6
	v_add_co_ci_u32_e64 v7, null, 0, v7, vcc_lo
	v_add_co_u32 v8, vcc_lo, 0x80, v8
	v_add_co_ci_u32_e64 v9, null, 0, v9, vcc_lo
	s_add_i32 s10, s10, 8
	s_cmp_lt_i32 s10, s3
	s_waitcnt lgkmcnt(0)
	v_mul_f64 v[3:4], v[34:35], v[50:51]
	v_mul_f64 v[52:53], v[32:33], v[50:51]
	v_fma_f64 v[3:4], v[32:33], v[48:49], -v[3:4]
	v_fma_f64 v[52:53], v[34:35], v[48:49], v[52:53]
	v_add_f64 v[3:4], v[22:23], v[3:4]
	v_add_f64 v[52:53], v[52:53], v[24:25]
	ds_read_b128 v[22:25], v27 offset:256
	s_waitcnt lgkmcnt(0)
	v_mul_f64 v[54:55], v[34:35], v[24:25]
	v_fma_f64 v[54:55], v[32:33], v[22:23], -v[54:55]
	v_mul_f64 v[32:33], v[32:33], v[24:25]
	v_fma_f64 v[32:33], v[34:35], v[22:23], v[32:33]
	v_add_f64 v[34:35], v[14:15], v[54:55]
	v_add_f64 v[32:33], v[32:33], v[16:17]
	ds_read_b128 v[14:17], v28 offset:2048
	s_waitcnt lgkmcnt(0)
	v_mul_f64 v[54:55], v[16:17], v[50:51]
	v_mul_f64 v[50:51], v[14:15], v[50:51]
	v_fma_f64 v[54:55], v[14:15], v[48:49], -v[54:55]
	v_fma_f64 v[48:49], v[16:17], v[48:49], v[50:51]
	v_add_f64 v[50:51], v[18:19], v[54:55]
	v_mul_f64 v[18:19], v[16:17], v[24:25]
	v_add_f64 v[48:49], v[48:49], v[20:21]
	v_fma_f64 v[18:19], v[14:15], v[22:23], -v[18:19]
	v_mul_f64 v[14:15], v[14:15], v[24:25]
	v_fma_f64 v[14:15], v[16:17], v[22:23], v[14:15]
	v_add_f64 v[22:23], v[12:13], v[18:19]
	v_add_f64 v[24:25], v[14:15], v[10:11]
	ds_read_b128 v[10:13], v27 offset:512
	s_waitcnt lgkmcnt(0)
	v_mul_f64 v[14:15], v[38:39], v[12:13]
	v_mul_f64 v[16:17], v[36:37], v[12:13]
	v_fma_f64 v[14:15], v[36:37], v[10:11], -v[14:15]
	v_fma_f64 v[16:17], v[38:39], v[10:11], v[16:17]
	v_add_f64 v[3:4], v[3:4], v[14:15]
	v_add_f64 v[52:53], v[16:17], v[52:53]
	ds_read_b128 v[14:17], v27 offset:768
	s_waitcnt lgkmcnt(0)
	v_mul_f64 v[18:19], v[38:39], v[16:17]
	v_mul_f64 v[20:21], v[36:37], v[16:17]
	v_fma_f64 v[18:19], v[36:37], v[14:15], -v[18:19]
	;; [unrolled: 8-line block ×3, first 2 shown]
	v_fma_f64 v[10:11], v[20:21], v[10:11], v[12:13]
	v_mul_f64 v[12:13], v[18:19], v[16:17]
	v_add_f64 v[36:37], v[50:51], v[36:37]
	v_add_f64 v[38:39], v[10:11], v[48:49]
	v_mul_f64 v[10:11], v[20:21], v[16:17]
	v_fma_f64 v[12:13], v[20:21], v[14:15], v[12:13]
	v_fma_f64 v[10:11], v[18:19], v[14:15], -v[10:11]
	v_add_f64 v[24:25], v[12:13], v[24:25]
	v_add_f64 v[22:23], v[22:23], v[10:11]
	ds_read_b128 v[10:13], v27 offset:1024
	s_waitcnt lgkmcnt(0)
	v_mul_f64 v[14:15], v[42:43], v[12:13]
	v_mul_f64 v[16:17], v[40:41], v[12:13]
	v_fma_f64 v[14:15], v[40:41], v[10:11], -v[14:15]
	v_fma_f64 v[16:17], v[42:43], v[10:11], v[16:17]
	v_add_f64 v[3:4], v[3:4], v[14:15]
	v_add_f64 v[48:49], v[16:17], v[52:53]
	ds_read_b128 v[14:17], v27 offset:1280
	s_waitcnt lgkmcnt(0)
	v_mul_f64 v[18:19], v[42:43], v[16:17]
	v_mul_f64 v[20:21], v[40:41], v[16:17]
	v_fma_f64 v[18:19], v[40:41], v[14:15], -v[18:19]
	v_fma_f64 v[20:21], v[42:43], v[14:15], v[20:21]
	;; [unrolled: 8-line block ×3, first 2 shown]
	v_mul_f64 v[12:13], v[18:19], v[16:17]
	v_add_f64 v[36:37], v[36:37], v[40:41]
	v_add_f64 v[38:39], v[10:11], v[38:39]
	v_mul_f64 v[10:11], v[20:21], v[16:17]
	v_fma_f64 v[12:13], v[20:21], v[14:15], v[12:13]
	v_fma_f64 v[10:11], v[18:19], v[14:15], -v[10:11]
	v_add_f64 v[24:25], v[12:13], v[24:25]
	v_add_f64 v[22:23], v[22:23], v[10:11]
	ds_read_b128 v[10:13], v27 offset:1536
	s_waitcnt lgkmcnt(0)
	v_mul_f64 v[14:15], v[46:47], v[12:13]
	v_mul_f64 v[16:17], v[44:45], v[12:13]
	v_fma_f64 v[14:15], v[44:45], v[10:11], -v[14:15]
	v_fma_f64 v[16:17], v[46:47], v[10:11], v[16:17]
	v_add_f64 v[3:4], v[3:4], v[14:15]
	v_add_f64 v[40:41], v[16:17], v[48:49]
	ds_read_b128 v[14:17], v27 offset:1792
	s_waitcnt lgkmcnt(0)
	v_mul_f64 v[18:19], v[46:47], v[16:17]
	v_mul_f64 v[20:21], v[44:45], v[16:17]
	v_fma_f64 v[18:19], v[44:45], v[14:15], -v[18:19]
	v_fma_f64 v[20:21], v[46:47], v[14:15], v[20:21]
	;; [unrolled: 8-line block ×3, first 2 shown]
	v_mul_f64 v[12:13], v[18:19], v[16:17]
	v_add_f64 v[36:37], v[36:37], v[42:43]
	v_add_f64 v[38:39], v[10:11], v[38:39]
	v_mul_f64 v[10:11], v[20:21], v[16:17]
	v_fma_f64 v[12:13], v[20:21], v[14:15], v[12:13]
	v_fma_f64 v[10:11], v[18:19], v[14:15], -v[10:11]
	v_add_f64 v[24:25], v[12:13], v[24:25]
	v_add_f64 v[22:23], v[22:23], v[10:11]
	ds_read_b128 v[10:13], v28 offset:64
	ds_read_b128 v[14:17], v27 offset:2048
	s_waitcnt lgkmcnt(0)
	v_mul_f64 v[18:19], v[12:13], v[16:17]
	v_mul_f64 v[20:21], v[10:11], v[16:17]
	v_fma_f64 v[18:19], v[10:11], v[14:15], -v[18:19]
	v_fma_f64 v[20:21], v[12:13], v[14:15], v[20:21]
	v_add_f64 v[3:4], v[3:4], v[18:19]
	v_add_f64 v[40:41], v[20:21], v[40:41]
	ds_read_b128 v[18:21], v27 offset:2304
	s_waitcnt lgkmcnt(0)
	v_mul_f64 v[42:43], v[12:13], v[20:21]
	v_fma_f64 v[42:43], v[10:11], v[18:19], -v[42:43]
	v_mul_f64 v[10:11], v[10:11], v[20:21]
	v_add_f64 v[34:35], v[34:35], v[42:43]
	v_fma_f64 v[10:11], v[12:13], v[18:19], v[10:11]
	v_add_f64 v[32:33], v[10:11], v[32:33]
	ds_read_b128 v[10:13], v28 offset:2112
	s_waitcnt lgkmcnt(0)
	v_mul_f64 v[42:43], v[12:13], v[16:17]
	v_mul_f64 v[16:17], v[10:11], v[16:17]
	v_fma_f64 v[42:43], v[10:11], v[14:15], -v[42:43]
	v_fma_f64 v[14:15], v[12:13], v[14:15], v[16:17]
	v_add_f64 v[36:37], v[36:37], v[42:43]
	v_add_f64 v[38:39], v[14:15], v[38:39]
	v_mul_f64 v[14:15], v[12:13], v[20:21]
	v_fma_f64 v[14:15], v[10:11], v[18:19], -v[14:15]
	v_mul_f64 v[10:11], v[10:11], v[20:21]
	v_add_f64 v[22:23], v[22:23], v[14:15]
	v_fma_f64 v[10:11], v[12:13], v[18:19], v[10:11]
	v_add_f64 v[24:25], v[10:11], v[24:25]
	ds_read_b128 v[10:13], v28 offset:80
	ds_read_b128 v[14:17], v27 offset:2560
	s_waitcnt lgkmcnt(0)
	v_mul_f64 v[18:19], v[12:13], v[16:17]
	v_mul_f64 v[20:21], v[10:11], v[16:17]
	v_fma_f64 v[18:19], v[10:11], v[14:15], -v[18:19]
	v_fma_f64 v[20:21], v[12:13], v[14:15], v[20:21]
	v_add_f64 v[3:4], v[3:4], v[18:19]
	v_add_f64 v[40:41], v[20:21], v[40:41]
	ds_read_b128 v[18:21], v27 offset:2816
	s_waitcnt lgkmcnt(0)
	v_mul_f64 v[42:43], v[12:13], v[20:21]
	v_fma_f64 v[42:43], v[10:11], v[18:19], -v[42:43]
	v_mul_f64 v[10:11], v[10:11], v[20:21]
	v_add_f64 v[34:35], v[34:35], v[42:43]
	v_fma_f64 v[10:11], v[12:13], v[18:19], v[10:11]
	v_add_f64 v[32:33], v[10:11], v[32:33]
	ds_read_b128 v[10:13], v28 offset:2128
	s_waitcnt lgkmcnt(0)
	v_mul_f64 v[42:43], v[12:13], v[16:17]
	v_mul_f64 v[16:17], v[10:11], v[16:17]
	v_fma_f64 v[42:43], v[10:11], v[14:15], -v[42:43]
	v_fma_f64 v[14:15], v[12:13], v[14:15], v[16:17]
	v_add_f64 v[36:37], v[36:37], v[42:43]
	v_add_f64 v[38:39], v[14:15], v[38:39]
	v_mul_f64 v[14:15], v[12:13], v[20:21]
	v_fma_f64 v[14:15], v[10:11], v[18:19], -v[14:15]
	v_mul_f64 v[10:11], v[10:11], v[20:21]
	v_add_f64 v[22:23], v[22:23], v[14:15]
	v_fma_f64 v[10:11], v[12:13], v[18:19], v[10:11]
	;; [unrolled: 31-line block ×3, first 2 shown]
	v_add_f64 v[48:49], v[10:11], v[24:25]
	ds_read_b128 v[10:13], v28 offset:112
	ds_read_b128 v[18:21], v27 offset:3584
	;; [unrolled: 1-line block ×3, first 2 shown]
	s_waitcnt lgkmcnt(1)
	v_mul_f64 v[14:15], v[12:13], v[20:21]
	v_mul_f64 v[16:17], v[10:11], v[20:21]
	v_fma_f64 v[14:15], v[10:11], v[18:19], -v[14:15]
	v_fma_f64 v[16:17], v[12:13], v[18:19], v[16:17]
	v_add_f64 v[22:23], v[3:4], v[14:15]
	s_waitcnt lgkmcnt(0)
	v_mul_f64 v[3:4], v[12:13], v[34:35]
	v_add_f64 v[24:25], v[16:17], v[40:41]
	v_fma_f64 v[3:4], v[10:11], v[32:33], -v[3:4]
	v_mul_f64 v[10:11], v[10:11], v[34:35]
	v_add_f64 v[14:15], v[42:43], v[3:4]
	v_fma_f64 v[10:11], v[12:13], v[32:33], v[10:11]
	v_add_f64 v[16:17], v[10:11], v[44:45]
	ds_read_b128 v[10:13], v28 offset:2160
	s_waitcnt lgkmcnt(0)
	s_barrier
	buffer_gl0_inv
	v_mul_f64 v[3:4], v[12:13], v[20:21]
	v_mul_f64 v[20:21], v[10:11], v[20:21]
	v_fma_f64 v[3:4], v[10:11], v[18:19], -v[3:4]
	v_fma_f64 v[20:21], v[12:13], v[18:19], v[20:21]
	v_add_f64 v[18:19], v[36:37], v[3:4]
	v_mul_f64 v[3:4], v[12:13], v[34:35]
	v_add_f64 v[20:21], v[20:21], v[38:39]
	v_fma_f64 v[3:4], v[10:11], v[32:33], -v[3:4]
	v_mul_f64 v[10:11], v[10:11], v[34:35]
	v_fma_f64 v[10:11], v[12:13], v[32:33], v[10:11]
	v_add_f64 v[12:13], v[46:47], v[3:4]
	v_add_f64 v[10:11], v[10:11], v[48:49]
	s_cbranch_scc0 .LBB129_15
.LBB129_7:                              ; =>This Inner Loop Header: Depth=1
	v_add_nc_u32_e32 v3, s10, v29
	v_cmp_le_i32_e32 vcc_lo, s3, v3
	s_or_b32 s11, s1, vcc_lo
	s_and_saveexec_b32 s12, s11
	s_xor_b32 s11, exec_lo, s12
	s_cbranch_execz .LBB129_9
; %bb.8:                                ;   in Loop: Header=BB129_7 Depth=1
	v_mov_b32_e32 v3, v2
	v_mov_b32_e32 v4, v2
	;; [unrolled: 1-line block ×3, first 2 shown]
	ds_write_b128 v30, v[2:5]
.LBB129_9:                              ;   in Loop: Header=BB129_7 Depth=1
	s_andn2_saveexec_b32 s11, s11
	s_cbranch_execz .LBB129_11
; %bb.10:                               ;   in Loop: Header=BB129_7 Depth=1
	global_load_dwordx4 v[32:35], v[6:7], off
	s_waitcnt vmcnt(0)
	ds_write2_b64 v30, v[32:33], v[34:35] offset1:1
.LBB129_11:                             ;   in Loop: Header=BB129_7 Depth=1
	s_or_b32 exec_lo, exec_lo, s11
	v_add_nc_u32_e32 v3, s10, v26
	v_cmp_le_i32_e32 vcc_lo, s3, v3
	s_or_b32 s11, vcc_lo, s0
	s_and_saveexec_b32 s12, s11
	s_xor_b32 s11, exec_lo, s12
	s_cbranch_execz .LBB129_13
; %bb.12:                               ;   in Loop: Header=BB129_7 Depth=1
	v_mov_b32_e32 v3, v2
	v_mov_b32_e32 v4, v2
	;; [unrolled: 1-line block ×3, first 2 shown]
	ds_write_b128 v31, v[2:5]
.LBB129_13:                             ;   in Loop: Header=BB129_7 Depth=1
	s_andn2_saveexec_b32 s11, s11
	s_cbranch_execz .LBB129_6
; %bb.14:                               ;   in Loop: Header=BB129_7 Depth=1
	global_load_dwordx4 v[32:35], v[8:9], off
	s_waitcnt vmcnt(0)
	ds_write2_b64 v31, v[32:33], v[34:35] offset1:1
	s_branch .LBB129_6
.LBB129_15:
	s_clause 0x1
	s_load_dword s3, s[4:5], 0x60
	s_load_dwordx2 s[4:5], s[4:5], 0x68
	v_cmp_neq_f64_e64 s10, s[14:15], 0
	v_add_nc_u32_e32 v27, s7, v1
	v_add_nc_u32_e32 v4, s6, v0
	v_cmp_gt_i32_e64 s0, s2, v27
	v_cmp_le_i32_e32 vcc_lo, v4, v27
	v_ashrrev_i32_e32 v5, 31, v4
	s_waitcnt lgkmcnt(0)
	v_mad_i64_i32 v[0:1], null, v27, s3, 0
	s_mul_i32 s1, s5, s8
	s_mul_hi_u32 s5, s4, s8
	s_mul_i32 s4, s4, s8
	s_add_i32 s5, s5, s1
	s_lshl_b64 s[4:5], s[4:5], 4
	v_lshlrev_b64 v[0:1], 4, v[0:1]
	s_add_u32 s4, s18, s4
	s_addc_u32 s5, s19, s5
	s_xor_b32 s6, s9, -1
	s_and_b32 s7, s0, vcc_lo
	s_or_b32 s6, s10, s6
	v_add_co_u32 v8, s1, s4, v0
	v_add_co_ci_u32_e64 v9, null, s5, v1, s1
	v_cndmask_b32_e64 v26, 0, 1, s6
	s_and_saveexec_b32 s1, s7
	s_cbranch_execz .LBB129_19
; %bb.16:
	v_mul_f64 v[0:1], s[22:23], v[24:25]
	v_mul_f64 v[2:3], s[20:21], v[24:25]
	v_lshlrev_b64 v[6:7], 4, v[4:5]
	v_add_co_u32 v6, vcc_lo, v8, v6
	v_add_co_ci_u32_e64 v7, null, v9, v7, vcc_lo
	s_andn2_b32 vcc_lo, exec_lo, s6
	v_fma_f64 v[0:1], s[20:21], v[22:23], -v[0:1]
	v_fma_f64 v[2:3], s[22:23], v[22:23], v[2:3]
	s_cbranch_vccnz .LBB129_18
; %bb.17:
	global_load_dwordx4 v[22:25], v[6:7], off
	s_waitcnt vmcnt(0)
	v_mul_f64 v[28:29], s[16:17], v[24:25]
	v_mul_f64 v[24:25], s[14:15], v[24:25]
	v_fma_f64 v[28:29], s[14:15], v[22:23], -v[28:29]
	v_fma_f64 v[22:23], s[16:17], v[22:23], v[24:25]
	v_add_f64 v[0:1], v[0:1], v[28:29]
	v_add_f64 v[2:3], v[2:3], v[22:23]
.LBB129_18:
	global_store_dwordx4 v[6:7], v[0:3], off
.LBB129_19:
	s_or_b32 exec_lo, exec_lo, s1
	v_add_nc_u32_e32 v6, 16, v4
	v_cmp_le_i32_e32 vcc_lo, v6, v27
	v_ashrrev_i32_e32 v7, 31, v6
	s_and_b32 s0, s0, vcc_lo
	s_and_saveexec_b32 s1, s0
	s_cbranch_execz .LBB129_23
; %bb.20:
	v_mul_f64 v[0:1], s[22:23], v[16:17]
	v_mul_f64 v[2:3], s[20:21], v[16:17]
	v_cmp_ne_u32_e32 vcc_lo, 1, v26
	s_and_b32 vcc_lo, exec_lo, vcc_lo
	v_fma_f64 v[0:1], s[20:21], v[14:15], -v[0:1]
	v_fma_f64 v[2:3], s[22:23], v[14:15], v[2:3]
	v_lshlrev_b64 v[14:15], 4, v[6:7]
	v_add_co_u32 v8, s0, v8, v14
	v_add_co_ci_u32_e64 v9, null, v9, v15, s0
	s_cbranch_vccnz .LBB129_22
; %bb.21:
	global_load_dwordx4 v[14:17], v[8:9], off
	s_waitcnt vmcnt(0)
	v_mul_f64 v[22:23], s[16:17], v[16:17]
	v_mul_f64 v[16:17], s[14:15], v[16:17]
	v_fma_f64 v[22:23], s[14:15], v[14:15], -v[22:23]
	v_fma_f64 v[14:15], s[16:17], v[14:15], v[16:17]
	v_add_f64 v[0:1], v[0:1], v[22:23]
	v_add_f64 v[2:3], v[2:3], v[14:15]
.LBB129_22:
	global_store_dwordx4 v[8:9], v[0:3], off
.LBB129_23:
	s_or_b32 exec_lo, exec_lo, s1
	v_add_nc_u32_e32 v14, 16, v27
	v_mad_i64_i32 v[0:1], null, v14, s3, 0
	v_cmp_gt_i32_e64 s0, s2, v14
	v_cmp_le_i32_e32 vcc_lo, v4, v14
	v_lshlrev_b64 v[0:1], 4, v[0:1]
	v_add_co_u32 v8, s1, s4, v0
	v_add_co_ci_u32_e64 v9, null, s5, v1, s1
	s_and_b32 s1, s0, vcc_lo
	s_and_saveexec_b32 s2, s1
	s_cbranch_execz .LBB129_27
; %bb.24:
	v_mul_f64 v[0:1], s[22:23], v[20:21]
	v_mul_f64 v[2:3], s[20:21], v[20:21]
	v_lshlrev_b64 v[4:5], 4, v[4:5]
	v_cmp_ne_u32_e32 vcc_lo, 1, v26
	s_and_b32 vcc_lo, exec_lo, vcc_lo
	v_add_co_u32 v4, s1, v8, v4
	v_add_co_ci_u32_e64 v5, null, v9, v5, s1
	v_fma_f64 v[0:1], s[20:21], v[18:19], -v[0:1]
	v_fma_f64 v[2:3], s[22:23], v[18:19], v[2:3]
	s_cbranch_vccnz .LBB129_26
; %bb.25:
	global_load_dwordx4 v[15:18], v[4:5], off
	s_waitcnt vmcnt(0)
	v_mul_f64 v[19:20], s[16:17], v[17:18]
	v_mul_f64 v[17:18], s[14:15], v[17:18]
	v_fma_f64 v[19:20], s[14:15], v[15:16], -v[19:20]
	v_fma_f64 v[15:16], s[16:17], v[15:16], v[17:18]
	v_add_f64 v[0:1], v[0:1], v[19:20]
	v_add_f64 v[2:3], v[2:3], v[15:16]
.LBB129_26:
	global_store_dwordx4 v[4:5], v[0:3], off
.LBB129_27:
	s_or_b32 exec_lo, exec_lo, s2
	v_cmp_le_i32_e32 vcc_lo, v6, v14
	s_and_b32 s0, s0, vcc_lo
	s_and_saveexec_b32 s1, s0
	s_cbranch_execz .LBB129_32
; %bb.28:
	v_mul_f64 v[0:1], s[22:23], v[10:11]
	v_mul_f64 v[2:3], s[20:21], v[10:11]
	v_lshlrev_b64 v[4:5], 4, v[6:7]
	v_cmp_ne_u32_e32 vcc_lo, 1, v26
	s_and_b32 vcc_lo, exec_lo, vcc_lo
	v_add_co_u32 v4, s0, v8, v4
	v_add_co_ci_u32_e64 v5, null, v9, v5, s0
	v_fma_f64 v[0:1], s[20:21], v[12:13], -v[0:1]
	v_fma_f64 v[2:3], s[22:23], v[12:13], v[2:3]
	s_cbranch_vccnz .LBB129_30
; %bb.29:
	global_load_dwordx4 v[6:9], v[4:5], off
	s_waitcnt vmcnt(0)
	v_mul_f64 v[10:11], s[16:17], v[8:9]
	v_mul_f64 v[8:9], s[14:15], v[8:9]
	v_fma_f64 v[10:11], s[14:15], v[6:7], -v[10:11]
	v_fma_f64 v[6:7], s[16:17], v[6:7], v[8:9]
	v_add_f64 v[0:1], v[0:1], v[10:11]
	v_add_f64 v[2:3], v[2:3], v[6:7]
.LBB129_30:
	global_store_dwordx4 v[4:5], v[0:3], off
	s_endpgm
.LBB129_31:
.LBB129_32:
	s_endpgm
	.section	.rodata,"a",@progbits
	.p2align	6, 0x0
	.amdhsa_kernel _ZL29rocblas_internal_gemmt_kernelIiLi16ELi32ELi8ELc84ELc78ELc85ELb0ELb0E19rocblas_complex_numIdES1_PKS1_PS1_EviT_T9_T10_S5_lS7_S5_lS6_T11_S5_li
		.amdhsa_group_segment_fixed_size 8192
		.amdhsa_private_segment_fixed_size 0
		.amdhsa_kernarg_size 116
		.amdhsa_user_sgpr_count 6
		.amdhsa_user_sgpr_private_segment_buffer 1
		.amdhsa_user_sgpr_dispatch_ptr 0
		.amdhsa_user_sgpr_queue_ptr 0
		.amdhsa_user_sgpr_kernarg_segment_ptr 1
		.amdhsa_user_sgpr_dispatch_id 0
		.amdhsa_user_sgpr_flat_scratch_init 0
		.amdhsa_user_sgpr_private_segment_size 0
		.amdhsa_wavefront_size32 1
		.amdhsa_uses_dynamic_stack 0
		.amdhsa_system_sgpr_private_segment_wavefront_offset 0
		.amdhsa_system_sgpr_workgroup_id_x 1
		.amdhsa_system_sgpr_workgroup_id_y 1
		.amdhsa_system_sgpr_workgroup_id_z 1
		.amdhsa_system_sgpr_workgroup_info 0
		.amdhsa_system_vgpr_workitem_id 1
		.amdhsa_next_free_vgpr 56
		.amdhsa_next_free_sgpr 30
		.amdhsa_reserve_vcc 1
		.amdhsa_reserve_flat_scratch 0
		.amdhsa_float_round_mode_32 0
		.amdhsa_float_round_mode_16_64 0
		.amdhsa_float_denorm_mode_32 3
		.amdhsa_float_denorm_mode_16_64 3
		.amdhsa_dx10_clamp 1
		.amdhsa_ieee_mode 1
		.amdhsa_fp16_overflow 0
		.amdhsa_workgroup_processor_mode 1
		.amdhsa_memory_ordered 1
		.amdhsa_forward_progress 1
		.amdhsa_shared_vgpr_count 0
		.amdhsa_exception_fp_ieee_invalid_op 0
		.amdhsa_exception_fp_denorm_src 0
		.amdhsa_exception_fp_ieee_div_zero 0
		.amdhsa_exception_fp_ieee_overflow 0
		.amdhsa_exception_fp_ieee_underflow 0
		.amdhsa_exception_fp_ieee_inexact 0
		.amdhsa_exception_int_div_zero 0
	.end_amdhsa_kernel
	.section	.text._ZL29rocblas_internal_gemmt_kernelIiLi16ELi32ELi8ELc84ELc78ELc85ELb0ELb0E19rocblas_complex_numIdES1_PKS1_PS1_EviT_T9_T10_S5_lS7_S5_lS6_T11_S5_li,"axG",@progbits,_ZL29rocblas_internal_gemmt_kernelIiLi16ELi32ELi8ELc84ELc78ELc85ELb0ELb0E19rocblas_complex_numIdES1_PKS1_PS1_EviT_T9_T10_S5_lS7_S5_lS6_T11_S5_li,comdat
.Lfunc_end129:
	.size	_ZL29rocblas_internal_gemmt_kernelIiLi16ELi32ELi8ELc84ELc78ELc85ELb0ELb0E19rocblas_complex_numIdES1_PKS1_PS1_EviT_T9_T10_S5_lS7_S5_lS6_T11_S5_li, .Lfunc_end129-_ZL29rocblas_internal_gemmt_kernelIiLi16ELi32ELi8ELc84ELc78ELc85ELb0ELb0E19rocblas_complex_numIdES1_PKS1_PS1_EviT_T9_T10_S5_lS7_S5_lS6_T11_S5_li
                                        ; -- End function
	.set _ZL29rocblas_internal_gemmt_kernelIiLi16ELi32ELi8ELc84ELc78ELc85ELb0ELb0E19rocblas_complex_numIdES1_PKS1_PS1_EviT_T9_T10_S5_lS7_S5_lS6_T11_S5_li.num_vgpr, 56
	.set _ZL29rocblas_internal_gemmt_kernelIiLi16ELi32ELi8ELc84ELc78ELc85ELb0ELb0E19rocblas_complex_numIdES1_PKS1_PS1_EviT_T9_T10_S5_lS7_S5_lS6_T11_S5_li.num_agpr, 0
	.set _ZL29rocblas_internal_gemmt_kernelIiLi16ELi32ELi8ELc84ELc78ELc85ELb0ELb0E19rocblas_complex_numIdES1_PKS1_PS1_EviT_T9_T10_S5_lS7_S5_lS6_T11_S5_li.numbered_sgpr, 30
	.set _ZL29rocblas_internal_gemmt_kernelIiLi16ELi32ELi8ELc84ELc78ELc85ELb0ELb0E19rocblas_complex_numIdES1_PKS1_PS1_EviT_T9_T10_S5_lS7_S5_lS6_T11_S5_li.num_named_barrier, 0
	.set _ZL29rocblas_internal_gemmt_kernelIiLi16ELi32ELi8ELc84ELc78ELc85ELb0ELb0E19rocblas_complex_numIdES1_PKS1_PS1_EviT_T9_T10_S5_lS7_S5_lS6_T11_S5_li.private_seg_size, 0
	.set _ZL29rocblas_internal_gemmt_kernelIiLi16ELi32ELi8ELc84ELc78ELc85ELb0ELb0E19rocblas_complex_numIdES1_PKS1_PS1_EviT_T9_T10_S5_lS7_S5_lS6_T11_S5_li.uses_vcc, 1
	.set _ZL29rocblas_internal_gemmt_kernelIiLi16ELi32ELi8ELc84ELc78ELc85ELb0ELb0E19rocblas_complex_numIdES1_PKS1_PS1_EviT_T9_T10_S5_lS7_S5_lS6_T11_S5_li.uses_flat_scratch, 0
	.set _ZL29rocblas_internal_gemmt_kernelIiLi16ELi32ELi8ELc84ELc78ELc85ELb0ELb0E19rocblas_complex_numIdES1_PKS1_PS1_EviT_T9_T10_S5_lS7_S5_lS6_T11_S5_li.has_dyn_sized_stack, 0
	.set _ZL29rocblas_internal_gemmt_kernelIiLi16ELi32ELi8ELc84ELc78ELc85ELb0ELb0E19rocblas_complex_numIdES1_PKS1_PS1_EviT_T9_T10_S5_lS7_S5_lS6_T11_S5_li.has_recursion, 0
	.set _ZL29rocblas_internal_gemmt_kernelIiLi16ELi32ELi8ELc84ELc78ELc85ELb0ELb0E19rocblas_complex_numIdES1_PKS1_PS1_EviT_T9_T10_S5_lS7_S5_lS6_T11_S5_li.has_indirect_call, 0
	.section	.AMDGPU.csdata,"",@progbits
; Kernel info:
; codeLenInByte = 3536
; TotalNumSgprs: 32
; NumVgprs: 56
; ScratchSize: 0
; MemoryBound: 0
; FloatMode: 240
; IeeeMode: 1
; LDSByteSize: 8192 bytes/workgroup (compile time only)
; SGPRBlocks: 0
; VGPRBlocks: 6
; NumSGPRsForWavesPerEU: 32
; NumVGPRsForWavesPerEU: 56
; Occupancy: 16
; WaveLimiterHint : 0
; COMPUTE_PGM_RSRC2:SCRATCH_EN: 0
; COMPUTE_PGM_RSRC2:USER_SGPR: 6
; COMPUTE_PGM_RSRC2:TRAP_HANDLER: 0
; COMPUTE_PGM_RSRC2:TGID_X_EN: 1
; COMPUTE_PGM_RSRC2:TGID_Y_EN: 1
; COMPUTE_PGM_RSRC2:TGID_Z_EN: 1
; COMPUTE_PGM_RSRC2:TIDIG_COMP_CNT: 1
	.section	.text._ZL29rocblas_internal_gemmt_kernelIiLi16ELi32ELi8ELc84ELc84ELc85ELb0ELb0E19rocblas_complex_numIdES1_PKS1_PS1_EviT_T9_T10_S5_lS7_S5_lS6_T11_S5_li,"axG",@progbits,_ZL29rocblas_internal_gemmt_kernelIiLi16ELi32ELi8ELc84ELc84ELc85ELb0ELb0E19rocblas_complex_numIdES1_PKS1_PS1_EviT_T9_T10_S5_lS7_S5_lS6_T11_S5_li,comdat
	.globl	_ZL29rocblas_internal_gemmt_kernelIiLi16ELi32ELi8ELc84ELc84ELc85ELb0ELb0E19rocblas_complex_numIdES1_PKS1_PS1_EviT_T9_T10_S5_lS7_S5_lS6_T11_S5_li ; -- Begin function _ZL29rocblas_internal_gemmt_kernelIiLi16ELi32ELi8ELc84ELc84ELc85ELb0ELb0E19rocblas_complex_numIdES1_PKS1_PS1_EviT_T9_T10_S5_lS7_S5_lS6_T11_S5_li
	.p2align	8
	.type	_ZL29rocblas_internal_gemmt_kernelIiLi16ELi32ELi8ELc84ELc84ELc85ELb0ELb0E19rocblas_complex_numIdES1_PKS1_PS1_EviT_T9_T10_S5_lS7_S5_lS6_T11_S5_li,@function
_ZL29rocblas_internal_gemmt_kernelIiLi16ELi32ELi8ELc84ELc84ELc85ELb0ELb0E19rocblas_complex_numIdES1_PKS1_PS1_EviT_T9_T10_S5_lS7_S5_lS6_T11_S5_li: ; @_ZL29rocblas_internal_gemmt_kernelIiLi16ELi32ELi8ELc84ELc84ELc85ELb0ELb0E19rocblas_complex_numIdES1_PKS1_PS1_EviT_T9_T10_S5_lS7_S5_lS6_T11_S5_li
; %bb.0:
	s_clause 0x2
	s_load_dwordx8 s[12:19], s[4:5], 0x40
	s_load_dwordx2 s[2:3], s[4:5], 0x0
	s_load_dwordx4 s[20:23], s[4:5], 0x8
	s_waitcnt lgkmcnt(0)
	v_cmp_eq_f64_e64 s0, s[14:15], 1.0
	v_cmp_eq_f64_e64 s9, s[16:17], 0
	s_and_b32 s0, s0, s9
	s_andn2_b32 vcc_lo, exec_lo, s0
	s_mov_b32 s0, -1
	s_cbranch_vccnz .LBB130_3
; %bb.1:
	s_cmp_lg_u32 s3, 0
	s_cbranch_scc0 .LBB130_31
; %bb.2:
	v_cmp_neq_f64_e64 s0, s[20:21], 0
	v_cmp_neq_f64_e64 s1, s[22:23], 0
	s_or_b32 s0, s0, s1
.LBB130_3:
	s_and_b32 vcc_lo, exec_lo, s0
	s_cbranch_vccz .LBB130_32
; %bb.4:
	v_cmp_eq_f64_e64 s0, s[20:21], 0
	v_cmp_eq_f64_e64 s1, s[22:23], 0
	s_lshl_b32 s10, s6, 5
	s_lshl_b32 s11, s7, 5
	v_mov_b32_e32 v22, 0
	v_mov_b32_e32 v24, 0
	;; [unrolled: 1-line block ×16, first 2 shown]
	s_mov_b32 s28, 0
	s_and_b32 s0, s0, s1
	s_cmp_lt_i32 s3, 1
	s_cselect_b32 s1, -1, 0
	s_or_b32 s0, s0, s1
	s_and_b32 vcc_lo, exec_lo, s0
	s_cbranch_vccnz .LBB130_15
; %bb.5:
	s_clause 0x1
	s_load_dword s0, s[4:5], 0x20
	s_load_dwordx2 s[30:31], s[4:5], 0x18
	v_lshl_add_u32 v2, v1, 4, v0
	s_clause 0x1
	s_load_dwordx4 s[24:27], s[4:5], 0x28
	s_load_dword s6, s[4:5], 0x38
	v_and_b32_e32 v26, 7, v0
	v_mov_b32_e32 v10, 0
	v_mov_b32_e32 v12, 0
	v_and_b32_e32 v3, 31, v2
	v_lshrrev_b32_e32 v4, 3, v2
	v_lshlrev_b32_e32 v5, 4, v26
	v_lshrrev_b32_e32 v29, 5, v2
	v_mov_b32_e32 v20, 0
	v_or_b32_e32 v6, s10, v3
	v_lshlrev_b32_e32 v7, 4, v3
	v_add_nc_u32_e32 v3, s10, v3
	v_add_nc_u32_e32 v2, s11, v4
	v_lshl_or_b32 v8, v4, 7, v5
	v_cmp_gt_i32_e32 vcc_lo, s2, v6
	v_lshl_or_b32 v30, v29, 9, v7
	v_mov_b32_e32 v18, 0
	s_waitcnt lgkmcnt(0)
	v_mad_i64_i32 v[4:5], null, s0, v3, 0
	s_mul_i32 s1, s25, s8
	s_mul_hi_u32 s25, s24, s8
	v_mad_i64_i32 v[6:7], null, s6, v26, 0
	s_mul_i32 s24, s24, s8
	s_add_i32 s25, s25, s1
	v_lshlrev_b64 v[4:5], 4, v[4:5]
	s_lshl_b64 s[24:25], s[24:25], 4
	v_add_nc_u32_e32 v31, 0x1000, v8
	v_ashrrev_i32_e32 v3, 31, v2
	v_cmp_gt_i32_e64 s0, s2, v2
	v_mov_b32_e32 v16, 0
	v_add_co_u32 v8, s1, v4, s24
	v_add_co_ci_u32_e64 v9, null, s25, v5, s1
	s_mul_i32 s1, s13, s8
	s_mul_hi_u32 s13, s12, s8
	v_lshlrev_b64 v[4:5], 4, v[6:7]
	s_add_i32 s13, s13, s1
	s_mul_i32 s12, s12, s8
	v_lshlrev_b32_e32 v6, 4, v29
	s_lshl_b64 s[12:13], s[12:13], 4
	v_lshlrev_b64 v[2:3], 4, v[2:3]
	v_add_co_u32 v4, s1, s12, v4
	v_add_co_ci_u32_e64 v5, null, s13, v5, s1
	v_add_co_u32 v6, s1, v8, v6
	v_add_co_ci_u32_e64 v7, null, 0, v9, s1
	;; [unrolled: 2-line block ×4, first 2 shown]
	v_add_co_u32 v8, s1, s26, v2
	v_mov_b32_e32 v14, 0
	v_mov_b32_e32 v24, 0
	;; [unrolled: 1-line block ×3, first 2 shown]
	v_lshlrev_b32_e32 v27, 4, v0
	v_lshl_add_u32 v28, v1, 7, 0x1000
	v_add_co_ci_u32_e64 v9, null, s27, v3, s1
	v_mov_b32_e32 v11, 0
	v_mov_b32_e32 v13, 0
	;; [unrolled: 1-line block ×9, first 2 shown]
	s_ashr_i32 s7, s6, 31
	s_xor_b32 s1, vcc_lo, -1
	s_lshl_b64 s[6:7], s[6:7], 7
	s_xor_b32 s0, s0, -1
	s_branch .LBB130_7
.LBB130_6:                              ;   in Loop: Header=BB130_7 Depth=1
	s_or_b32 exec_lo, exec_lo, s12
	s_waitcnt lgkmcnt(0)
	s_barrier
	buffer_gl0_inv
	ds_read_b128 v[32:35], v28
	ds_read_b128 v[36:39], v28 offset:16
	ds_read_b128 v[40:43], v28 offset:32
	;; [unrolled: 1-line block ×3, first 2 shown]
	ds_read_b128 v[48:51], v27
	v_add_co_u32 v6, vcc_lo, 0x80, v6
	v_add_co_ci_u32_e64 v7, null, 0, v7, vcc_lo
	v_add_co_u32 v8, vcc_lo, v8, s6
	v_add_co_ci_u32_e64 v9, null, s7, v9, vcc_lo
	s_add_i32 s28, s28, 8
	s_cmp_lt_i32 s28, s3
	s_waitcnt lgkmcnt(0)
	v_mul_f64 v[3:4], v[34:35], v[50:51]
	v_mul_f64 v[52:53], v[32:33], v[50:51]
	v_fma_f64 v[3:4], v[32:33], v[48:49], -v[3:4]
	v_fma_f64 v[52:53], v[34:35], v[48:49], v[52:53]
	v_add_f64 v[3:4], v[22:23], v[3:4]
	v_add_f64 v[52:53], v[52:53], v[24:25]
	ds_read_b128 v[22:25], v27 offset:256
	s_waitcnt lgkmcnt(0)
	v_mul_f64 v[54:55], v[34:35], v[24:25]
	v_fma_f64 v[54:55], v[32:33], v[22:23], -v[54:55]
	v_mul_f64 v[32:33], v[32:33], v[24:25]
	v_fma_f64 v[32:33], v[34:35], v[22:23], v[32:33]
	v_add_f64 v[34:35], v[14:15], v[54:55]
	v_add_f64 v[32:33], v[32:33], v[16:17]
	ds_read_b128 v[14:17], v28 offset:2048
	s_waitcnt lgkmcnt(0)
	v_mul_f64 v[54:55], v[16:17], v[50:51]
	v_mul_f64 v[50:51], v[14:15], v[50:51]
	v_fma_f64 v[54:55], v[14:15], v[48:49], -v[54:55]
	v_fma_f64 v[48:49], v[16:17], v[48:49], v[50:51]
	v_add_f64 v[50:51], v[18:19], v[54:55]
	v_mul_f64 v[18:19], v[16:17], v[24:25]
	v_add_f64 v[48:49], v[48:49], v[20:21]
	v_fma_f64 v[18:19], v[14:15], v[22:23], -v[18:19]
	v_mul_f64 v[14:15], v[14:15], v[24:25]
	v_fma_f64 v[14:15], v[16:17], v[22:23], v[14:15]
	v_add_f64 v[22:23], v[12:13], v[18:19]
	v_add_f64 v[24:25], v[14:15], v[10:11]
	ds_read_b128 v[10:13], v27 offset:512
	s_waitcnt lgkmcnt(0)
	v_mul_f64 v[14:15], v[38:39], v[12:13]
	v_mul_f64 v[16:17], v[36:37], v[12:13]
	v_fma_f64 v[14:15], v[36:37], v[10:11], -v[14:15]
	v_fma_f64 v[16:17], v[38:39], v[10:11], v[16:17]
	v_add_f64 v[3:4], v[3:4], v[14:15]
	v_add_f64 v[52:53], v[16:17], v[52:53]
	ds_read_b128 v[14:17], v27 offset:768
	s_waitcnt lgkmcnt(0)
	v_mul_f64 v[18:19], v[38:39], v[16:17]
	v_mul_f64 v[20:21], v[36:37], v[16:17]
	v_fma_f64 v[18:19], v[36:37], v[14:15], -v[18:19]
	;; [unrolled: 8-line block ×3, first 2 shown]
	v_fma_f64 v[10:11], v[20:21], v[10:11], v[12:13]
	v_mul_f64 v[12:13], v[18:19], v[16:17]
	v_add_f64 v[36:37], v[50:51], v[36:37]
	v_add_f64 v[38:39], v[10:11], v[48:49]
	v_mul_f64 v[10:11], v[20:21], v[16:17]
	v_fma_f64 v[12:13], v[20:21], v[14:15], v[12:13]
	v_fma_f64 v[10:11], v[18:19], v[14:15], -v[10:11]
	v_add_f64 v[24:25], v[12:13], v[24:25]
	v_add_f64 v[22:23], v[22:23], v[10:11]
	ds_read_b128 v[10:13], v27 offset:1024
	s_waitcnt lgkmcnt(0)
	v_mul_f64 v[14:15], v[42:43], v[12:13]
	v_mul_f64 v[16:17], v[40:41], v[12:13]
	v_fma_f64 v[14:15], v[40:41], v[10:11], -v[14:15]
	v_fma_f64 v[16:17], v[42:43], v[10:11], v[16:17]
	v_add_f64 v[3:4], v[3:4], v[14:15]
	v_add_f64 v[48:49], v[16:17], v[52:53]
	ds_read_b128 v[14:17], v27 offset:1280
	s_waitcnt lgkmcnt(0)
	v_mul_f64 v[18:19], v[42:43], v[16:17]
	v_mul_f64 v[20:21], v[40:41], v[16:17]
	v_fma_f64 v[18:19], v[40:41], v[14:15], -v[18:19]
	v_fma_f64 v[20:21], v[42:43], v[14:15], v[20:21]
	;; [unrolled: 8-line block ×3, first 2 shown]
	v_mul_f64 v[12:13], v[18:19], v[16:17]
	v_add_f64 v[36:37], v[36:37], v[40:41]
	v_add_f64 v[38:39], v[10:11], v[38:39]
	v_mul_f64 v[10:11], v[20:21], v[16:17]
	v_fma_f64 v[12:13], v[20:21], v[14:15], v[12:13]
	v_fma_f64 v[10:11], v[18:19], v[14:15], -v[10:11]
	v_add_f64 v[24:25], v[12:13], v[24:25]
	v_add_f64 v[22:23], v[22:23], v[10:11]
	ds_read_b128 v[10:13], v27 offset:1536
	s_waitcnt lgkmcnt(0)
	v_mul_f64 v[14:15], v[46:47], v[12:13]
	v_mul_f64 v[16:17], v[44:45], v[12:13]
	v_fma_f64 v[14:15], v[44:45], v[10:11], -v[14:15]
	v_fma_f64 v[16:17], v[46:47], v[10:11], v[16:17]
	v_add_f64 v[3:4], v[3:4], v[14:15]
	v_add_f64 v[40:41], v[16:17], v[48:49]
	ds_read_b128 v[14:17], v27 offset:1792
	s_waitcnt lgkmcnt(0)
	v_mul_f64 v[18:19], v[46:47], v[16:17]
	v_mul_f64 v[20:21], v[44:45], v[16:17]
	v_fma_f64 v[18:19], v[44:45], v[14:15], -v[18:19]
	v_fma_f64 v[20:21], v[46:47], v[14:15], v[20:21]
	;; [unrolled: 8-line block ×3, first 2 shown]
	v_mul_f64 v[12:13], v[18:19], v[16:17]
	v_add_f64 v[36:37], v[36:37], v[42:43]
	v_add_f64 v[38:39], v[10:11], v[38:39]
	v_mul_f64 v[10:11], v[20:21], v[16:17]
	v_fma_f64 v[12:13], v[20:21], v[14:15], v[12:13]
	v_fma_f64 v[10:11], v[18:19], v[14:15], -v[10:11]
	v_add_f64 v[24:25], v[12:13], v[24:25]
	v_add_f64 v[22:23], v[22:23], v[10:11]
	ds_read_b128 v[10:13], v28 offset:64
	ds_read_b128 v[14:17], v27 offset:2048
	s_waitcnt lgkmcnt(0)
	v_mul_f64 v[18:19], v[12:13], v[16:17]
	v_mul_f64 v[20:21], v[10:11], v[16:17]
	v_fma_f64 v[18:19], v[10:11], v[14:15], -v[18:19]
	v_fma_f64 v[20:21], v[12:13], v[14:15], v[20:21]
	v_add_f64 v[3:4], v[3:4], v[18:19]
	v_add_f64 v[40:41], v[20:21], v[40:41]
	ds_read_b128 v[18:21], v27 offset:2304
	s_waitcnt lgkmcnt(0)
	v_mul_f64 v[42:43], v[12:13], v[20:21]
	v_fma_f64 v[42:43], v[10:11], v[18:19], -v[42:43]
	v_mul_f64 v[10:11], v[10:11], v[20:21]
	v_add_f64 v[34:35], v[34:35], v[42:43]
	v_fma_f64 v[10:11], v[12:13], v[18:19], v[10:11]
	v_add_f64 v[32:33], v[10:11], v[32:33]
	ds_read_b128 v[10:13], v28 offset:2112
	s_waitcnt lgkmcnt(0)
	v_mul_f64 v[42:43], v[12:13], v[16:17]
	v_mul_f64 v[16:17], v[10:11], v[16:17]
	v_fma_f64 v[42:43], v[10:11], v[14:15], -v[42:43]
	v_fma_f64 v[14:15], v[12:13], v[14:15], v[16:17]
	v_add_f64 v[36:37], v[36:37], v[42:43]
	v_add_f64 v[38:39], v[14:15], v[38:39]
	v_mul_f64 v[14:15], v[12:13], v[20:21]
	v_fma_f64 v[14:15], v[10:11], v[18:19], -v[14:15]
	v_mul_f64 v[10:11], v[10:11], v[20:21]
	v_add_f64 v[22:23], v[22:23], v[14:15]
	v_fma_f64 v[10:11], v[12:13], v[18:19], v[10:11]
	v_add_f64 v[24:25], v[10:11], v[24:25]
	ds_read_b128 v[10:13], v28 offset:80
	ds_read_b128 v[14:17], v27 offset:2560
	s_waitcnt lgkmcnt(0)
	v_mul_f64 v[18:19], v[12:13], v[16:17]
	v_mul_f64 v[20:21], v[10:11], v[16:17]
	v_fma_f64 v[18:19], v[10:11], v[14:15], -v[18:19]
	v_fma_f64 v[20:21], v[12:13], v[14:15], v[20:21]
	v_add_f64 v[3:4], v[3:4], v[18:19]
	v_add_f64 v[40:41], v[20:21], v[40:41]
	ds_read_b128 v[18:21], v27 offset:2816
	s_waitcnt lgkmcnt(0)
	v_mul_f64 v[42:43], v[12:13], v[20:21]
	v_fma_f64 v[42:43], v[10:11], v[18:19], -v[42:43]
	v_mul_f64 v[10:11], v[10:11], v[20:21]
	v_add_f64 v[34:35], v[34:35], v[42:43]
	v_fma_f64 v[10:11], v[12:13], v[18:19], v[10:11]
	v_add_f64 v[32:33], v[10:11], v[32:33]
	ds_read_b128 v[10:13], v28 offset:2128
	s_waitcnt lgkmcnt(0)
	v_mul_f64 v[42:43], v[12:13], v[16:17]
	v_mul_f64 v[16:17], v[10:11], v[16:17]
	v_fma_f64 v[42:43], v[10:11], v[14:15], -v[42:43]
	v_fma_f64 v[14:15], v[12:13], v[14:15], v[16:17]
	v_add_f64 v[36:37], v[36:37], v[42:43]
	v_add_f64 v[38:39], v[14:15], v[38:39]
	v_mul_f64 v[14:15], v[12:13], v[20:21]
	v_fma_f64 v[14:15], v[10:11], v[18:19], -v[14:15]
	v_mul_f64 v[10:11], v[10:11], v[20:21]
	v_add_f64 v[22:23], v[22:23], v[14:15]
	v_fma_f64 v[10:11], v[12:13], v[18:19], v[10:11]
	;; [unrolled: 31-line block ×3, first 2 shown]
	v_add_f64 v[48:49], v[10:11], v[24:25]
	ds_read_b128 v[10:13], v28 offset:112
	ds_read_b128 v[18:21], v27 offset:3584
	ds_read_b128 v[32:35], v27 offset:3840
	s_waitcnt lgkmcnt(1)
	v_mul_f64 v[14:15], v[12:13], v[20:21]
	v_mul_f64 v[16:17], v[10:11], v[20:21]
	v_fma_f64 v[14:15], v[10:11], v[18:19], -v[14:15]
	v_fma_f64 v[16:17], v[12:13], v[18:19], v[16:17]
	v_add_f64 v[22:23], v[3:4], v[14:15]
	s_waitcnt lgkmcnt(0)
	v_mul_f64 v[3:4], v[12:13], v[34:35]
	v_add_f64 v[24:25], v[16:17], v[40:41]
	v_fma_f64 v[3:4], v[10:11], v[32:33], -v[3:4]
	v_mul_f64 v[10:11], v[10:11], v[34:35]
	v_add_f64 v[14:15], v[42:43], v[3:4]
	v_fma_f64 v[10:11], v[12:13], v[32:33], v[10:11]
	v_add_f64 v[16:17], v[10:11], v[44:45]
	ds_read_b128 v[10:13], v28 offset:2160
	s_waitcnt lgkmcnt(0)
	s_barrier
	buffer_gl0_inv
	v_mul_f64 v[3:4], v[12:13], v[20:21]
	v_mul_f64 v[20:21], v[10:11], v[20:21]
	v_fma_f64 v[3:4], v[10:11], v[18:19], -v[3:4]
	v_fma_f64 v[20:21], v[12:13], v[18:19], v[20:21]
	v_add_f64 v[18:19], v[36:37], v[3:4]
	v_mul_f64 v[3:4], v[12:13], v[34:35]
	v_add_f64 v[20:21], v[20:21], v[38:39]
	v_fma_f64 v[3:4], v[10:11], v[32:33], -v[3:4]
	v_mul_f64 v[10:11], v[10:11], v[34:35]
	v_fma_f64 v[10:11], v[12:13], v[32:33], v[10:11]
	v_add_f64 v[12:13], v[46:47], v[3:4]
	v_add_f64 v[10:11], v[10:11], v[48:49]
	s_cbranch_scc0 .LBB130_15
.LBB130_7:                              ; =>This Inner Loop Header: Depth=1
	v_add_nc_u32_e32 v3, s28, v29
	v_cmp_le_i32_e32 vcc_lo, s3, v3
	s_or_b32 s12, s1, vcc_lo
	s_and_saveexec_b32 s13, s12
	s_xor_b32 s12, exec_lo, s13
	s_cbranch_execz .LBB130_9
; %bb.8:                                ;   in Loop: Header=BB130_7 Depth=1
	v_mov_b32_e32 v3, v2
	v_mov_b32_e32 v4, v2
	;; [unrolled: 1-line block ×3, first 2 shown]
	ds_write_b128 v30, v[2:5]
.LBB130_9:                              ;   in Loop: Header=BB130_7 Depth=1
	s_andn2_saveexec_b32 s12, s12
	s_cbranch_execz .LBB130_11
; %bb.10:                               ;   in Loop: Header=BB130_7 Depth=1
	global_load_dwordx4 v[32:35], v[6:7], off
	s_waitcnt vmcnt(0)
	ds_write2_b64 v30, v[32:33], v[34:35] offset1:1
.LBB130_11:                             ;   in Loop: Header=BB130_7 Depth=1
	s_or_b32 exec_lo, exec_lo, s12
	v_add_nc_u32_e32 v3, s28, v26
	v_cmp_le_i32_e32 vcc_lo, s3, v3
	s_or_b32 s12, vcc_lo, s0
	s_and_saveexec_b32 s13, s12
	s_xor_b32 s12, exec_lo, s13
	s_cbranch_execz .LBB130_13
; %bb.12:                               ;   in Loop: Header=BB130_7 Depth=1
	v_mov_b32_e32 v3, v2
	v_mov_b32_e32 v4, v2
	;; [unrolled: 1-line block ×3, first 2 shown]
	ds_write_b128 v31, v[2:5]
.LBB130_13:                             ;   in Loop: Header=BB130_7 Depth=1
	s_andn2_saveexec_b32 s12, s12
	s_cbranch_execz .LBB130_6
; %bb.14:                               ;   in Loop: Header=BB130_7 Depth=1
	global_load_dwordx4 v[32:35], v[8:9], off
	s_waitcnt vmcnt(0)
	ds_write2_b64 v31, v[32:33], v[34:35] offset1:1
	s_branch .LBB130_6
.LBB130_15:
	s_clause 0x1
	s_load_dword s3, s[4:5], 0x60
	s_load_dwordx2 s[4:5], s[4:5], 0x68
	v_cmp_neq_f64_e64 s6, s[14:15], 0
	v_add_nc_u32_e32 v27, s11, v1
	v_add_nc_u32_e32 v4, s10, v0
	v_cmp_gt_i32_e64 s0, s2, v27
	v_cmp_le_i32_e32 vcc_lo, v4, v27
	v_ashrrev_i32_e32 v5, 31, v4
	s_waitcnt lgkmcnt(0)
	v_mad_i64_i32 v[0:1], null, v27, s3, 0
	s_mul_i32 s1, s5, s8
	s_mul_hi_u32 s5, s4, s8
	s_mul_i32 s4, s4, s8
	s_add_i32 s5, s5, s1
	s_lshl_b64 s[4:5], s[4:5], 4
	v_lshlrev_b64 v[0:1], 4, v[0:1]
	s_add_u32 s4, s18, s4
	s_addc_u32 s5, s19, s5
	s_xor_b32 s7, s9, -1
	s_or_b32 s6, s6, s7
	v_add_co_u32 v8, s1, s4, v0
	v_add_co_ci_u32_e64 v9, null, s5, v1, s1
	v_cndmask_b32_e64 v26, 0, 1, s6
	s_and_b32 s7, s0, vcc_lo
	s_and_saveexec_b32 s1, s7
	s_cbranch_execz .LBB130_19
; %bb.16:
	v_mul_f64 v[0:1], s[22:23], v[24:25]
	v_mul_f64 v[2:3], s[20:21], v[24:25]
	v_lshlrev_b64 v[6:7], 4, v[4:5]
	v_add_co_u32 v6, vcc_lo, v8, v6
	v_add_co_ci_u32_e64 v7, null, v9, v7, vcc_lo
	s_andn2_b32 vcc_lo, exec_lo, s6
	v_fma_f64 v[0:1], s[20:21], v[22:23], -v[0:1]
	v_fma_f64 v[2:3], s[22:23], v[22:23], v[2:3]
	s_cbranch_vccnz .LBB130_18
; %bb.17:
	global_load_dwordx4 v[22:25], v[6:7], off
	s_waitcnt vmcnt(0)
	v_mul_f64 v[28:29], s[16:17], v[24:25]
	v_mul_f64 v[24:25], s[14:15], v[24:25]
	v_fma_f64 v[28:29], s[14:15], v[22:23], -v[28:29]
	v_fma_f64 v[22:23], s[16:17], v[22:23], v[24:25]
	v_add_f64 v[0:1], v[0:1], v[28:29]
	v_add_f64 v[2:3], v[2:3], v[22:23]
.LBB130_18:
	global_store_dwordx4 v[6:7], v[0:3], off
.LBB130_19:
	s_or_b32 exec_lo, exec_lo, s1
	v_add_nc_u32_e32 v6, 16, v4
	v_cmp_le_i32_e32 vcc_lo, v6, v27
	v_ashrrev_i32_e32 v7, 31, v6
	s_and_b32 s0, s0, vcc_lo
	s_and_saveexec_b32 s1, s0
	s_cbranch_execz .LBB130_23
; %bb.20:
	v_mul_f64 v[0:1], s[22:23], v[16:17]
	v_mul_f64 v[2:3], s[20:21], v[16:17]
	v_cmp_ne_u32_e32 vcc_lo, 1, v26
	s_and_b32 vcc_lo, exec_lo, vcc_lo
	v_fma_f64 v[0:1], s[20:21], v[14:15], -v[0:1]
	v_fma_f64 v[2:3], s[22:23], v[14:15], v[2:3]
	v_lshlrev_b64 v[14:15], 4, v[6:7]
	v_add_co_u32 v8, s0, v8, v14
	v_add_co_ci_u32_e64 v9, null, v9, v15, s0
	s_cbranch_vccnz .LBB130_22
; %bb.21:
	global_load_dwordx4 v[14:17], v[8:9], off
	s_waitcnt vmcnt(0)
	v_mul_f64 v[22:23], s[16:17], v[16:17]
	v_mul_f64 v[16:17], s[14:15], v[16:17]
	v_fma_f64 v[22:23], s[14:15], v[14:15], -v[22:23]
	v_fma_f64 v[14:15], s[16:17], v[14:15], v[16:17]
	v_add_f64 v[0:1], v[0:1], v[22:23]
	v_add_f64 v[2:3], v[2:3], v[14:15]
.LBB130_22:
	global_store_dwordx4 v[8:9], v[0:3], off
.LBB130_23:
	s_or_b32 exec_lo, exec_lo, s1
	v_add_nc_u32_e32 v14, 16, v27
	v_mad_i64_i32 v[0:1], null, v14, s3, 0
	v_cmp_gt_i32_e64 s0, s2, v14
	v_cmp_le_i32_e32 vcc_lo, v4, v14
	v_lshlrev_b64 v[0:1], 4, v[0:1]
	v_add_co_u32 v8, s1, s4, v0
	v_add_co_ci_u32_e64 v9, null, s5, v1, s1
	s_and_b32 s1, s0, vcc_lo
	s_and_saveexec_b32 s2, s1
	s_cbranch_execz .LBB130_27
; %bb.24:
	v_mul_f64 v[0:1], s[22:23], v[20:21]
	v_mul_f64 v[2:3], s[20:21], v[20:21]
	v_lshlrev_b64 v[4:5], 4, v[4:5]
	v_cmp_ne_u32_e32 vcc_lo, 1, v26
	s_and_b32 vcc_lo, exec_lo, vcc_lo
	v_add_co_u32 v4, s1, v8, v4
	v_add_co_ci_u32_e64 v5, null, v9, v5, s1
	v_fma_f64 v[0:1], s[20:21], v[18:19], -v[0:1]
	v_fma_f64 v[2:3], s[22:23], v[18:19], v[2:3]
	s_cbranch_vccnz .LBB130_26
; %bb.25:
	global_load_dwordx4 v[15:18], v[4:5], off
	s_waitcnt vmcnt(0)
	v_mul_f64 v[19:20], s[16:17], v[17:18]
	v_mul_f64 v[17:18], s[14:15], v[17:18]
	v_fma_f64 v[19:20], s[14:15], v[15:16], -v[19:20]
	v_fma_f64 v[15:16], s[16:17], v[15:16], v[17:18]
	v_add_f64 v[0:1], v[0:1], v[19:20]
	v_add_f64 v[2:3], v[2:3], v[15:16]
.LBB130_26:
	global_store_dwordx4 v[4:5], v[0:3], off
.LBB130_27:
	s_or_b32 exec_lo, exec_lo, s2
	v_cmp_le_i32_e32 vcc_lo, v6, v14
	s_and_b32 s0, s0, vcc_lo
	s_and_saveexec_b32 s1, s0
	s_cbranch_execz .LBB130_32
; %bb.28:
	v_mul_f64 v[0:1], s[22:23], v[10:11]
	v_mul_f64 v[2:3], s[20:21], v[10:11]
	v_lshlrev_b64 v[4:5], 4, v[6:7]
	v_cmp_ne_u32_e32 vcc_lo, 1, v26
	s_and_b32 vcc_lo, exec_lo, vcc_lo
	v_add_co_u32 v4, s0, v8, v4
	v_add_co_ci_u32_e64 v5, null, v9, v5, s0
	v_fma_f64 v[0:1], s[20:21], v[12:13], -v[0:1]
	v_fma_f64 v[2:3], s[22:23], v[12:13], v[2:3]
	s_cbranch_vccnz .LBB130_30
; %bb.29:
	global_load_dwordx4 v[6:9], v[4:5], off
	s_waitcnt vmcnt(0)
	v_mul_f64 v[10:11], s[16:17], v[8:9]
	v_mul_f64 v[8:9], s[14:15], v[8:9]
	v_fma_f64 v[10:11], s[14:15], v[6:7], -v[10:11]
	v_fma_f64 v[6:7], s[16:17], v[6:7], v[8:9]
	v_add_f64 v[0:1], v[0:1], v[10:11]
	v_add_f64 v[2:3], v[2:3], v[6:7]
.LBB130_30:
	global_store_dwordx4 v[4:5], v[0:3], off
	s_endpgm
.LBB130_31:
.LBB130_32:
	s_endpgm
	.section	.rodata,"a",@progbits
	.p2align	6, 0x0
	.amdhsa_kernel _ZL29rocblas_internal_gemmt_kernelIiLi16ELi32ELi8ELc84ELc84ELc85ELb0ELb0E19rocblas_complex_numIdES1_PKS1_PS1_EviT_T9_T10_S5_lS7_S5_lS6_T11_S5_li
		.amdhsa_group_segment_fixed_size 8192
		.amdhsa_private_segment_fixed_size 0
		.amdhsa_kernarg_size 116
		.amdhsa_user_sgpr_count 6
		.amdhsa_user_sgpr_private_segment_buffer 1
		.amdhsa_user_sgpr_dispatch_ptr 0
		.amdhsa_user_sgpr_queue_ptr 0
		.amdhsa_user_sgpr_kernarg_segment_ptr 1
		.amdhsa_user_sgpr_dispatch_id 0
		.amdhsa_user_sgpr_flat_scratch_init 0
		.amdhsa_user_sgpr_private_segment_size 0
		.amdhsa_wavefront_size32 1
		.amdhsa_uses_dynamic_stack 0
		.amdhsa_system_sgpr_private_segment_wavefront_offset 0
		.amdhsa_system_sgpr_workgroup_id_x 1
		.amdhsa_system_sgpr_workgroup_id_y 1
		.amdhsa_system_sgpr_workgroup_id_z 1
		.amdhsa_system_sgpr_workgroup_info 0
		.amdhsa_system_vgpr_workitem_id 1
		.amdhsa_next_free_vgpr 56
		.amdhsa_next_free_sgpr 32
		.amdhsa_reserve_vcc 1
		.amdhsa_reserve_flat_scratch 0
		.amdhsa_float_round_mode_32 0
		.amdhsa_float_round_mode_16_64 0
		.amdhsa_float_denorm_mode_32 3
		.amdhsa_float_denorm_mode_16_64 3
		.amdhsa_dx10_clamp 1
		.amdhsa_ieee_mode 1
		.amdhsa_fp16_overflow 0
		.amdhsa_workgroup_processor_mode 1
		.amdhsa_memory_ordered 1
		.amdhsa_forward_progress 1
		.amdhsa_shared_vgpr_count 0
		.amdhsa_exception_fp_ieee_invalid_op 0
		.amdhsa_exception_fp_denorm_src 0
		.amdhsa_exception_fp_ieee_div_zero 0
		.amdhsa_exception_fp_ieee_overflow 0
		.amdhsa_exception_fp_ieee_underflow 0
		.amdhsa_exception_fp_ieee_inexact 0
		.amdhsa_exception_int_div_zero 0
	.end_amdhsa_kernel
	.section	.text._ZL29rocblas_internal_gemmt_kernelIiLi16ELi32ELi8ELc84ELc84ELc85ELb0ELb0E19rocblas_complex_numIdES1_PKS1_PS1_EviT_T9_T10_S5_lS7_S5_lS6_T11_S5_li,"axG",@progbits,_ZL29rocblas_internal_gemmt_kernelIiLi16ELi32ELi8ELc84ELc84ELc85ELb0ELb0E19rocblas_complex_numIdES1_PKS1_PS1_EviT_T9_T10_S5_lS7_S5_lS6_T11_S5_li,comdat
.Lfunc_end130:
	.size	_ZL29rocblas_internal_gemmt_kernelIiLi16ELi32ELi8ELc84ELc84ELc85ELb0ELb0E19rocblas_complex_numIdES1_PKS1_PS1_EviT_T9_T10_S5_lS7_S5_lS6_T11_S5_li, .Lfunc_end130-_ZL29rocblas_internal_gemmt_kernelIiLi16ELi32ELi8ELc84ELc84ELc85ELb0ELb0E19rocblas_complex_numIdES1_PKS1_PS1_EviT_T9_T10_S5_lS7_S5_lS6_T11_S5_li
                                        ; -- End function
	.set _ZL29rocblas_internal_gemmt_kernelIiLi16ELi32ELi8ELc84ELc84ELc85ELb0ELb0E19rocblas_complex_numIdES1_PKS1_PS1_EviT_T9_T10_S5_lS7_S5_lS6_T11_S5_li.num_vgpr, 56
	.set _ZL29rocblas_internal_gemmt_kernelIiLi16ELi32ELi8ELc84ELc84ELc85ELb0ELb0E19rocblas_complex_numIdES1_PKS1_PS1_EviT_T9_T10_S5_lS7_S5_lS6_T11_S5_li.num_agpr, 0
	.set _ZL29rocblas_internal_gemmt_kernelIiLi16ELi32ELi8ELc84ELc84ELc85ELb0ELb0E19rocblas_complex_numIdES1_PKS1_PS1_EviT_T9_T10_S5_lS7_S5_lS6_T11_S5_li.numbered_sgpr, 32
	.set _ZL29rocblas_internal_gemmt_kernelIiLi16ELi32ELi8ELc84ELc84ELc85ELb0ELb0E19rocblas_complex_numIdES1_PKS1_PS1_EviT_T9_T10_S5_lS7_S5_lS6_T11_S5_li.num_named_barrier, 0
	.set _ZL29rocblas_internal_gemmt_kernelIiLi16ELi32ELi8ELc84ELc84ELc85ELb0ELb0E19rocblas_complex_numIdES1_PKS1_PS1_EviT_T9_T10_S5_lS7_S5_lS6_T11_S5_li.private_seg_size, 0
	.set _ZL29rocblas_internal_gemmt_kernelIiLi16ELi32ELi8ELc84ELc84ELc85ELb0ELb0E19rocblas_complex_numIdES1_PKS1_PS1_EviT_T9_T10_S5_lS7_S5_lS6_T11_S5_li.uses_vcc, 1
	.set _ZL29rocblas_internal_gemmt_kernelIiLi16ELi32ELi8ELc84ELc84ELc85ELb0ELb0E19rocblas_complex_numIdES1_PKS1_PS1_EviT_T9_T10_S5_lS7_S5_lS6_T11_S5_li.uses_flat_scratch, 0
	.set _ZL29rocblas_internal_gemmt_kernelIiLi16ELi32ELi8ELc84ELc84ELc85ELb0ELb0E19rocblas_complex_numIdES1_PKS1_PS1_EviT_T9_T10_S5_lS7_S5_lS6_T11_S5_li.has_dyn_sized_stack, 0
	.set _ZL29rocblas_internal_gemmt_kernelIiLi16ELi32ELi8ELc84ELc84ELc85ELb0ELb0E19rocblas_complex_numIdES1_PKS1_PS1_EviT_T9_T10_S5_lS7_S5_lS6_T11_S5_li.has_recursion, 0
	.set _ZL29rocblas_internal_gemmt_kernelIiLi16ELi32ELi8ELc84ELc84ELc85ELb0ELb0E19rocblas_complex_numIdES1_PKS1_PS1_EviT_T9_T10_S5_lS7_S5_lS6_T11_S5_li.has_indirect_call, 0
	.section	.AMDGPU.csdata,"",@progbits
; Kernel info:
; codeLenInByte = 3552
; TotalNumSgprs: 34
; NumVgprs: 56
; ScratchSize: 0
; MemoryBound: 0
; FloatMode: 240
; IeeeMode: 1
; LDSByteSize: 8192 bytes/workgroup (compile time only)
; SGPRBlocks: 0
; VGPRBlocks: 6
; NumSGPRsForWavesPerEU: 34
; NumVGPRsForWavesPerEU: 56
; Occupancy: 16
; WaveLimiterHint : 0
; COMPUTE_PGM_RSRC2:SCRATCH_EN: 0
; COMPUTE_PGM_RSRC2:USER_SGPR: 6
; COMPUTE_PGM_RSRC2:TRAP_HANDLER: 0
; COMPUTE_PGM_RSRC2:TGID_X_EN: 1
; COMPUTE_PGM_RSRC2:TGID_Y_EN: 1
; COMPUTE_PGM_RSRC2:TGID_Z_EN: 1
; COMPUTE_PGM_RSRC2:TIDIG_COMP_CNT: 1
	.section	.text._ZL29rocblas_internal_gemmt_kernelIiLi16ELi32ELi8ELc84ELc67ELc85ELb0ELb1E19rocblas_complex_numIdES1_PKS1_PS1_EviT_T9_T10_S5_lS7_S5_lS6_T11_S5_li,"axG",@progbits,_ZL29rocblas_internal_gemmt_kernelIiLi16ELi32ELi8ELc84ELc67ELc85ELb0ELb1E19rocblas_complex_numIdES1_PKS1_PS1_EviT_T9_T10_S5_lS7_S5_lS6_T11_S5_li,comdat
	.globl	_ZL29rocblas_internal_gemmt_kernelIiLi16ELi32ELi8ELc84ELc67ELc85ELb0ELb1E19rocblas_complex_numIdES1_PKS1_PS1_EviT_T9_T10_S5_lS7_S5_lS6_T11_S5_li ; -- Begin function _ZL29rocblas_internal_gemmt_kernelIiLi16ELi32ELi8ELc84ELc67ELc85ELb0ELb1E19rocblas_complex_numIdES1_PKS1_PS1_EviT_T9_T10_S5_lS7_S5_lS6_T11_S5_li
	.p2align	8
	.type	_ZL29rocblas_internal_gemmt_kernelIiLi16ELi32ELi8ELc84ELc67ELc85ELb0ELb1E19rocblas_complex_numIdES1_PKS1_PS1_EviT_T9_T10_S5_lS7_S5_lS6_T11_S5_li,@function
_ZL29rocblas_internal_gemmt_kernelIiLi16ELi32ELi8ELc84ELc67ELc85ELb0ELb1E19rocblas_complex_numIdES1_PKS1_PS1_EviT_T9_T10_S5_lS7_S5_lS6_T11_S5_li: ; @_ZL29rocblas_internal_gemmt_kernelIiLi16ELi32ELi8ELc84ELc67ELc85ELb0ELb1E19rocblas_complex_numIdES1_PKS1_PS1_EviT_T9_T10_S5_lS7_S5_lS6_T11_S5_li
; %bb.0:
	s_clause 0x2
	s_load_dwordx8 s[12:19], s[4:5], 0x40
	s_load_dwordx2 s[2:3], s[4:5], 0x0
	s_load_dwordx4 s[20:23], s[4:5], 0x8
	s_waitcnt lgkmcnt(0)
	v_cmp_eq_f64_e64 s0, s[14:15], 1.0
	v_cmp_eq_f64_e64 s9, s[16:17], 0
	s_and_b32 s0, s0, s9
	s_andn2_b32 vcc_lo, exec_lo, s0
	s_mov_b32 s0, -1
	s_cbranch_vccnz .LBB131_3
; %bb.1:
	s_cmp_lg_u32 s3, 0
	s_cbranch_scc0 .LBB131_29
; %bb.2:
	v_cmp_neq_f64_e64 s0, s[20:21], 0
	v_cmp_neq_f64_e64 s1, s[22:23], 0
	s_or_b32 s0, s0, s1
.LBB131_3:
	s_and_b32 vcc_lo, exec_lo, s0
	s_cbranch_vccz .LBB131_30
; %bb.4:
	v_cmp_eq_f64_e64 s0, s[20:21], 0
	v_cmp_eq_f64_e64 s1, s[22:23], 0
	s_lshl_b32 s10, s6, 5
	s_lshl_b32 s11, s7, 5
	v_mov_b32_e32 v23, 0
	v_mov_b32_e32 v25, 0
	;; [unrolled: 1-line block ×16, first 2 shown]
	s_mov_b32 s28, 0
	s_and_b32 s0, s0, s1
	s_cmp_lt_i32 s3, 1
	s_cselect_b32 s1, -1, 0
	s_or_b32 s0, s0, s1
	s_and_b32 vcc_lo, exec_lo, s0
	s_cbranch_vccnz .LBB131_13
; %bb.5:
	s_clause 0x3
	s_load_dword s1, s[4:5], 0x20
	s_load_dwordx2 s[30:31], s[4:5], 0x18
	s_load_dwordx4 s[24:27], s[4:5], 0x28
	s_load_dword s6, s[4:5], 0x38
	v_lshl_add_u32 v2, v1, 4, v0
	v_and_b32_e32 v27, 7, v0
	v_mov_b32_e32 v9, 0
	v_mov_b32_e32 v17, 0
	;; [unrolled: 1-line block ×3, first 2 shown]
	v_and_b32_e32 v3, 31, v2
	v_lshrrev_b32_e32 v4, 3, v2
	v_lshlrev_b32_e32 v5, 4, v27
	v_lshrrev_b32_e32 v30, 5, v2
	v_mov_b32_e32 v21, 0
	v_add_nc_u32_e32 v7, s10, v3
	v_or_b32_e32 v6, s10, v3
	v_add_nc_u32_e32 v2, s11, v4
	v_lshl_or_b32 v8, v4, 7, v5
	v_lshlrev_b32_e32 v3, 4, v3
	v_mov_b32_e32 v19, 0
	v_cmp_gt_i32_e64 s0, s2, v6
	s_waitcnt lgkmcnt(0)
	v_mad_i64_i32 v[4:5], null, s1, v7, 0
	v_mad_i64_i32 v[6:7], null, s6, v27, 0
	s_mul_i32 s1, s25, s8
	s_mul_hi_u32 s25, s24, s8
	v_lshl_or_b32 v31, v30, 9, v3
	v_ashrrev_i32_e32 v3, 31, v2
	v_lshlrev_b64 v[4:5], 4, v[4:5]
	s_add_i32 s25, s25, s1
	s_mul_i32 s24, s24, s8
	s_mul_i32 s1, s13, s8
	s_mul_hi_u32 s13, s12, s8
	v_lshlrev_b64 v[6:7], 4, v[6:7]
	s_lshl_b64 s[24:25], s[24:25], 4
	s_add_i32 s13, s13, s1
	s_mul_i32 s12, s12, s8
	v_add_co_u32 v4, s1, v4, s24
	s_lshl_b64 s[12:13], s[12:13], 4
	v_cmp_gt_i32_e32 vcc_lo, s2, v2
	v_lshlrev_b64 v[2:3], 4, v[2:3]
	v_add_co_ci_u32_e64 v5, null, s25, v5, s1
	v_add_co_u32 v6, s1, s12, v6
	v_add_co_ci_u32_e64 v7, null, s13, v7, s1
	v_add_nc_u32_e32 v32, 0x1000, v8
	v_lshlrev_b32_e32 v8, 4, v30
	v_add_co_u32 v2, s1, v6, v2
	v_add_co_ci_u32_e64 v3, null, v7, v3, s1
	v_add_co_u32 v4, s1, v4, v8
	v_add_co_ci_u32_e64 v5, null, 0, v5, s1
	;; [unrolled: 2-line block ×4, first 2 shown]
	v_add_co_u32 v13, s1, v2, 8
	v_mov_b32_e32 v7, 0
	v_mov_b32_e32 v25, 0
	;; [unrolled: 1-line block ×3, first 2 shown]
	v_lshlrev_b32_e32 v28, 4, v0
	v_lshl_add_u32 v29, v1, 7, 0x1000
	v_add_co_ci_u32_e64 v14, null, 0, v3, s1
	v_mov_b32_e32 v8, 0
	v_mov_b32_e32 v10, 0
	;; [unrolled: 1-line block ×9, first 2 shown]
	s_ashr_i32 s7, s6, 31
	s_xor_b32 s1, s0, -1
	s_lshl_b64 s[6:7], s[6:7], 7
	s_branch .LBB131_7
.LBB131_6:                              ;   in Loop: Header=BB131_7 Depth=1
	s_or_b32 exec_lo, exec_lo, s0
	ds_write_b128 v32, v[3:6]
	s_waitcnt lgkmcnt(0)
	s_barrier
	buffer_gl0_inv
	ds_read_b128 v[3:6], v29
	ds_read_b128 v[33:36], v28
	ds_read_b128 v[37:40], v28 offset:256
	ds_read_b128 v[41:44], v29 offset:2048
	;; [unrolled: 1-line block ×12, first 2 shown]
	v_add_co_u32 v11, s0, 0x80, v11
	v_add_co_ci_u32_e64 v12, null, 0, v12, s0
	v_add_co_u32 v13, s0, v13, s6
	v_add_co_ci_u32_e64 v14, null, s7, v14, s0
	s_waitcnt lgkmcnt(12)
	v_mul_f64 v[85:86], v[5:6], v[35:36]
	v_mul_f64 v[87:88], v[3:4], v[35:36]
	s_waitcnt lgkmcnt(11)
	v_mul_f64 v[89:90], v[5:6], v[39:40]
	v_mul_f64 v[91:92], v[3:4], v[39:40]
	;; [unrolled: 3-line block ×3, first 2 shown]
	v_mul_f64 v[95:96], v[43:44], v[39:40]
	v_mul_f64 v[39:40], v[41:42], v[39:40]
	s_waitcnt lgkmcnt(8)
	v_mul_f64 v[97:98], v[47:48], v[51:52]
	v_mul_f64 v[99:100], v[45:46], v[51:52]
	s_waitcnt lgkmcnt(7)
	;; [unrolled: 3-line block ×3, first 2 shown]
	v_mul_f64 v[105:106], v[59:60], v[51:52]
	v_mul_f64 v[51:52], v[57:58], v[51:52]
	;; [unrolled: 1-line block ×4, first 2 shown]
	s_waitcnt lgkmcnt(4)
	v_mul_f64 v[109:110], v[63:64], v[67:68]
	v_mul_f64 v[111:112], v[61:62], v[67:68]
	s_waitcnt lgkmcnt(3)
	v_mul_f64 v[113:114], v[63:64], v[71:72]
	v_mul_f64 v[115:116], v[61:62], v[71:72]
	;; [unrolled: 3-line block ×3, first 2 shown]
	v_fma_f64 v[85:86], v[3:4], v[33:34], -v[85:86]
	v_fma_f64 v[87:88], v[5:6], v[33:34], v[87:88]
	v_fma_f64 v[89:90], v[3:4], v[37:38], -v[89:90]
	v_fma_f64 v[91:92], v[5:6], v[37:38], v[91:92]
	v_fma_f64 v[93:94], v[41:42], v[33:34], -v[93:94]
	v_fma_f64 v[119:120], v[43:44], v[33:34], v[35:36]
	v_fma_f64 v[95:96], v[41:42], v[37:38], -v[95:96]
	v_fma_f64 v[121:122], v[43:44], v[37:38], v[39:40]
	v_mul_f64 v[123:124], v[75:76], v[71:72]
	v_mul_f64 v[71:72], v[73:74], v[71:72]
	v_fma_f64 v[97:98], v[45:46], v[49:50], -v[97:98]
	v_fma_f64 v[99:100], v[47:48], v[49:50], v[99:100]
	v_fma_f64 v[101:102], v[45:46], v[53:54], -v[101:102]
	v_fma_f64 v[103:104], v[47:48], v[53:54], v[103:104]
	;; [unrolled: 2-line block ×7, first 2 shown]
	v_add_f64 v[23:24], v[23:24], v[85:86]
	v_add_f64 v[25:26], v[87:88], v[25:26]
	;; [unrolled: 1-line block ×6, first 2 shown]
	v_fma_f64 v[73:74], v[73:74], v[69:70], -v[123:124]
	v_fma_f64 v[69:70], v[75:76], v[69:70], v[71:72]
	v_add_f64 v[71:72], v[15:16], v[93:94]
	v_add_f64 v[75:76], v[119:120], v[17:18]
	ds_read_b128 v[3:6], v28 offset:1536
	ds_read_b128 v[33:36], v28 offset:1792
	;; [unrolled: 1-line block ×7, first 2 shown]
	s_add_i32 s28, s28, 8
	s_cmp_lt_i32 s28, s3
	v_add_f64 v[97:98], v[23:24], v[97:98]
	v_add_f64 v[99:100], v[99:100], v[25:26]
	;; [unrolled: 1-line block ×6, first 2 shown]
	ds_read_b128 v[19:22], v28 offset:2560
	ds_read_b128 v[23:26], v28 offset:2816
	s_waitcnt lgkmcnt(8)
	v_mul_f64 v[109:110], v[79:80], v[5:6]
	v_mul_f64 v[111:112], v[77:78], v[5:6]
	s_waitcnt lgkmcnt(7)
	v_mul_f64 v[67:68], v[79:80], v[35:36]
	v_mul_f64 v[113:114], v[77:78], v[35:36]
	;; [unrolled: 1-line block ×6, first 2 shown]
	s_waitcnt lgkmcnt(4)
	v_mul_f64 v[95:96], v[39:40], v[47:48]
	v_add_f64 v[71:72], v[71:72], v[105:106]
	v_add_f64 v[75:76], v[125:126], v[75:76]
	v_mul_f64 v[93:94], v[37:38], v[43:44]
	ds_read_b128 v[5:8], v29 offset:80
	v_add_f64 v[55:56], v[97:98], v[55:56]
	v_add_f64 v[59:60], v[59:60], v[99:100]
	v_add_f64 v[61:62], v[101:102], v[61:62]
	v_add_f64 v[63:64], v[63:64], v[103:104]
	v_add_f64 v[9:10], v[9:10], v[73:74]
	v_add_f64 v[53:54], v[69:70], v[53:54]
	s_waitcnt lgkmcnt(2)
	v_mul_f64 v[99:100], v[17:18], v[21:22]
	s_waitcnt lgkmcnt(1)
	v_mul_f64 v[101:102], v[17:18], v[25:26]
	v_fma_f64 v[89:90], v[77:78], v[3:4], -v[109:110]
	v_fma_f64 v[91:92], v[79:80], v[3:4], v[111:112]
	v_fma_f64 v[67:68], v[77:78], v[33:34], -v[67:68]
	v_mul_f64 v[77:78], v[39:40], v[43:44]
	v_mul_f64 v[109:110], v[37:38], v[47:48]
	v_fma_f64 v[79:80], v[79:80], v[33:34], v[113:114]
	v_mul_f64 v[111:112], v[51:52], v[43:44]
	v_mul_f64 v[43:44], v[49:50], v[43:44]
	v_fma_f64 v[57:58], v[81:82], v[3:4], -v[115:116]
	v_fma_f64 v[3:4], v[83:84], v[3:4], v[117:118]
	v_fma_f64 v[81:82], v[81:82], v[33:34], -v[87:88]
	v_fma_f64 v[83:84], v[83:84], v[33:34], v[35:36]
	v_fma_f64 v[87:88], v[37:38], v[45:46], -v[95:96]
	v_mul_f64 v[95:96], v[51:52], v[47:48]
	v_mul_f64 v[47:48], v[49:50], v[47:48]
	v_add_f64 v[71:72], v[71:72], v[107:108]
	v_add_f64 v[65:66], v[65:66], v[75:76]
	v_fma_f64 v[85:86], v[39:40], v[41:42], v[93:94]
	s_waitcnt lgkmcnt(0)
	v_mul_f64 v[69:70], v[7:8], v[21:22]
	v_mul_f64 v[73:74], v[5:6], v[21:22]
	;; [unrolled: 1-line block ×6, first 2 shown]
	v_add_f64 v[55:56], v[55:56], v[89:90]
	v_fma_f64 v[77:78], v[37:38], v[41:42], -v[77:78]
	v_fma_f64 v[93:94], v[39:40], v[45:46], v[109:110]
	v_add_f64 v[59:60], v[91:92], v[59:60]
	v_fma_f64 v[105:106], v[49:50], v[41:42], -v[111:112]
	v_fma_f64 v[109:110], v[51:52], v[41:42], v[43:44]
	v_add_f64 v[61:62], v[61:62], v[67:68]
	v_add_f64 v[63:64], v[79:80], v[63:64]
	;; [unrolled: 1-line block ×4, first 2 shown]
	ds_read_b128 v[33:36], v29 offset:96
	ds_read_b128 v[37:40], v28 offset:3072
	v_fma_f64 v[49:50], v[49:50], v[45:46], -v[95:96]
	v_fma_f64 v[51:52], v[51:52], v[45:46], v[47:48]
	v_add_f64 v[57:58], v[71:72], v[57:58]
	v_add_f64 v[65:66], v[3:4], v[65:66]
	ds_read_b128 v[41:44], v28 offset:3328
	ds_read_b128 v[45:48], v29 offset:2144
	v_fma_f64 v[69:70], v[5:6], v[19:20], -v[69:70]
	v_fma_f64 v[71:72], v[7:8], v[19:20], v[73:74]
	v_fma_f64 v[73:74], v[5:6], v[23:24], -v[75:76]
	v_fma_f64 v[75:76], v[7:8], v[23:24], v[97:98]
	;; [unrolled: 2-line block ×4, first 2 shown]
	v_add_f64 v[55:56], v[55:56], v[77:78]
	v_add_f64 v[59:60], v[85:86], v[59:60]
	ds_read_b128 v[3:6], v29 offset:112
	ds_read_b128 v[7:10], v29 offset:2160
	v_add_f64 v[61:62], v[61:62], v[87:88]
	v_add_f64 v[63:64], v[93:94], v[63:64]
	s_waitcnt lgkmcnt(4)
	v_mul_f64 v[89:90], v[35:36], v[39:40]
	v_mul_f64 v[25:26], v[33:34], v[39:40]
	ds_read_b128 v[15:18], v28 offset:3584
	ds_read_b128 v[19:22], v28 offset:3840
	v_add_f64 v[49:50], v[67:68], v[49:50]
	s_waitcnt lgkmcnt(5)
	v_mul_f64 v[91:92], v[35:36], v[43:44]
	v_mul_f64 v[95:96], v[33:34], v[43:44]
	s_waitcnt lgkmcnt(4)
	v_mul_f64 v[97:98], v[47:48], v[39:40]
	v_mul_f64 v[39:40], v[45:46], v[39:40]
	v_add_f64 v[57:58], v[57:58], v[105:106]
	v_add_f64 v[65:66], v[109:110], v[65:66]
	;; [unrolled: 1-line block ×3, first 2 shown]
	v_mul_f64 v[53:54], v[47:48], v[43:44]
	v_mul_f64 v[43:44], v[45:46], v[43:44]
	s_waitcnt lgkmcnt(0)
	s_barrier
	buffer_gl0_inv
	v_fma_f64 v[67:68], v[33:34], v[37:38], -v[89:90]
	v_fma_f64 v[25:26], v[35:36], v[37:38], v[25:26]
	v_add_f64 v[49:50], v[49:50], v[83:84]
	v_fma_f64 v[33:34], v[33:34], v[41:42], -v[91:92]
	v_fma_f64 v[35:36], v[35:36], v[41:42], v[95:96]
	v_fma_f64 v[77:78], v[45:46], v[37:38], -v[97:98]
	v_fma_f64 v[37:38], v[47:48], v[37:38], v[39:40]
	v_add_f64 v[39:40], v[55:56], v[69:70]
	v_add_f64 v[55:56], v[71:72], v[59:60]
	v_add_f64 v[59:60], v[61:62], v[73:74]
	v_add_f64 v[61:62], v[75:76], v[63:64]
	v_add_f64 v[57:58], v[57:58], v[79:80]
	v_add_f64 v[63:64], v[81:82], v[65:66]
	v_add_f64 v[23:24], v[23:24], v[51:52]
	v_fma_f64 v[45:46], v[45:46], v[41:42], -v[53:54]
	v_fma_f64 v[41:42], v[47:48], v[41:42], v[43:44]
	v_mul_f64 v[43:44], v[5:6], v[17:18]
	v_mul_f64 v[47:48], v[3:4], v[17:18]
	;; [unrolled: 1-line block ×8, first 2 shown]
	v_add_f64 v[39:40], v[39:40], v[67:68]
	v_add_f64 v[25:26], v[25:26], v[55:56]
	;; [unrolled: 1-line block ×8, first 2 shown]
	v_fma_f64 v[23:24], v[3:4], v[15:16], -v[43:44]
	v_fma_f64 v[43:44], v[5:6], v[15:16], v[47:48]
	v_fma_f64 v[3:4], v[3:4], v[19:20], -v[51:52]
	v_fma_f64 v[5:6], v[5:6], v[19:20], v[53:54]
	;; [unrolled: 2-line block ×4, first 2 shown]
	v_add_f64 v[23:24], v[39:40], v[23:24]
	v_add_f64 v[25:26], v[43:44], v[25:26]
	;; [unrolled: 1-line block ×8, first 2 shown]
	s_cbranch_scc0 .LBB131_13
.LBB131_7:                              ; =>This Inner Loop Header: Depth=1
	v_add_nc_u32_e32 v3, s28, v30
	v_cmp_le_i32_e64 s0, s3, v3
	s_or_b32 s0, s1, s0
	s_and_saveexec_b32 s12, s0
	s_xor_b32 s0, exec_lo, s12
	s_cbranch_execz .LBB131_9
; %bb.8:                                ;   in Loop: Header=BB131_7 Depth=1
	v_mov_b32_e32 v3, v2
	v_mov_b32_e32 v4, v2
	;; [unrolled: 1-line block ×3, first 2 shown]
	ds_write_b128 v31, v[2:5]
.LBB131_9:                              ;   in Loop: Header=BB131_7 Depth=1
	s_andn2_saveexec_b32 s0, s0
	s_cbranch_execz .LBB131_11
; %bb.10:                               ;   in Loop: Header=BB131_7 Depth=1
	global_load_dwordx4 v[3:6], v[11:12], off
	s_waitcnt vmcnt(0)
	ds_write2_b64 v31, v[3:4], v[5:6] offset1:1
.LBB131_11:                             ;   in Loop: Header=BB131_7 Depth=1
	s_or_b32 exec_lo, exec_lo, s0
	v_add_nc_u32_e32 v3, s28, v27
	v_mov_b32_e32 v5, 0
	v_mov_b32_e32 v6, 0
	v_cmp_gt_i32_e64 s0, s3, v3
	v_mov_b32_e32 v3, 0
	v_mov_b32_e32 v4, 0
	s_and_b32 s12, s0, vcc_lo
	s_and_saveexec_b32 s0, s12
	s_cbranch_execz .LBB131_6
; %bb.12:                               ;   in Loop: Header=BB131_7 Depth=1
	global_load_dwordx4 v[3:6], v[13:14], off offset:-8
	s_waitcnt vmcnt(0)
	v_xor_b32_e32 v6, 0x80000000, v6
	s_branch .LBB131_6
.LBB131_13:
	s_clause 0x1
	s_load_dword s3, s[4:5], 0x60
	s_load_dwordx2 s[4:5], s[4:5], 0x68
	v_cmp_neq_f64_e64 s6, s[14:15], 0
	v_add_nc_u32_e32 v27, s11, v1
	v_add_nc_u32_e32 v4, s10, v0
	v_cmp_gt_i32_e64 s0, s2, v27
	v_cmp_le_i32_e32 vcc_lo, v4, v27
	v_ashrrev_i32_e32 v5, 31, v4
	s_waitcnt lgkmcnt(0)
	v_mad_i64_i32 v[0:1], null, v27, s3, 0
	s_mul_i32 s1, s5, s8
	s_mul_hi_u32 s5, s4, s8
	s_mul_i32 s4, s4, s8
	s_add_i32 s5, s5, s1
	s_lshl_b64 s[4:5], s[4:5], 4
	v_lshlrev_b64 v[0:1], 4, v[0:1]
	s_add_u32 s4, s18, s4
	s_addc_u32 s5, s19, s5
	s_xor_b32 s7, s9, -1
	s_or_b32 s6, s6, s7
	v_add_co_u32 v13, s1, s4, v0
	v_add_co_ci_u32_e64 v14, null, s5, v1, s1
	v_cndmask_b32_e64 v6, 0, 1, s6
	s_and_b32 s7, s0, vcc_lo
	s_and_saveexec_b32 s1, s7
	s_cbranch_execz .LBB131_17
; %bb.14:
	v_mul_f64 v[0:1], s[22:23], v[25:26]
	v_mul_f64 v[2:3], s[20:21], v[25:26]
	v_lshlrev_b64 v[11:12], 4, v[4:5]
	v_add_co_u32 v11, vcc_lo, v13, v11
	v_add_co_ci_u32_e64 v12, null, v14, v12, vcc_lo
	s_andn2_b32 vcc_lo, exec_lo, s6
	v_fma_f64 v[0:1], s[20:21], v[23:24], -v[0:1]
	v_fma_f64 v[2:3], s[22:23], v[23:24], v[2:3]
	s_cbranch_vccnz .LBB131_16
; %bb.15:
	global_load_dwordx4 v[23:26], v[11:12], off
	s_waitcnt vmcnt(0)
	v_mul_f64 v[28:29], s[16:17], v[25:26]
	v_mul_f64 v[25:26], s[14:15], v[25:26]
	v_fma_f64 v[28:29], s[14:15], v[23:24], -v[28:29]
	v_fma_f64 v[23:24], s[16:17], v[23:24], v[25:26]
	v_add_f64 v[0:1], v[0:1], v[28:29]
	v_add_f64 v[2:3], v[2:3], v[23:24]
.LBB131_16:
	global_store_dwordx4 v[11:12], v[0:3], off
.LBB131_17:
	s_or_b32 exec_lo, exec_lo, s1
	v_add_nc_u32_e32 v11, 16, v4
	v_cmp_le_i32_e32 vcc_lo, v11, v27
	v_ashrrev_i32_e32 v12, 31, v11
	s_and_b32 s0, s0, vcc_lo
	s_and_saveexec_b32 s1, s0
	s_cbranch_execz .LBB131_21
; %bb.18:
	v_mul_f64 v[0:1], s[22:23], v[21:22]
	v_mul_f64 v[2:3], s[20:21], v[21:22]
	v_cmp_ne_u32_e32 vcc_lo, 1, v6
	s_and_b32 vcc_lo, exec_lo, vcc_lo
	v_fma_f64 v[0:1], s[20:21], v[19:20], -v[0:1]
	v_fma_f64 v[2:3], s[22:23], v[19:20], v[2:3]
	v_lshlrev_b64 v[19:20], 4, v[11:12]
	v_add_co_u32 v13, s0, v13, v19
	v_add_co_ci_u32_e64 v14, null, v14, v20, s0
	s_cbranch_vccnz .LBB131_20
; %bb.19:
	global_load_dwordx4 v[19:22], v[13:14], off
	s_waitcnt vmcnt(0)
	v_mul_f64 v[23:24], s[16:17], v[21:22]
	v_mul_f64 v[21:22], s[14:15], v[21:22]
	v_fma_f64 v[23:24], s[14:15], v[19:20], -v[23:24]
	v_fma_f64 v[19:20], s[16:17], v[19:20], v[21:22]
	v_add_f64 v[0:1], v[0:1], v[23:24]
	v_add_f64 v[2:3], v[2:3], v[19:20]
.LBB131_20:
	global_store_dwordx4 v[13:14], v[0:3], off
.LBB131_21:
	s_or_b32 exec_lo, exec_lo, s1
	v_add_nc_u32_e32 v19, 16, v27
	v_mad_i64_i32 v[0:1], null, v19, s3, 0
	v_cmp_gt_i32_e64 s0, s2, v19
	v_cmp_le_i32_e32 vcc_lo, v4, v19
	v_lshlrev_b64 v[0:1], 4, v[0:1]
	v_add_co_u32 v13, s1, s4, v0
	v_add_co_ci_u32_e64 v14, null, s5, v1, s1
	s_and_b32 s1, s0, vcc_lo
	s_and_saveexec_b32 s2, s1
	s_cbranch_execz .LBB131_25
; %bb.22:
	v_mul_f64 v[0:1], s[22:23], v[17:18]
	v_mul_f64 v[2:3], s[20:21], v[17:18]
	v_lshlrev_b64 v[4:5], 4, v[4:5]
	v_cmp_ne_u32_e32 vcc_lo, 1, v6
	s_and_b32 vcc_lo, exec_lo, vcc_lo
	v_add_co_u32 v4, s1, v13, v4
	v_add_co_ci_u32_e64 v5, null, v14, v5, s1
	v_fma_f64 v[0:1], s[20:21], v[15:16], -v[0:1]
	v_fma_f64 v[2:3], s[22:23], v[15:16], v[2:3]
	s_cbranch_vccnz .LBB131_24
; %bb.23:
	global_load_dwordx4 v[15:18], v[4:5], off
	s_waitcnt vmcnt(0)
	v_mul_f64 v[20:21], s[16:17], v[17:18]
	v_mul_f64 v[17:18], s[14:15], v[17:18]
	v_fma_f64 v[20:21], s[14:15], v[15:16], -v[20:21]
	v_fma_f64 v[15:16], s[16:17], v[15:16], v[17:18]
	v_add_f64 v[0:1], v[0:1], v[20:21]
	v_add_f64 v[2:3], v[2:3], v[15:16]
.LBB131_24:
	global_store_dwordx4 v[4:5], v[0:3], off
.LBB131_25:
	s_or_b32 exec_lo, exec_lo, s2
	v_cmp_le_i32_e32 vcc_lo, v11, v19
	s_and_b32 s0, s0, vcc_lo
	s_and_saveexec_b32 s1, s0
	s_cbranch_execz .LBB131_30
; %bb.26:
	v_mul_f64 v[0:1], s[22:23], v[7:8]
	v_mul_f64 v[2:3], s[20:21], v[7:8]
	v_lshlrev_b64 v[4:5], 4, v[11:12]
	v_cmp_ne_u32_e32 vcc_lo, 1, v6
	s_and_b32 vcc_lo, exec_lo, vcc_lo
	v_add_co_u32 v4, s0, v13, v4
	v_add_co_ci_u32_e64 v5, null, v14, v5, s0
	v_fma_f64 v[0:1], s[20:21], v[9:10], -v[0:1]
	v_fma_f64 v[2:3], s[22:23], v[9:10], v[2:3]
	s_cbranch_vccnz .LBB131_28
; %bb.27:
	global_load_dwordx4 v[6:9], v[4:5], off
	s_waitcnt vmcnt(0)
	v_mul_f64 v[10:11], s[16:17], v[8:9]
	v_mul_f64 v[8:9], s[14:15], v[8:9]
	v_fma_f64 v[10:11], s[14:15], v[6:7], -v[10:11]
	v_fma_f64 v[6:7], s[16:17], v[6:7], v[8:9]
	v_add_f64 v[0:1], v[0:1], v[10:11]
	v_add_f64 v[2:3], v[2:3], v[6:7]
.LBB131_28:
	global_store_dwordx4 v[4:5], v[0:3], off
	s_endpgm
.LBB131_29:
.LBB131_30:
	s_endpgm
	.section	.rodata,"a",@progbits
	.p2align	6, 0x0
	.amdhsa_kernel _ZL29rocblas_internal_gemmt_kernelIiLi16ELi32ELi8ELc84ELc67ELc85ELb0ELb1E19rocblas_complex_numIdES1_PKS1_PS1_EviT_T9_T10_S5_lS7_S5_lS6_T11_S5_li
		.amdhsa_group_segment_fixed_size 8192
		.amdhsa_private_segment_fixed_size 0
		.amdhsa_kernarg_size 116
		.amdhsa_user_sgpr_count 6
		.amdhsa_user_sgpr_private_segment_buffer 1
		.amdhsa_user_sgpr_dispatch_ptr 0
		.amdhsa_user_sgpr_queue_ptr 0
		.amdhsa_user_sgpr_kernarg_segment_ptr 1
		.amdhsa_user_sgpr_dispatch_id 0
		.amdhsa_user_sgpr_flat_scratch_init 0
		.amdhsa_user_sgpr_private_segment_size 0
		.amdhsa_wavefront_size32 1
		.amdhsa_uses_dynamic_stack 0
		.amdhsa_system_sgpr_private_segment_wavefront_offset 0
		.amdhsa_system_sgpr_workgroup_id_x 1
		.amdhsa_system_sgpr_workgroup_id_y 1
		.amdhsa_system_sgpr_workgroup_id_z 1
		.amdhsa_system_sgpr_workgroup_info 0
		.amdhsa_system_vgpr_workitem_id 1
		.amdhsa_next_free_vgpr 127
		.amdhsa_next_free_sgpr 32
		.amdhsa_reserve_vcc 1
		.amdhsa_reserve_flat_scratch 0
		.amdhsa_float_round_mode_32 0
		.amdhsa_float_round_mode_16_64 0
		.amdhsa_float_denorm_mode_32 3
		.amdhsa_float_denorm_mode_16_64 3
		.amdhsa_dx10_clamp 1
		.amdhsa_ieee_mode 1
		.amdhsa_fp16_overflow 0
		.amdhsa_workgroup_processor_mode 1
		.amdhsa_memory_ordered 1
		.amdhsa_forward_progress 1
		.amdhsa_shared_vgpr_count 0
		.amdhsa_exception_fp_ieee_invalid_op 0
		.amdhsa_exception_fp_denorm_src 0
		.amdhsa_exception_fp_ieee_div_zero 0
		.amdhsa_exception_fp_ieee_overflow 0
		.amdhsa_exception_fp_ieee_underflow 0
		.amdhsa_exception_fp_ieee_inexact 0
		.amdhsa_exception_int_div_zero 0
	.end_amdhsa_kernel
	.section	.text._ZL29rocblas_internal_gemmt_kernelIiLi16ELi32ELi8ELc84ELc67ELc85ELb0ELb1E19rocblas_complex_numIdES1_PKS1_PS1_EviT_T9_T10_S5_lS7_S5_lS6_T11_S5_li,"axG",@progbits,_ZL29rocblas_internal_gemmt_kernelIiLi16ELi32ELi8ELc84ELc67ELc85ELb0ELb1E19rocblas_complex_numIdES1_PKS1_PS1_EviT_T9_T10_S5_lS7_S5_lS6_T11_S5_li,comdat
.Lfunc_end131:
	.size	_ZL29rocblas_internal_gemmt_kernelIiLi16ELi32ELi8ELc84ELc67ELc85ELb0ELb1E19rocblas_complex_numIdES1_PKS1_PS1_EviT_T9_T10_S5_lS7_S5_lS6_T11_S5_li, .Lfunc_end131-_ZL29rocblas_internal_gemmt_kernelIiLi16ELi32ELi8ELc84ELc67ELc85ELb0ELb1E19rocblas_complex_numIdES1_PKS1_PS1_EviT_T9_T10_S5_lS7_S5_lS6_T11_S5_li
                                        ; -- End function
	.set _ZL29rocblas_internal_gemmt_kernelIiLi16ELi32ELi8ELc84ELc67ELc85ELb0ELb1E19rocblas_complex_numIdES1_PKS1_PS1_EviT_T9_T10_S5_lS7_S5_lS6_T11_S5_li.num_vgpr, 127
	.set _ZL29rocblas_internal_gemmt_kernelIiLi16ELi32ELi8ELc84ELc67ELc85ELb0ELb1E19rocblas_complex_numIdES1_PKS1_PS1_EviT_T9_T10_S5_lS7_S5_lS6_T11_S5_li.num_agpr, 0
	.set _ZL29rocblas_internal_gemmt_kernelIiLi16ELi32ELi8ELc84ELc67ELc85ELb0ELb1E19rocblas_complex_numIdES1_PKS1_PS1_EviT_T9_T10_S5_lS7_S5_lS6_T11_S5_li.numbered_sgpr, 32
	.set _ZL29rocblas_internal_gemmt_kernelIiLi16ELi32ELi8ELc84ELc67ELc85ELb0ELb1E19rocblas_complex_numIdES1_PKS1_PS1_EviT_T9_T10_S5_lS7_S5_lS6_T11_S5_li.num_named_barrier, 0
	.set _ZL29rocblas_internal_gemmt_kernelIiLi16ELi32ELi8ELc84ELc67ELc85ELb0ELb1E19rocblas_complex_numIdES1_PKS1_PS1_EviT_T9_T10_S5_lS7_S5_lS6_T11_S5_li.private_seg_size, 0
	.set _ZL29rocblas_internal_gemmt_kernelIiLi16ELi32ELi8ELc84ELc67ELc85ELb0ELb1E19rocblas_complex_numIdES1_PKS1_PS1_EviT_T9_T10_S5_lS7_S5_lS6_T11_S5_li.uses_vcc, 1
	.set _ZL29rocblas_internal_gemmt_kernelIiLi16ELi32ELi8ELc84ELc67ELc85ELb0ELb1E19rocblas_complex_numIdES1_PKS1_PS1_EviT_T9_T10_S5_lS7_S5_lS6_T11_S5_li.uses_flat_scratch, 0
	.set _ZL29rocblas_internal_gemmt_kernelIiLi16ELi32ELi8ELc84ELc67ELc85ELb0ELb1E19rocblas_complex_numIdES1_PKS1_PS1_EviT_T9_T10_S5_lS7_S5_lS6_T11_S5_li.has_dyn_sized_stack, 0
	.set _ZL29rocblas_internal_gemmt_kernelIiLi16ELi32ELi8ELc84ELc67ELc85ELb0ELb1E19rocblas_complex_numIdES1_PKS1_PS1_EviT_T9_T10_S5_lS7_S5_lS6_T11_S5_li.has_recursion, 0
	.set _ZL29rocblas_internal_gemmt_kernelIiLi16ELi32ELi8ELc84ELc67ELc85ELb0ELb1E19rocblas_complex_numIdES1_PKS1_PS1_EviT_T9_T10_S5_lS7_S5_lS6_T11_S5_li.has_indirect_call, 0
	.section	.AMDGPU.csdata,"",@progbits
; Kernel info:
; codeLenInByte = 3540
; TotalNumSgprs: 34
; NumVgprs: 127
; ScratchSize: 0
; MemoryBound: 1
; FloatMode: 240
; IeeeMode: 1
; LDSByteSize: 8192 bytes/workgroup (compile time only)
; SGPRBlocks: 0
; VGPRBlocks: 15
; NumSGPRsForWavesPerEU: 34
; NumVGPRsForWavesPerEU: 127
; Occupancy: 8
; WaveLimiterHint : 0
; COMPUTE_PGM_RSRC2:SCRATCH_EN: 0
; COMPUTE_PGM_RSRC2:USER_SGPR: 6
; COMPUTE_PGM_RSRC2:TRAP_HANDLER: 0
; COMPUTE_PGM_RSRC2:TGID_X_EN: 1
; COMPUTE_PGM_RSRC2:TGID_Y_EN: 1
; COMPUTE_PGM_RSRC2:TGID_Z_EN: 1
; COMPUTE_PGM_RSRC2:TIDIG_COMP_CNT: 1
	.section	.text._ZL29rocblas_internal_gemmt_kernelIiLi16ELi32ELi8ELc67ELc78ELc85ELb1ELb0E19rocblas_complex_numIdES1_PKS1_PS1_EviT_T9_T10_S5_lS7_S5_lS6_T11_S5_li,"axG",@progbits,_ZL29rocblas_internal_gemmt_kernelIiLi16ELi32ELi8ELc67ELc78ELc85ELb1ELb0E19rocblas_complex_numIdES1_PKS1_PS1_EviT_T9_T10_S5_lS7_S5_lS6_T11_S5_li,comdat
	.globl	_ZL29rocblas_internal_gemmt_kernelIiLi16ELi32ELi8ELc67ELc78ELc85ELb1ELb0E19rocblas_complex_numIdES1_PKS1_PS1_EviT_T9_T10_S5_lS7_S5_lS6_T11_S5_li ; -- Begin function _ZL29rocblas_internal_gemmt_kernelIiLi16ELi32ELi8ELc67ELc78ELc85ELb1ELb0E19rocblas_complex_numIdES1_PKS1_PS1_EviT_T9_T10_S5_lS7_S5_lS6_T11_S5_li
	.p2align	8
	.type	_ZL29rocblas_internal_gemmt_kernelIiLi16ELi32ELi8ELc67ELc78ELc85ELb1ELb0E19rocblas_complex_numIdES1_PKS1_PS1_EviT_T9_T10_S5_lS7_S5_lS6_T11_S5_li,@function
_ZL29rocblas_internal_gemmt_kernelIiLi16ELi32ELi8ELc67ELc78ELc85ELb1ELb0E19rocblas_complex_numIdES1_PKS1_PS1_EviT_T9_T10_S5_lS7_S5_lS6_T11_S5_li: ; @_ZL29rocblas_internal_gemmt_kernelIiLi16ELi32ELi8ELc67ELc78ELc85ELb1ELb0E19rocblas_complex_numIdES1_PKS1_PS1_EviT_T9_T10_S5_lS7_S5_lS6_T11_S5_li
; %bb.0:
	s_clause 0x2
	s_load_dwordx8 s[12:19], s[4:5], 0x40
	s_load_dwordx2 s[2:3], s[4:5], 0x0
	s_load_dwordx4 s[20:23], s[4:5], 0x8
	s_waitcnt lgkmcnt(0)
	v_cmp_eq_f64_e64 s0, s[14:15], 1.0
	v_cmp_eq_f64_e64 s9, s[16:17], 0
	s_and_b32 s0, s0, s9
	s_andn2_b32 vcc_lo, exec_lo, s0
	s_mov_b32 s0, -1
	s_cbranch_vccnz .LBB132_3
; %bb.1:
	s_cmp_lg_u32 s3, 0
	s_cbranch_scc0 .LBB132_29
; %bb.2:
	v_cmp_neq_f64_e64 s0, s[20:21], 0
	v_cmp_neq_f64_e64 s1, s[22:23], 0
	s_or_b32 s0, s0, s1
.LBB132_3:
	s_and_b32 vcc_lo, exec_lo, s0
	s_cbranch_vccz .LBB132_30
; %bb.4:
	v_cmp_eq_f64_e64 s0, s[20:21], 0
	v_cmp_eq_f64_e64 s1, s[22:23], 0
	s_lshl_b32 s6, s6, 5
	s_lshl_b32 s7, s7, 5
	v_mov_b32_e32 v23, 0
	v_mov_b32_e32 v25, 0
	;; [unrolled: 1-line block ×16, first 2 shown]
	s_mov_b32 s10, 0
	s_and_b32 s0, s0, s1
	s_cmp_lt_i32 s3, 1
	s_cselect_b32 s1, -1, 0
	s_or_b32 s0, s0, s1
	s_and_b32 vcc_lo, exec_lo, s0
	s_cbranch_vccnz .LBB132_13
; %bb.5:
	s_clause 0x1
	s_load_dword s0, s[4:5], 0x20
	s_load_dwordx2 s[28:29], s[4:5], 0x18
	v_lshl_add_u32 v2, v1, 4, v0
	s_clause 0x1
	s_load_dwordx4 s[24:27], s[4:5], 0x28
	s_load_dword s1, s[4:5], 0x38
	v_and_b32_e32 v27, 7, v0
	v_mov_b32_e32 v17, 0
	v_and_b32_e32 v4, 31, v2
	v_lshrrev_b32_e32 v3, 3, v2
	v_lshrrev_b32_e32 v30, 5, v2
	v_lshlrev_b32_e32 v6, 4, v27
	v_mov_b32_e32 v15, 0
	v_add_nc_u32_e32 v2, s6, v4
	v_add_nc_u32_e32 v5, s7, v3
	v_or_b32_e32 v7, s6, v4
	v_lshl_or_b32 v8, v3, 7, v6
	v_lshlrev_b32_e32 v4, 4, v4
	v_lshlrev_b32_e32 v9, 4, v30
	v_mov_b32_e32 v21, 0
	v_cmp_gt_i32_e32 vcc_lo, s2, v7
	s_waitcnt lgkmcnt(0)
	v_mad_i64_i32 v[2:3], null, s0, v2, 0
	v_lshl_or_b32 v31, v30, 9, v4
	v_cmp_gt_i32_e64 s0, s2, v5
	s_mul_i32 s11, s25, s8
	s_mul_hi_u32 s25, s24, s8
	v_mad_i64_i32 v[4:5], null, s1, v5, 0
	v_lshlrev_b64 v[2:3], 4, v[2:3]
	s_mul_i32 s24, s24, s8
	s_add_i32 s25, s25, s11
	v_add_nc_u32_e32 v32, 0x1000, v8
	s_lshl_b64 s[24:25], s[24:25], 4
	s_mul_hi_u32 s11, s12, s8
	v_add_co_u32 v7, s1, v2, s24
	v_add_co_ci_u32_e64 v8, null, s25, v3, s1
	s_mul_i32 s1, s13, s8
	v_lshlrev_b64 v[2:3], 4, v[4:5]
	s_add_i32 s13, s11, s1
	s_mul_i32 s12, s12, s8
	v_add_co_u32 v4, s1, v7, v9
	s_lshl_b64 s[12:13], s[12:13], 4
	v_add_co_ci_u32_e64 v5, null, 0, v8, s1
	v_add_co_u32 v2, s1, v2, s12
	v_add_co_ci_u32_e64 v3, null, s13, v3, s1
	v_add_co_u32 v4, s1, s28, v4
	;; [unrolled: 2-line block ×5, first 2 shown]
	v_mov_b32_e32 v7, 0
	v_mov_b32_e32 v9, 0
	;; [unrolled: 1-line block ×5, first 2 shown]
	v_lshlrev_b32_e32 v28, 4, v0
	v_lshl_add_u32 v29, v1, 7, 0x1000
	v_add_co_ci_u32_e64 v14, null, s27, v3, s1
	v_mov_b32_e32 v8, 0
	v_mov_b32_e32 v10, 0
	;; [unrolled: 1-line block ×9, first 2 shown]
	s_xor_b32 s1, s0, -1
	s_branch .LBB132_7
.LBB132_6:                              ;   in Loop: Header=BB132_7 Depth=1
	s_or_b32 exec_lo, exec_lo, s0
	s_waitcnt lgkmcnt(0)
	s_barrier
	buffer_gl0_inv
	ds_read_b128 v[3:6], v29
	ds_read_b128 v[33:36], v28
	ds_read_b128 v[37:40], v28 offset:256
	ds_read_b128 v[41:44], v29 offset:2048
	;; [unrolled: 1-line block ×12, first 2 shown]
	v_add_co_u32 v11, s0, 0x80, v11
	v_add_co_ci_u32_e64 v12, null, 0, v12, s0
	v_add_co_u32 v13, s0, 0x80, v13
	v_add_co_ci_u32_e64 v14, null, 0, v14, s0
	s_waitcnt lgkmcnt(12)
	v_mul_f64 v[85:86], v[5:6], v[35:36]
	v_mul_f64 v[87:88], v[3:4], v[35:36]
	s_waitcnt lgkmcnt(11)
	v_mul_f64 v[89:90], v[5:6], v[39:40]
	v_mul_f64 v[91:92], v[3:4], v[39:40]
	;; [unrolled: 3-line block ×3, first 2 shown]
	v_mul_f64 v[95:96], v[43:44], v[39:40]
	v_mul_f64 v[39:40], v[41:42], v[39:40]
	s_waitcnt lgkmcnt(8)
	v_mul_f64 v[97:98], v[47:48], v[51:52]
	v_mul_f64 v[99:100], v[45:46], v[51:52]
	s_waitcnt lgkmcnt(7)
	;; [unrolled: 3-line block ×3, first 2 shown]
	v_mul_f64 v[105:106], v[59:60], v[51:52]
	v_mul_f64 v[51:52], v[57:58], v[51:52]
	v_mul_f64 v[107:108], v[59:60], v[55:56]
	v_mul_f64 v[55:56], v[57:58], v[55:56]
	s_waitcnt lgkmcnt(4)
	v_mul_f64 v[109:110], v[63:64], v[67:68]
	v_mul_f64 v[111:112], v[61:62], v[67:68]
	s_waitcnt lgkmcnt(3)
	v_mul_f64 v[113:114], v[63:64], v[71:72]
	v_mul_f64 v[115:116], v[61:62], v[71:72]
	;; [unrolled: 3-line block ×3, first 2 shown]
	v_fma_f64 v[85:86], v[3:4], v[33:34], -v[85:86]
	v_fma_f64 v[87:88], v[5:6], v[33:34], v[87:88]
	v_fma_f64 v[89:90], v[3:4], v[37:38], -v[89:90]
	v_fma_f64 v[91:92], v[5:6], v[37:38], v[91:92]
	;; [unrolled: 2-line block ×4, first 2 shown]
	v_mul_f64 v[123:124], v[75:76], v[71:72]
	v_mul_f64 v[71:72], v[73:74], v[71:72]
	v_fma_f64 v[97:98], v[45:46], v[49:50], -v[97:98]
	v_fma_f64 v[99:100], v[47:48], v[49:50], v[99:100]
	v_fma_f64 v[101:102], v[45:46], v[53:54], -v[101:102]
	v_fma_f64 v[103:104], v[47:48], v[53:54], v[103:104]
	;; [unrolled: 2-line block ×7, first 2 shown]
	v_add_f64 v[23:24], v[23:24], v[85:86]
	v_add_f64 v[25:26], v[87:88], v[25:26]
	;; [unrolled: 1-line block ×6, first 2 shown]
	v_fma_f64 v[73:74], v[73:74], v[69:70], -v[123:124]
	v_fma_f64 v[69:70], v[75:76], v[69:70], v[71:72]
	v_add_f64 v[71:72], v[15:16], v[93:94]
	v_add_f64 v[75:76], v[119:120], v[17:18]
	ds_read_b128 v[3:6], v28 offset:1536
	ds_read_b128 v[33:36], v28 offset:1792
	;; [unrolled: 1-line block ×7, first 2 shown]
	s_add_i32 s10, s10, 8
	s_cmp_lt_i32 s10, s3
	v_add_f64 v[97:98], v[23:24], v[97:98]
	v_add_f64 v[99:100], v[99:100], v[25:26]
	;; [unrolled: 1-line block ×6, first 2 shown]
	ds_read_b128 v[19:22], v28 offset:2560
	ds_read_b128 v[23:26], v28 offset:2816
	s_waitcnt lgkmcnt(8)
	v_mul_f64 v[109:110], v[79:80], v[5:6]
	v_mul_f64 v[111:112], v[77:78], v[5:6]
	s_waitcnt lgkmcnt(7)
	v_mul_f64 v[67:68], v[79:80], v[35:36]
	v_mul_f64 v[113:114], v[77:78], v[35:36]
	;; [unrolled: 1-line block ×6, first 2 shown]
	s_waitcnt lgkmcnt(4)
	v_mul_f64 v[95:96], v[39:40], v[47:48]
	v_add_f64 v[71:72], v[71:72], v[105:106]
	v_add_f64 v[75:76], v[125:126], v[75:76]
	v_mul_f64 v[93:94], v[37:38], v[43:44]
	ds_read_b128 v[5:8], v29 offset:80
	v_add_f64 v[55:56], v[97:98], v[55:56]
	v_add_f64 v[59:60], v[59:60], v[99:100]
	v_add_f64 v[61:62], v[101:102], v[61:62]
	v_add_f64 v[63:64], v[63:64], v[103:104]
	v_add_f64 v[9:10], v[9:10], v[73:74]
	v_add_f64 v[53:54], v[69:70], v[53:54]
	s_waitcnt lgkmcnt(2)
	v_mul_f64 v[99:100], v[17:18], v[21:22]
	s_waitcnt lgkmcnt(1)
	v_mul_f64 v[101:102], v[17:18], v[25:26]
	v_fma_f64 v[89:90], v[77:78], v[3:4], -v[109:110]
	v_fma_f64 v[91:92], v[79:80], v[3:4], v[111:112]
	v_fma_f64 v[67:68], v[77:78], v[33:34], -v[67:68]
	v_mul_f64 v[77:78], v[39:40], v[43:44]
	v_mul_f64 v[109:110], v[37:38], v[47:48]
	v_fma_f64 v[79:80], v[79:80], v[33:34], v[113:114]
	v_mul_f64 v[111:112], v[51:52], v[43:44]
	v_mul_f64 v[43:44], v[49:50], v[43:44]
	v_fma_f64 v[57:58], v[81:82], v[3:4], -v[115:116]
	v_fma_f64 v[3:4], v[83:84], v[3:4], v[117:118]
	v_fma_f64 v[81:82], v[81:82], v[33:34], -v[87:88]
	v_fma_f64 v[83:84], v[83:84], v[33:34], v[35:36]
	v_fma_f64 v[87:88], v[37:38], v[45:46], -v[95:96]
	v_mul_f64 v[95:96], v[51:52], v[47:48]
	v_mul_f64 v[47:48], v[49:50], v[47:48]
	v_add_f64 v[71:72], v[71:72], v[107:108]
	v_add_f64 v[65:66], v[65:66], v[75:76]
	v_fma_f64 v[85:86], v[39:40], v[41:42], v[93:94]
	s_waitcnt lgkmcnt(0)
	v_mul_f64 v[69:70], v[7:8], v[21:22]
	v_mul_f64 v[73:74], v[5:6], v[21:22]
	;; [unrolled: 1-line block ×6, first 2 shown]
	v_add_f64 v[55:56], v[55:56], v[89:90]
	v_fma_f64 v[77:78], v[37:38], v[41:42], -v[77:78]
	v_fma_f64 v[93:94], v[39:40], v[45:46], v[109:110]
	v_add_f64 v[59:60], v[91:92], v[59:60]
	v_fma_f64 v[105:106], v[49:50], v[41:42], -v[111:112]
	v_fma_f64 v[109:110], v[51:52], v[41:42], v[43:44]
	v_add_f64 v[61:62], v[61:62], v[67:68]
	v_add_f64 v[63:64], v[79:80], v[63:64]
	;; [unrolled: 1-line block ×4, first 2 shown]
	ds_read_b128 v[33:36], v29 offset:96
	ds_read_b128 v[37:40], v28 offset:3072
	v_fma_f64 v[49:50], v[49:50], v[45:46], -v[95:96]
	v_fma_f64 v[51:52], v[51:52], v[45:46], v[47:48]
	v_add_f64 v[57:58], v[71:72], v[57:58]
	v_add_f64 v[65:66], v[3:4], v[65:66]
	ds_read_b128 v[41:44], v28 offset:3328
	ds_read_b128 v[45:48], v29 offset:2144
	v_fma_f64 v[69:70], v[5:6], v[19:20], -v[69:70]
	v_fma_f64 v[71:72], v[7:8], v[19:20], v[73:74]
	v_fma_f64 v[73:74], v[5:6], v[23:24], -v[75:76]
	v_fma_f64 v[75:76], v[7:8], v[23:24], v[97:98]
	v_fma_f64 v[79:80], v[15:16], v[19:20], -v[99:100]
	v_fma_f64 v[81:82], v[17:18], v[19:20], v[21:22]
	v_fma_f64 v[83:84], v[15:16], v[23:24], -v[101:102]
	v_fma_f64 v[23:24], v[17:18], v[23:24], v[25:26]
	v_add_f64 v[55:56], v[55:56], v[77:78]
	v_add_f64 v[59:60], v[85:86], v[59:60]
	ds_read_b128 v[3:6], v29 offset:112
	ds_read_b128 v[7:10], v29 offset:2160
	v_add_f64 v[61:62], v[61:62], v[87:88]
	v_add_f64 v[63:64], v[93:94], v[63:64]
	s_waitcnt lgkmcnt(4)
	v_mul_f64 v[89:90], v[35:36], v[39:40]
	v_mul_f64 v[25:26], v[33:34], v[39:40]
	ds_read_b128 v[15:18], v28 offset:3584
	ds_read_b128 v[19:22], v28 offset:3840
	v_add_f64 v[49:50], v[67:68], v[49:50]
	s_waitcnt lgkmcnt(5)
	v_mul_f64 v[91:92], v[35:36], v[43:44]
	v_mul_f64 v[95:96], v[33:34], v[43:44]
	s_waitcnt lgkmcnt(4)
	v_mul_f64 v[97:98], v[47:48], v[39:40]
	v_mul_f64 v[39:40], v[45:46], v[39:40]
	v_add_f64 v[57:58], v[57:58], v[105:106]
	v_add_f64 v[65:66], v[109:110], v[65:66]
	;; [unrolled: 1-line block ×3, first 2 shown]
	v_mul_f64 v[53:54], v[47:48], v[43:44]
	v_mul_f64 v[43:44], v[45:46], v[43:44]
	s_waitcnt lgkmcnt(0)
	s_barrier
	buffer_gl0_inv
	v_fma_f64 v[67:68], v[33:34], v[37:38], -v[89:90]
	v_fma_f64 v[25:26], v[35:36], v[37:38], v[25:26]
	v_add_f64 v[49:50], v[49:50], v[83:84]
	v_fma_f64 v[33:34], v[33:34], v[41:42], -v[91:92]
	v_fma_f64 v[35:36], v[35:36], v[41:42], v[95:96]
	v_fma_f64 v[77:78], v[45:46], v[37:38], -v[97:98]
	v_fma_f64 v[37:38], v[47:48], v[37:38], v[39:40]
	v_add_f64 v[39:40], v[55:56], v[69:70]
	v_add_f64 v[55:56], v[71:72], v[59:60]
	;; [unrolled: 1-line block ×7, first 2 shown]
	v_fma_f64 v[45:46], v[45:46], v[41:42], -v[53:54]
	v_fma_f64 v[41:42], v[47:48], v[41:42], v[43:44]
	v_mul_f64 v[43:44], v[5:6], v[17:18]
	v_mul_f64 v[47:48], v[3:4], v[17:18]
	;; [unrolled: 1-line block ×8, first 2 shown]
	v_add_f64 v[39:40], v[39:40], v[67:68]
	v_add_f64 v[25:26], v[25:26], v[55:56]
	v_add_f64 v[33:34], v[59:60], v[33:34]
	v_add_f64 v[35:36], v[35:36], v[61:62]
	v_add_f64 v[55:56], v[57:58], v[77:78]
	v_add_f64 v[37:38], v[37:38], v[63:64]
	v_add_f64 v[45:46], v[49:50], v[45:46]
	v_add_f64 v[41:42], v[41:42], v[23:24]
	v_fma_f64 v[23:24], v[3:4], v[15:16], -v[43:44]
	v_fma_f64 v[43:44], v[5:6], v[15:16], v[47:48]
	v_fma_f64 v[3:4], v[3:4], v[19:20], -v[51:52]
	v_fma_f64 v[5:6], v[5:6], v[19:20], v[53:54]
	;; [unrolled: 2-line block ×4, first 2 shown]
	v_add_f64 v[23:24], v[39:40], v[23:24]
	v_add_f64 v[25:26], v[43:44], v[25:26]
	;; [unrolled: 1-line block ×8, first 2 shown]
	s_cbranch_scc0 .LBB132_13
.LBB132_7:                              ; =>This Inner Loop Header: Depth=1
	v_add_nc_u32_e32 v3, s10, v30
	v_mov_b32_e32 v5, 0
	v_mov_b32_e32 v6, 0
	v_cmp_gt_i32_e64 s0, s3, v3
	v_mov_b32_e32 v3, 0
	v_mov_b32_e32 v4, 0
	s_and_b32 s11, vcc_lo, s0
	s_and_saveexec_b32 s0, s11
	s_cbranch_execz .LBB132_9
; %bb.8:                                ;   in Loop: Header=BB132_7 Depth=1
	global_load_dwordx4 v[3:6], v[11:12], off offset:-8
	s_waitcnt vmcnt(0)
	v_xor_b32_e32 v6, 0x80000000, v6
.LBB132_9:                              ;   in Loop: Header=BB132_7 Depth=1
	s_or_b32 exec_lo, exec_lo, s0
	v_add_nc_u32_e32 v33, s10, v27
	ds_write_b128 v31, v[3:6]
	v_cmp_le_i32_e64 s0, s3, v33
	s_or_b32 s0, s0, s1
	s_and_saveexec_b32 s11, s0
	s_xor_b32 s0, exec_lo, s11
	s_cbranch_execz .LBB132_11
; %bb.10:                               ;   in Loop: Header=BB132_7 Depth=1
	v_mov_b32_e32 v3, v2
	v_mov_b32_e32 v4, v2
	;; [unrolled: 1-line block ×3, first 2 shown]
	ds_write_b128 v32, v[2:5]
.LBB132_11:                             ;   in Loop: Header=BB132_7 Depth=1
	s_andn2_saveexec_b32 s0, s0
	s_cbranch_execz .LBB132_6
; %bb.12:                               ;   in Loop: Header=BB132_7 Depth=1
	global_load_dwordx4 v[3:6], v[13:14], off
	s_waitcnt vmcnt(0)
	ds_write2_b64 v32, v[3:4], v[5:6] offset1:1
	s_branch .LBB132_6
.LBB132_13:
	s_clause 0x1
	s_load_dword s3, s[4:5], 0x60
	s_load_dwordx2 s[4:5], s[4:5], 0x68
	v_cmp_neq_f64_e64 s10, s[14:15], 0
	v_add_nc_u32_e32 v27, s7, v1
	v_add_nc_u32_e32 v4, s6, v0
	v_cmp_gt_i32_e64 s0, s2, v27
	v_cmp_le_i32_e32 vcc_lo, v4, v27
	v_ashrrev_i32_e32 v5, 31, v4
	s_waitcnt lgkmcnt(0)
	v_mad_i64_i32 v[0:1], null, v27, s3, 0
	s_mul_i32 s1, s5, s8
	s_mul_hi_u32 s5, s4, s8
	s_mul_i32 s4, s4, s8
	s_add_i32 s5, s5, s1
	s_lshl_b64 s[4:5], s[4:5], 4
	v_lshlrev_b64 v[0:1], 4, v[0:1]
	s_add_u32 s4, s18, s4
	s_addc_u32 s5, s19, s5
	s_xor_b32 s6, s9, -1
	s_and_b32 s7, s0, vcc_lo
	s_or_b32 s6, s10, s6
	v_add_co_u32 v13, s1, s4, v0
	v_add_co_ci_u32_e64 v14, null, s5, v1, s1
	v_cndmask_b32_e64 v6, 0, 1, s6
	s_and_saveexec_b32 s1, s7
	s_cbranch_execz .LBB132_17
; %bb.14:
	v_mul_f64 v[0:1], s[22:23], v[25:26]
	v_mul_f64 v[2:3], s[20:21], v[25:26]
	v_lshlrev_b64 v[11:12], 4, v[4:5]
	v_add_co_u32 v11, vcc_lo, v13, v11
	v_add_co_ci_u32_e64 v12, null, v14, v12, vcc_lo
	s_andn2_b32 vcc_lo, exec_lo, s6
	v_fma_f64 v[0:1], s[20:21], v[23:24], -v[0:1]
	v_fma_f64 v[2:3], s[22:23], v[23:24], v[2:3]
	s_cbranch_vccnz .LBB132_16
; %bb.15:
	global_load_dwordx4 v[23:26], v[11:12], off
	s_waitcnt vmcnt(0)
	v_mul_f64 v[28:29], s[16:17], v[25:26]
	v_mul_f64 v[25:26], s[14:15], v[25:26]
	v_fma_f64 v[28:29], s[14:15], v[23:24], -v[28:29]
	v_fma_f64 v[23:24], s[16:17], v[23:24], v[25:26]
	v_add_f64 v[0:1], v[0:1], v[28:29]
	v_add_f64 v[2:3], v[2:3], v[23:24]
.LBB132_16:
	global_store_dwordx4 v[11:12], v[0:3], off
.LBB132_17:
	s_or_b32 exec_lo, exec_lo, s1
	v_add_nc_u32_e32 v11, 16, v4
	v_cmp_le_i32_e32 vcc_lo, v11, v27
	v_ashrrev_i32_e32 v12, 31, v11
	s_and_b32 s0, s0, vcc_lo
	s_and_saveexec_b32 s1, s0
	s_cbranch_execz .LBB132_21
; %bb.18:
	v_mul_f64 v[0:1], s[22:23], v[21:22]
	v_mul_f64 v[2:3], s[20:21], v[21:22]
	v_cmp_ne_u32_e32 vcc_lo, 1, v6
	s_and_b32 vcc_lo, exec_lo, vcc_lo
	v_fma_f64 v[0:1], s[20:21], v[19:20], -v[0:1]
	v_fma_f64 v[2:3], s[22:23], v[19:20], v[2:3]
	v_lshlrev_b64 v[19:20], 4, v[11:12]
	v_add_co_u32 v13, s0, v13, v19
	v_add_co_ci_u32_e64 v14, null, v14, v20, s0
	s_cbranch_vccnz .LBB132_20
; %bb.19:
	global_load_dwordx4 v[19:22], v[13:14], off
	s_waitcnt vmcnt(0)
	v_mul_f64 v[23:24], s[16:17], v[21:22]
	v_mul_f64 v[21:22], s[14:15], v[21:22]
	v_fma_f64 v[23:24], s[14:15], v[19:20], -v[23:24]
	v_fma_f64 v[19:20], s[16:17], v[19:20], v[21:22]
	v_add_f64 v[0:1], v[0:1], v[23:24]
	v_add_f64 v[2:3], v[2:3], v[19:20]
.LBB132_20:
	global_store_dwordx4 v[13:14], v[0:3], off
.LBB132_21:
	s_or_b32 exec_lo, exec_lo, s1
	v_add_nc_u32_e32 v19, 16, v27
	v_mad_i64_i32 v[0:1], null, v19, s3, 0
	v_cmp_gt_i32_e64 s0, s2, v19
	v_cmp_le_i32_e32 vcc_lo, v4, v19
	v_lshlrev_b64 v[0:1], 4, v[0:1]
	v_add_co_u32 v13, s1, s4, v0
	v_add_co_ci_u32_e64 v14, null, s5, v1, s1
	s_and_b32 s1, s0, vcc_lo
	s_and_saveexec_b32 s2, s1
	s_cbranch_execz .LBB132_25
; %bb.22:
	v_mul_f64 v[0:1], s[22:23], v[17:18]
	v_mul_f64 v[2:3], s[20:21], v[17:18]
	v_lshlrev_b64 v[4:5], 4, v[4:5]
	v_cmp_ne_u32_e32 vcc_lo, 1, v6
	s_and_b32 vcc_lo, exec_lo, vcc_lo
	v_add_co_u32 v4, s1, v13, v4
	v_add_co_ci_u32_e64 v5, null, v14, v5, s1
	v_fma_f64 v[0:1], s[20:21], v[15:16], -v[0:1]
	v_fma_f64 v[2:3], s[22:23], v[15:16], v[2:3]
	s_cbranch_vccnz .LBB132_24
; %bb.23:
	global_load_dwordx4 v[15:18], v[4:5], off
	s_waitcnt vmcnt(0)
	v_mul_f64 v[20:21], s[16:17], v[17:18]
	v_mul_f64 v[17:18], s[14:15], v[17:18]
	v_fma_f64 v[20:21], s[14:15], v[15:16], -v[20:21]
	v_fma_f64 v[15:16], s[16:17], v[15:16], v[17:18]
	v_add_f64 v[0:1], v[0:1], v[20:21]
	v_add_f64 v[2:3], v[2:3], v[15:16]
.LBB132_24:
	global_store_dwordx4 v[4:5], v[0:3], off
.LBB132_25:
	s_or_b32 exec_lo, exec_lo, s2
	v_cmp_le_i32_e32 vcc_lo, v11, v19
	s_and_b32 s0, s0, vcc_lo
	s_and_saveexec_b32 s1, s0
	s_cbranch_execz .LBB132_30
; %bb.26:
	v_mul_f64 v[0:1], s[22:23], v[7:8]
	v_mul_f64 v[2:3], s[20:21], v[7:8]
	v_lshlrev_b64 v[4:5], 4, v[11:12]
	v_cmp_ne_u32_e32 vcc_lo, 1, v6
	s_and_b32 vcc_lo, exec_lo, vcc_lo
	v_add_co_u32 v4, s0, v13, v4
	v_add_co_ci_u32_e64 v5, null, v14, v5, s0
	v_fma_f64 v[0:1], s[20:21], v[9:10], -v[0:1]
	v_fma_f64 v[2:3], s[22:23], v[9:10], v[2:3]
	s_cbranch_vccnz .LBB132_28
; %bb.27:
	global_load_dwordx4 v[6:9], v[4:5], off
	s_waitcnt vmcnt(0)
	v_mul_f64 v[10:11], s[16:17], v[8:9]
	v_mul_f64 v[8:9], s[14:15], v[8:9]
	v_fma_f64 v[10:11], s[14:15], v[6:7], -v[10:11]
	v_fma_f64 v[6:7], s[16:17], v[6:7], v[8:9]
	v_add_f64 v[0:1], v[0:1], v[10:11]
	v_add_f64 v[2:3], v[2:3], v[6:7]
.LBB132_28:
	global_store_dwordx4 v[4:5], v[0:3], off
	s_endpgm
.LBB132_29:
.LBB132_30:
	s_endpgm
	.section	.rodata,"a",@progbits
	.p2align	6, 0x0
	.amdhsa_kernel _ZL29rocblas_internal_gemmt_kernelIiLi16ELi32ELi8ELc67ELc78ELc85ELb1ELb0E19rocblas_complex_numIdES1_PKS1_PS1_EviT_T9_T10_S5_lS7_S5_lS6_T11_S5_li
		.amdhsa_group_segment_fixed_size 8192
		.amdhsa_private_segment_fixed_size 0
		.amdhsa_kernarg_size 116
		.amdhsa_user_sgpr_count 6
		.amdhsa_user_sgpr_private_segment_buffer 1
		.amdhsa_user_sgpr_dispatch_ptr 0
		.amdhsa_user_sgpr_queue_ptr 0
		.amdhsa_user_sgpr_kernarg_segment_ptr 1
		.amdhsa_user_sgpr_dispatch_id 0
		.amdhsa_user_sgpr_flat_scratch_init 0
		.amdhsa_user_sgpr_private_segment_size 0
		.amdhsa_wavefront_size32 1
		.amdhsa_uses_dynamic_stack 0
		.amdhsa_system_sgpr_private_segment_wavefront_offset 0
		.amdhsa_system_sgpr_workgroup_id_x 1
		.amdhsa_system_sgpr_workgroup_id_y 1
		.amdhsa_system_sgpr_workgroup_id_z 1
		.amdhsa_system_sgpr_workgroup_info 0
		.amdhsa_system_vgpr_workitem_id 1
		.amdhsa_next_free_vgpr 127
		.amdhsa_next_free_sgpr 30
		.amdhsa_reserve_vcc 1
		.amdhsa_reserve_flat_scratch 0
		.amdhsa_float_round_mode_32 0
		.amdhsa_float_round_mode_16_64 0
		.amdhsa_float_denorm_mode_32 3
		.amdhsa_float_denorm_mode_16_64 3
		.amdhsa_dx10_clamp 1
		.amdhsa_ieee_mode 1
		.amdhsa_fp16_overflow 0
		.amdhsa_workgroup_processor_mode 1
		.amdhsa_memory_ordered 1
		.amdhsa_forward_progress 1
		.amdhsa_shared_vgpr_count 0
		.amdhsa_exception_fp_ieee_invalid_op 0
		.amdhsa_exception_fp_denorm_src 0
		.amdhsa_exception_fp_ieee_div_zero 0
		.amdhsa_exception_fp_ieee_overflow 0
		.amdhsa_exception_fp_ieee_underflow 0
		.amdhsa_exception_fp_ieee_inexact 0
		.amdhsa_exception_int_div_zero 0
	.end_amdhsa_kernel
	.section	.text._ZL29rocblas_internal_gemmt_kernelIiLi16ELi32ELi8ELc67ELc78ELc85ELb1ELb0E19rocblas_complex_numIdES1_PKS1_PS1_EviT_T9_T10_S5_lS7_S5_lS6_T11_S5_li,"axG",@progbits,_ZL29rocblas_internal_gemmt_kernelIiLi16ELi32ELi8ELc67ELc78ELc85ELb1ELb0E19rocblas_complex_numIdES1_PKS1_PS1_EviT_T9_T10_S5_lS7_S5_lS6_T11_S5_li,comdat
.Lfunc_end132:
	.size	_ZL29rocblas_internal_gemmt_kernelIiLi16ELi32ELi8ELc67ELc78ELc85ELb1ELb0E19rocblas_complex_numIdES1_PKS1_PS1_EviT_T9_T10_S5_lS7_S5_lS6_T11_S5_li, .Lfunc_end132-_ZL29rocblas_internal_gemmt_kernelIiLi16ELi32ELi8ELc67ELc78ELc85ELb1ELb0E19rocblas_complex_numIdES1_PKS1_PS1_EviT_T9_T10_S5_lS7_S5_lS6_T11_S5_li
                                        ; -- End function
	.set _ZL29rocblas_internal_gemmt_kernelIiLi16ELi32ELi8ELc67ELc78ELc85ELb1ELb0E19rocblas_complex_numIdES1_PKS1_PS1_EviT_T9_T10_S5_lS7_S5_lS6_T11_S5_li.num_vgpr, 127
	.set _ZL29rocblas_internal_gemmt_kernelIiLi16ELi32ELi8ELc67ELc78ELc85ELb1ELb0E19rocblas_complex_numIdES1_PKS1_PS1_EviT_T9_T10_S5_lS7_S5_lS6_T11_S5_li.num_agpr, 0
	.set _ZL29rocblas_internal_gemmt_kernelIiLi16ELi32ELi8ELc67ELc78ELc85ELb1ELb0E19rocblas_complex_numIdES1_PKS1_PS1_EviT_T9_T10_S5_lS7_S5_lS6_T11_S5_li.numbered_sgpr, 30
	.set _ZL29rocblas_internal_gemmt_kernelIiLi16ELi32ELi8ELc67ELc78ELc85ELb1ELb0E19rocblas_complex_numIdES1_PKS1_PS1_EviT_T9_T10_S5_lS7_S5_lS6_T11_S5_li.num_named_barrier, 0
	.set _ZL29rocblas_internal_gemmt_kernelIiLi16ELi32ELi8ELc67ELc78ELc85ELb1ELb0E19rocblas_complex_numIdES1_PKS1_PS1_EviT_T9_T10_S5_lS7_S5_lS6_T11_S5_li.private_seg_size, 0
	.set _ZL29rocblas_internal_gemmt_kernelIiLi16ELi32ELi8ELc67ELc78ELc85ELb1ELb0E19rocblas_complex_numIdES1_PKS1_PS1_EviT_T9_T10_S5_lS7_S5_lS6_T11_S5_li.uses_vcc, 1
	.set _ZL29rocblas_internal_gemmt_kernelIiLi16ELi32ELi8ELc67ELc78ELc85ELb1ELb0E19rocblas_complex_numIdES1_PKS1_PS1_EviT_T9_T10_S5_lS7_S5_lS6_T11_S5_li.uses_flat_scratch, 0
	.set _ZL29rocblas_internal_gemmt_kernelIiLi16ELi32ELi8ELc67ELc78ELc85ELb1ELb0E19rocblas_complex_numIdES1_PKS1_PS1_EviT_T9_T10_S5_lS7_S5_lS6_T11_S5_li.has_dyn_sized_stack, 0
	.set _ZL29rocblas_internal_gemmt_kernelIiLi16ELi32ELi8ELc67ELc78ELc85ELb1ELb0E19rocblas_complex_numIdES1_PKS1_PS1_EviT_T9_T10_S5_lS7_S5_lS6_T11_S5_li.has_recursion, 0
	.set _ZL29rocblas_internal_gemmt_kernelIiLi16ELi32ELi8ELc67ELc78ELc85ELb1ELb0E19rocblas_complex_numIdES1_PKS1_PS1_EviT_T9_T10_S5_lS7_S5_lS6_T11_S5_li.has_indirect_call, 0
	.section	.AMDGPU.csdata,"",@progbits
; Kernel info:
; codeLenInByte = 3528
; TotalNumSgprs: 32
; NumVgprs: 127
; ScratchSize: 0
; MemoryBound: 1
; FloatMode: 240
; IeeeMode: 1
; LDSByteSize: 8192 bytes/workgroup (compile time only)
; SGPRBlocks: 0
; VGPRBlocks: 15
; NumSGPRsForWavesPerEU: 32
; NumVGPRsForWavesPerEU: 127
; Occupancy: 8
; WaveLimiterHint : 0
; COMPUTE_PGM_RSRC2:SCRATCH_EN: 0
; COMPUTE_PGM_RSRC2:USER_SGPR: 6
; COMPUTE_PGM_RSRC2:TRAP_HANDLER: 0
; COMPUTE_PGM_RSRC2:TGID_X_EN: 1
; COMPUTE_PGM_RSRC2:TGID_Y_EN: 1
; COMPUTE_PGM_RSRC2:TGID_Z_EN: 1
; COMPUTE_PGM_RSRC2:TIDIG_COMP_CNT: 1
	.section	.text._ZL29rocblas_internal_gemmt_kernelIiLi16ELi32ELi8ELc67ELc84ELc85ELb1ELb0E19rocblas_complex_numIdES1_PKS1_PS1_EviT_T9_T10_S5_lS7_S5_lS6_T11_S5_li,"axG",@progbits,_ZL29rocblas_internal_gemmt_kernelIiLi16ELi32ELi8ELc67ELc84ELc85ELb1ELb0E19rocblas_complex_numIdES1_PKS1_PS1_EviT_T9_T10_S5_lS7_S5_lS6_T11_S5_li,comdat
	.globl	_ZL29rocblas_internal_gemmt_kernelIiLi16ELi32ELi8ELc67ELc84ELc85ELb1ELb0E19rocblas_complex_numIdES1_PKS1_PS1_EviT_T9_T10_S5_lS7_S5_lS6_T11_S5_li ; -- Begin function _ZL29rocblas_internal_gemmt_kernelIiLi16ELi32ELi8ELc67ELc84ELc85ELb1ELb0E19rocblas_complex_numIdES1_PKS1_PS1_EviT_T9_T10_S5_lS7_S5_lS6_T11_S5_li
	.p2align	8
	.type	_ZL29rocblas_internal_gemmt_kernelIiLi16ELi32ELi8ELc67ELc84ELc85ELb1ELb0E19rocblas_complex_numIdES1_PKS1_PS1_EviT_T9_T10_S5_lS7_S5_lS6_T11_S5_li,@function
_ZL29rocblas_internal_gemmt_kernelIiLi16ELi32ELi8ELc67ELc84ELc85ELb1ELb0E19rocblas_complex_numIdES1_PKS1_PS1_EviT_T9_T10_S5_lS7_S5_lS6_T11_S5_li: ; @_ZL29rocblas_internal_gemmt_kernelIiLi16ELi32ELi8ELc67ELc84ELc85ELb1ELb0E19rocblas_complex_numIdES1_PKS1_PS1_EviT_T9_T10_S5_lS7_S5_lS6_T11_S5_li
; %bb.0:
	s_clause 0x2
	s_load_dwordx8 s[12:19], s[4:5], 0x40
	s_load_dwordx2 s[2:3], s[4:5], 0x0
	s_load_dwordx4 s[20:23], s[4:5], 0x8
	s_waitcnt lgkmcnt(0)
	v_cmp_eq_f64_e64 s0, s[14:15], 1.0
	v_cmp_eq_f64_e64 s9, s[16:17], 0
	s_and_b32 s0, s0, s9
	s_andn2_b32 vcc_lo, exec_lo, s0
	s_mov_b32 s0, -1
	s_cbranch_vccnz .LBB133_3
; %bb.1:
	s_cmp_lg_u32 s3, 0
	s_cbranch_scc0 .LBB133_29
; %bb.2:
	v_cmp_neq_f64_e64 s0, s[20:21], 0
	v_cmp_neq_f64_e64 s1, s[22:23], 0
	s_or_b32 s0, s0, s1
.LBB133_3:
	s_and_b32 vcc_lo, exec_lo, s0
	s_cbranch_vccz .LBB133_30
; %bb.4:
	v_cmp_eq_f64_e64 s0, s[20:21], 0
	v_cmp_eq_f64_e64 s1, s[22:23], 0
	s_lshl_b32 s10, s6, 5
	s_lshl_b32 s11, s7, 5
	v_mov_b32_e32 v23, 0
	v_mov_b32_e32 v25, 0
	v_mov_b32_e32 v19, 0
	v_mov_b32_e32 v21, 0
	v_mov_b32_e32 v15, 0
	v_mov_b32_e32 v17, 0
	v_mov_b32_e32 v9, 0
	v_mov_b32_e32 v7, 0
	v_mov_b32_e32 v24, 0
	v_mov_b32_e32 v26, 0
	v_mov_b32_e32 v20, 0
	v_mov_b32_e32 v22, 0
	v_mov_b32_e32 v16, 0
	v_mov_b32_e32 v18, 0
	v_mov_b32_e32 v10, 0
	v_mov_b32_e32 v8, 0
	s_mov_b32 s28, 0
	s_and_b32 s0, s0, s1
	s_cmp_lt_i32 s3, 1
	s_cselect_b32 s1, -1, 0
	s_or_b32 s0, s0, s1
	s_and_b32 vcc_lo, exec_lo, s0
	s_cbranch_vccnz .LBB133_13
; %bb.5:
	s_clause 0x1
	s_load_dword s0, s[4:5], 0x20
	s_load_dwordx2 s[30:31], s[4:5], 0x18
	v_lshl_add_u32 v2, v1, 4, v0
	s_clause 0x1
	s_load_dwordx4 s[24:27], s[4:5], 0x28
	s_load_dword s6, s[4:5], 0x38
	v_and_b32_e32 v27, 7, v0
	v_mov_b32_e32 v17, 0
	v_mov_b32_e32 v15, 0
	v_and_b32_e32 v3, 31, v2
	v_lshrrev_b32_e32 v4, 3, v2
	v_lshlrev_b32_e32 v5, 4, v27
	v_lshrrev_b32_e32 v30, 5, v2
	v_mov_b32_e32 v21, 0
	v_or_b32_e32 v6, s10, v3
	v_lshlrev_b32_e32 v7, 4, v3
	v_add_nc_u32_e32 v3, s10, v3
	v_add_nc_u32_e32 v2, s11, v4
	v_lshl_or_b32 v8, v4, 7, v5
	v_cmp_gt_i32_e32 vcc_lo, s2, v6
	v_lshl_or_b32 v31, v30, 9, v7
	v_lshlrev_b32_e32 v10, 4, v30
	s_waitcnt lgkmcnt(0)
	v_mad_i64_i32 v[4:5], null, s0, v3, 0
	s_mul_i32 s1, s25, s8
	s_mul_hi_u32 s25, s24, s8
	v_mad_i64_i32 v[6:7], null, s6, v27, 0
	s_mul_i32 s24, s24, s8
	s_add_i32 s25, s25, s1
	v_lshlrev_b64 v[4:5], 4, v[4:5]
	s_lshl_b64 s[24:25], s[24:25], 4
	v_add_nc_u32_e32 v32, 0x1000, v8
	v_ashrrev_i32_e32 v3, 31, v2
	v_cmp_gt_i32_e64 s0, s2, v2
	v_mov_b32_e32 v19, 0
	v_add_co_u32 v8, s1, v4, s24
	v_add_co_ci_u32_e64 v9, null, s25, v5, s1
	s_mul_i32 s1, s13, s8
	s_mul_hi_u32 s13, s12, s8
	v_lshlrev_b64 v[4:5], 4, v[6:7]
	s_add_i32 s13, s13, s1
	s_mul_i32 s12, s12, s8
	v_add_co_u32 v6, s1, v8, v10
	s_lshl_b64 s[12:13], s[12:13], 4
	v_lshlrev_b64 v[2:3], 4, v[2:3]
	v_add_co_ci_u32_e64 v7, null, 0, v9, s1
	v_add_co_u32 v4, s1, s12, v4
	v_add_co_ci_u32_e64 v5, null, s13, v5, s1
	v_add_co_u32 v6, s1, s30, v6
	;; [unrolled: 2-line block ×5, first 2 shown]
	v_mov_b32_e32 v7, 0
	v_mov_b32_e32 v9, 0
	;; [unrolled: 1-line block ×4, first 2 shown]
	v_lshlrev_b32_e32 v28, 4, v0
	v_lshl_add_u32 v29, v1, 7, 0x1000
	v_add_co_ci_u32_e64 v14, null, s27, v3, s1
	v_mov_b32_e32 v8, 0
	v_mov_b32_e32 v10, 0
	;; [unrolled: 1-line block ×9, first 2 shown]
	s_ashr_i32 s7, s6, 31
	s_xor_b32 s1, s0, -1
	s_lshl_b64 s[6:7], s[6:7], 7
	s_branch .LBB133_7
.LBB133_6:                              ;   in Loop: Header=BB133_7 Depth=1
	s_or_b32 exec_lo, exec_lo, s0
	s_waitcnt lgkmcnt(0)
	s_barrier
	buffer_gl0_inv
	ds_read_b128 v[3:6], v29
	ds_read_b128 v[33:36], v28
	ds_read_b128 v[37:40], v28 offset:256
	ds_read_b128 v[41:44], v29 offset:2048
	;; [unrolled: 1-line block ×12, first 2 shown]
	v_add_co_u32 v11, s0, 0x80, v11
	v_add_co_ci_u32_e64 v12, null, 0, v12, s0
	v_add_co_u32 v13, s0, v13, s6
	v_add_co_ci_u32_e64 v14, null, s7, v14, s0
	s_waitcnt lgkmcnt(12)
	v_mul_f64 v[85:86], v[5:6], v[35:36]
	v_mul_f64 v[87:88], v[3:4], v[35:36]
	s_waitcnt lgkmcnt(11)
	v_mul_f64 v[89:90], v[5:6], v[39:40]
	v_mul_f64 v[91:92], v[3:4], v[39:40]
	;; [unrolled: 3-line block ×3, first 2 shown]
	v_mul_f64 v[95:96], v[43:44], v[39:40]
	v_mul_f64 v[39:40], v[41:42], v[39:40]
	s_waitcnt lgkmcnt(8)
	v_mul_f64 v[97:98], v[47:48], v[51:52]
	v_mul_f64 v[99:100], v[45:46], v[51:52]
	s_waitcnt lgkmcnt(7)
	;; [unrolled: 3-line block ×3, first 2 shown]
	v_mul_f64 v[105:106], v[59:60], v[51:52]
	v_mul_f64 v[51:52], v[57:58], v[51:52]
	;; [unrolled: 1-line block ×4, first 2 shown]
	s_waitcnt lgkmcnt(4)
	v_mul_f64 v[109:110], v[63:64], v[67:68]
	v_mul_f64 v[111:112], v[61:62], v[67:68]
	s_waitcnt lgkmcnt(3)
	v_mul_f64 v[113:114], v[63:64], v[71:72]
	v_mul_f64 v[115:116], v[61:62], v[71:72]
	s_waitcnt lgkmcnt(2)
	v_mul_f64 v[117:118], v[75:76], v[67:68]
	v_mul_f64 v[67:68], v[73:74], v[67:68]
	v_fma_f64 v[85:86], v[3:4], v[33:34], -v[85:86]
	v_fma_f64 v[87:88], v[5:6], v[33:34], v[87:88]
	v_fma_f64 v[89:90], v[3:4], v[37:38], -v[89:90]
	v_fma_f64 v[91:92], v[5:6], v[37:38], v[91:92]
	v_fma_f64 v[93:94], v[41:42], v[33:34], -v[93:94]
	v_fma_f64 v[119:120], v[43:44], v[33:34], v[35:36]
	v_fma_f64 v[95:96], v[41:42], v[37:38], -v[95:96]
	v_fma_f64 v[121:122], v[43:44], v[37:38], v[39:40]
	v_mul_f64 v[123:124], v[75:76], v[71:72]
	v_mul_f64 v[71:72], v[73:74], v[71:72]
	v_fma_f64 v[97:98], v[45:46], v[49:50], -v[97:98]
	v_fma_f64 v[99:100], v[47:48], v[49:50], v[99:100]
	v_fma_f64 v[101:102], v[45:46], v[53:54], -v[101:102]
	v_fma_f64 v[103:104], v[47:48], v[53:54], v[103:104]
	v_fma_f64 v[105:106], v[57:58], v[49:50], -v[105:106]
	v_fma_f64 v[125:126], v[59:60], v[49:50], v[51:52]
	v_fma_f64 v[57:58], v[57:58], v[53:54], -v[107:108]
	v_fma_f64 v[53:54], v[59:60], v[53:54], v[55:56]
	v_fma_f64 v[55:56], v[61:62], v[65:66], -v[109:110]
	v_fma_f64 v[59:60], v[63:64], v[65:66], v[111:112]
	v_fma_f64 v[61:62], v[61:62], v[69:70], -v[113:114]
	v_fma_f64 v[63:64], v[63:64], v[69:70], v[115:116]
	v_fma_f64 v[107:108], v[73:74], v[65:66], -v[117:118]
	v_fma_f64 v[65:66], v[75:76], v[65:66], v[67:68]
	v_add_f64 v[23:24], v[23:24], v[85:86]
	v_add_f64 v[25:26], v[87:88], v[25:26]
	;; [unrolled: 1-line block ×6, first 2 shown]
	v_fma_f64 v[73:74], v[73:74], v[69:70], -v[123:124]
	v_fma_f64 v[69:70], v[75:76], v[69:70], v[71:72]
	v_add_f64 v[71:72], v[15:16], v[93:94]
	v_add_f64 v[75:76], v[119:120], v[17:18]
	ds_read_b128 v[3:6], v28 offset:1536
	ds_read_b128 v[33:36], v28 offset:1792
	ds_read_b128 v[37:40], v29 offset:64
	ds_read_b128 v[41:44], v28 offset:2048
	ds_read_b128 v[45:48], v28 offset:2304
	ds_read_b128 v[49:52], v29 offset:2112
	ds_read_b128 v[15:18], v29 offset:2128
	s_add_i32 s28, s28, 8
	s_cmp_lt_i32 s28, s3
	v_add_f64 v[97:98], v[23:24], v[97:98]
	v_add_f64 v[99:100], v[99:100], v[25:26]
	;; [unrolled: 1-line block ×6, first 2 shown]
	ds_read_b128 v[19:22], v28 offset:2560
	ds_read_b128 v[23:26], v28 offset:2816
	s_waitcnt lgkmcnt(8)
	v_mul_f64 v[109:110], v[79:80], v[5:6]
	v_mul_f64 v[111:112], v[77:78], v[5:6]
	s_waitcnt lgkmcnt(7)
	v_mul_f64 v[67:68], v[79:80], v[35:36]
	v_mul_f64 v[113:114], v[77:78], v[35:36]
	;; [unrolled: 1-line block ×6, first 2 shown]
	s_waitcnt lgkmcnt(4)
	v_mul_f64 v[95:96], v[39:40], v[47:48]
	v_add_f64 v[71:72], v[71:72], v[105:106]
	v_add_f64 v[75:76], v[125:126], v[75:76]
	v_mul_f64 v[93:94], v[37:38], v[43:44]
	ds_read_b128 v[5:8], v29 offset:80
	v_add_f64 v[55:56], v[97:98], v[55:56]
	v_add_f64 v[59:60], v[59:60], v[99:100]
	;; [unrolled: 1-line block ×6, first 2 shown]
	s_waitcnt lgkmcnt(2)
	v_mul_f64 v[99:100], v[17:18], v[21:22]
	s_waitcnt lgkmcnt(1)
	v_mul_f64 v[101:102], v[17:18], v[25:26]
	v_fma_f64 v[89:90], v[77:78], v[3:4], -v[109:110]
	v_fma_f64 v[91:92], v[79:80], v[3:4], v[111:112]
	v_fma_f64 v[67:68], v[77:78], v[33:34], -v[67:68]
	v_mul_f64 v[77:78], v[39:40], v[43:44]
	v_mul_f64 v[109:110], v[37:38], v[47:48]
	v_fma_f64 v[79:80], v[79:80], v[33:34], v[113:114]
	v_mul_f64 v[111:112], v[51:52], v[43:44]
	v_mul_f64 v[43:44], v[49:50], v[43:44]
	v_fma_f64 v[57:58], v[81:82], v[3:4], -v[115:116]
	v_fma_f64 v[3:4], v[83:84], v[3:4], v[117:118]
	v_fma_f64 v[81:82], v[81:82], v[33:34], -v[87:88]
	v_fma_f64 v[83:84], v[83:84], v[33:34], v[35:36]
	v_fma_f64 v[87:88], v[37:38], v[45:46], -v[95:96]
	v_mul_f64 v[95:96], v[51:52], v[47:48]
	v_mul_f64 v[47:48], v[49:50], v[47:48]
	v_add_f64 v[71:72], v[71:72], v[107:108]
	v_add_f64 v[65:66], v[65:66], v[75:76]
	v_fma_f64 v[85:86], v[39:40], v[41:42], v[93:94]
	s_waitcnt lgkmcnt(0)
	v_mul_f64 v[69:70], v[7:8], v[21:22]
	v_mul_f64 v[73:74], v[5:6], v[21:22]
	;; [unrolled: 1-line block ×6, first 2 shown]
	v_add_f64 v[55:56], v[55:56], v[89:90]
	v_fma_f64 v[77:78], v[37:38], v[41:42], -v[77:78]
	v_fma_f64 v[93:94], v[39:40], v[45:46], v[109:110]
	v_add_f64 v[59:60], v[91:92], v[59:60]
	v_fma_f64 v[105:106], v[49:50], v[41:42], -v[111:112]
	v_fma_f64 v[109:110], v[51:52], v[41:42], v[43:44]
	v_add_f64 v[61:62], v[61:62], v[67:68]
	v_add_f64 v[63:64], v[79:80], v[63:64]
	;; [unrolled: 1-line block ×4, first 2 shown]
	ds_read_b128 v[33:36], v29 offset:96
	ds_read_b128 v[37:40], v28 offset:3072
	v_fma_f64 v[49:50], v[49:50], v[45:46], -v[95:96]
	v_fma_f64 v[51:52], v[51:52], v[45:46], v[47:48]
	v_add_f64 v[57:58], v[71:72], v[57:58]
	v_add_f64 v[65:66], v[3:4], v[65:66]
	ds_read_b128 v[41:44], v28 offset:3328
	ds_read_b128 v[45:48], v29 offset:2144
	v_fma_f64 v[69:70], v[5:6], v[19:20], -v[69:70]
	v_fma_f64 v[71:72], v[7:8], v[19:20], v[73:74]
	v_fma_f64 v[73:74], v[5:6], v[23:24], -v[75:76]
	v_fma_f64 v[75:76], v[7:8], v[23:24], v[97:98]
	;; [unrolled: 2-line block ×4, first 2 shown]
	v_add_f64 v[55:56], v[55:56], v[77:78]
	v_add_f64 v[59:60], v[85:86], v[59:60]
	ds_read_b128 v[3:6], v29 offset:112
	ds_read_b128 v[7:10], v29 offset:2160
	v_add_f64 v[61:62], v[61:62], v[87:88]
	v_add_f64 v[63:64], v[93:94], v[63:64]
	s_waitcnt lgkmcnt(4)
	v_mul_f64 v[89:90], v[35:36], v[39:40]
	v_mul_f64 v[25:26], v[33:34], v[39:40]
	ds_read_b128 v[15:18], v28 offset:3584
	ds_read_b128 v[19:22], v28 offset:3840
	v_add_f64 v[49:50], v[67:68], v[49:50]
	s_waitcnt lgkmcnt(5)
	v_mul_f64 v[91:92], v[35:36], v[43:44]
	v_mul_f64 v[95:96], v[33:34], v[43:44]
	s_waitcnt lgkmcnt(4)
	v_mul_f64 v[97:98], v[47:48], v[39:40]
	v_mul_f64 v[39:40], v[45:46], v[39:40]
	v_add_f64 v[57:58], v[57:58], v[105:106]
	v_add_f64 v[65:66], v[109:110], v[65:66]
	;; [unrolled: 1-line block ×3, first 2 shown]
	v_mul_f64 v[53:54], v[47:48], v[43:44]
	v_mul_f64 v[43:44], v[45:46], v[43:44]
	s_waitcnt lgkmcnt(0)
	s_barrier
	buffer_gl0_inv
	v_fma_f64 v[67:68], v[33:34], v[37:38], -v[89:90]
	v_fma_f64 v[25:26], v[35:36], v[37:38], v[25:26]
	v_add_f64 v[49:50], v[49:50], v[83:84]
	v_fma_f64 v[33:34], v[33:34], v[41:42], -v[91:92]
	v_fma_f64 v[35:36], v[35:36], v[41:42], v[95:96]
	v_fma_f64 v[77:78], v[45:46], v[37:38], -v[97:98]
	v_fma_f64 v[37:38], v[47:48], v[37:38], v[39:40]
	v_add_f64 v[39:40], v[55:56], v[69:70]
	v_add_f64 v[55:56], v[71:72], v[59:60]
	v_add_f64 v[59:60], v[61:62], v[73:74]
	v_add_f64 v[61:62], v[75:76], v[63:64]
	v_add_f64 v[57:58], v[57:58], v[79:80]
	v_add_f64 v[63:64], v[81:82], v[65:66]
	v_add_f64 v[23:24], v[23:24], v[51:52]
	v_fma_f64 v[45:46], v[45:46], v[41:42], -v[53:54]
	v_fma_f64 v[41:42], v[47:48], v[41:42], v[43:44]
	v_mul_f64 v[43:44], v[5:6], v[17:18]
	v_mul_f64 v[47:48], v[3:4], v[17:18]
	;; [unrolled: 1-line block ×8, first 2 shown]
	v_add_f64 v[39:40], v[39:40], v[67:68]
	v_add_f64 v[25:26], v[25:26], v[55:56]
	;; [unrolled: 1-line block ×8, first 2 shown]
	v_fma_f64 v[23:24], v[3:4], v[15:16], -v[43:44]
	v_fma_f64 v[43:44], v[5:6], v[15:16], v[47:48]
	v_fma_f64 v[3:4], v[3:4], v[19:20], -v[51:52]
	v_fma_f64 v[5:6], v[5:6], v[19:20], v[53:54]
	;; [unrolled: 2-line block ×4, first 2 shown]
	v_add_f64 v[23:24], v[39:40], v[23:24]
	v_add_f64 v[25:26], v[43:44], v[25:26]
	;; [unrolled: 1-line block ×8, first 2 shown]
	s_cbranch_scc0 .LBB133_13
.LBB133_7:                              ; =>This Inner Loop Header: Depth=1
	v_add_nc_u32_e32 v3, s28, v30
	v_mov_b32_e32 v5, 0
	v_mov_b32_e32 v6, 0
	v_cmp_gt_i32_e64 s0, s3, v3
	v_mov_b32_e32 v3, 0
	v_mov_b32_e32 v4, 0
	s_and_b32 s12, vcc_lo, s0
	s_and_saveexec_b32 s0, s12
	s_cbranch_execz .LBB133_9
; %bb.8:                                ;   in Loop: Header=BB133_7 Depth=1
	global_load_dwordx4 v[3:6], v[11:12], off offset:-8
	s_waitcnt vmcnt(0)
	v_xor_b32_e32 v6, 0x80000000, v6
.LBB133_9:                              ;   in Loop: Header=BB133_7 Depth=1
	s_or_b32 exec_lo, exec_lo, s0
	v_add_nc_u32_e32 v33, s28, v27
	ds_write_b128 v31, v[3:6]
	v_cmp_le_i32_e64 s0, s3, v33
	s_or_b32 s0, s0, s1
	s_and_saveexec_b32 s12, s0
	s_xor_b32 s0, exec_lo, s12
	s_cbranch_execz .LBB133_11
; %bb.10:                               ;   in Loop: Header=BB133_7 Depth=1
	v_mov_b32_e32 v3, v2
	v_mov_b32_e32 v4, v2
	;; [unrolled: 1-line block ×3, first 2 shown]
	ds_write_b128 v32, v[2:5]
.LBB133_11:                             ;   in Loop: Header=BB133_7 Depth=1
	s_andn2_saveexec_b32 s0, s0
	s_cbranch_execz .LBB133_6
; %bb.12:                               ;   in Loop: Header=BB133_7 Depth=1
	global_load_dwordx4 v[3:6], v[13:14], off
	s_waitcnt vmcnt(0)
	ds_write2_b64 v32, v[3:4], v[5:6] offset1:1
	s_branch .LBB133_6
.LBB133_13:
	s_clause 0x1
	s_load_dword s3, s[4:5], 0x60
	s_load_dwordx2 s[4:5], s[4:5], 0x68
	v_cmp_neq_f64_e64 s6, s[14:15], 0
	v_add_nc_u32_e32 v27, s11, v1
	v_add_nc_u32_e32 v4, s10, v0
	v_cmp_gt_i32_e64 s0, s2, v27
	v_cmp_le_i32_e32 vcc_lo, v4, v27
	v_ashrrev_i32_e32 v5, 31, v4
	s_waitcnt lgkmcnt(0)
	v_mad_i64_i32 v[0:1], null, v27, s3, 0
	s_mul_i32 s1, s5, s8
	s_mul_hi_u32 s5, s4, s8
	s_mul_i32 s4, s4, s8
	s_add_i32 s5, s5, s1
	s_lshl_b64 s[4:5], s[4:5], 4
	v_lshlrev_b64 v[0:1], 4, v[0:1]
	s_add_u32 s4, s18, s4
	s_addc_u32 s5, s19, s5
	s_xor_b32 s7, s9, -1
	s_or_b32 s6, s6, s7
	v_add_co_u32 v13, s1, s4, v0
	v_add_co_ci_u32_e64 v14, null, s5, v1, s1
	v_cndmask_b32_e64 v6, 0, 1, s6
	s_and_b32 s7, s0, vcc_lo
	s_and_saveexec_b32 s1, s7
	s_cbranch_execz .LBB133_17
; %bb.14:
	v_mul_f64 v[0:1], s[22:23], v[25:26]
	v_mul_f64 v[2:3], s[20:21], v[25:26]
	v_lshlrev_b64 v[11:12], 4, v[4:5]
	v_add_co_u32 v11, vcc_lo, v13, v11
	v_add_co_ci_u32_e64 v12, null, v14, v12, vcc_lo
	s_andn2_b32 vcc_lo, exec_lo, s6
	v_fma_f64 v[0:1], s[20:21], v[23:24], -v[0:1]
	v_fma_f64 v[2:3], s[22:23], v[23:24], v[2:3]
	s_cbranch_vccnz .LBB133_16
; %bb.15:
	global_load_dwordx4 v[23:26], v[11:12], off
	s_waitcnt vmcnt(0)
	v_mul_f64 v[28:29], s[16:17], v[25:26]
	v_mul_f64 v[25:26], s[14:15], v[25:26]
	v_fma_f64 v[28:29], s[14:15], v[23:24], -v[28:29]
	v_fma_f64 v[23:24], s[16:17], v[23:24], v[25:26]
	v_add_f64 v[0:1], v[0:1], v[28:29]
	v_add_f64 v[2:3], v[2:3], v[23:24]
.LBB133_16:
	global_store_dwordx4 v[11:12], v[0:3], off
.LBB133_17:
	s_or_b32 exec_lo, exec_lo, s1
	v_add_nc_u32_e32 v11, 16, v4
	v_cmp_le_i32_e32 vcc_lo, v11, v27
	v_ashrrev_i32_e32 v12, 31, v11
	s_and_b32 s0, s0, vcc_lo
	s_and_saveexec_b32 s1, s0
	s_cbranch_execz .LBB133_21
; %bb.18:
	v_mul_f64 v[0:1], s[22:23], v[21:22]
	v_mul_f64 v[2:3], s[20:21], v[21:22]
	v_cmp_ne_u32_e32 vcc_lo, 1, v6
	s_and_b32 vcc_lo, exec_lo, vcc_lo
	v_fma_f64 v[0:1], s[20:21], v[19:20], -v[0:1]
	v_fma_f64 v[2:3], s[22:23], v[19:20], v[2:3]
	v_lshlrev_b64 v[19:20], 4, v[11:12]
	v_add_co_u32 v13, s0, v13, v19
	v_add_co_ci_u32_e64 v14, null, v14, v20, s0
	s_cbranch_vccnz .LBB133_20
; %bb.19:
	global_load_dwordx4 v[19:22], v[13:14], off
	s_waitcnt vmcnt(0)
	v_mul_f64 v[23:24], s[16:17], v[21:22]
	v_mul_f64 v[21:22], s[14:15], v[21:22]
	v_fma_f64 v[23:24], s[14:15], v[19:20], -v[23:24]
	v_fma_f64 v[19:20], s[16:17], v[19:20], v[21:22]
	v_add_f64 v[0:1], v[0:1], v[23:24]
	v_add_f64 v[2:3], v[2:3], v[19:20]
.LBB133_20:
	global_store_dwordx4 v[13:14], v[0:3], off
.LBB133_21:
	s_or_b32 exec_lo, exec_lo, s1
	v_add_nc_u32_e32 v19, 16, v27
	v_mad_i64_i32 v[0:1], null, v19, s3, 0
	v_cmp_gt_i32_e64 s0, s2, v19
	v_cmp_le_i32_e32 vcc_lo, v4, v19
	v_lshlrev_b64 v[0:1], 4, v[0:1]
	v_add_co_u32 v13, s1, s4, v0
	v_add_co_ci_u32_e64 v14, null, s5, v1, s1
	s_and_b32 s1, s0, vcc_lo
	s_and_saveexec_b32 s2, s1
	s_cbranch_execz .LBB133_25
; %bb.22:
	v_mul_f64 v[0:1], s[22:23], v[17:18]
	v_mul_f64 v[2:3], s[20:21], v[17:18]
	v_lshlrev_b64 v[4:5], 4, v[4:5]
	v_cmp_ne_u32_e32 vcc_lo, 1, v6
	s_and_b32 vcc_lo, exec_lo, vcc_lo
	v_add_co_u32 v4, s1, v13, v4
	v_add_co_ci_u32_e64 v5, null, v14, v5, s1
	v_fma_f64 v[0:1], s[20:21], v[15:16], -v[0:1]
	v_fma_f64 v[2:3], s[22:23], v[15:16], v[2:3]
	s_cbranch_vccnz .LBB133_24
; %bb.23:
	global_load_dwordx4 v[15:18], v[4:5], off
	s_waitcnt vmcnt(0)
	v_mul_f64 v[20:21], s[16:17], v[17:18]
	v_mul_f64 v[17:18], s[14:15], v[17:18]
	v_fma_f64 v[20:21], s[14:15], v[15:16], -v[20:21]
	v_fma_f64 v[15:16], s[16:17], v[15:16], v[17:18]
	v_add_f64 v[0:1], v[0:1], v[20:21]
	v_add_f64 v[2:3], v[2:3], v[15:16]
.LBB133_24:
	global_store_dwordx4 v[4:5], v[0:3], off
.LBB133_25:
	s_or_b32 exec_lo, exec_lo, s2
	v_cmp_le_i32_e32 vcc_lo, v11, v19
	s_and_b32 s0, s0, vcc_lo
	s_and_saveexec_b32 s1, s0
	s_cbranch_execz .LBB133_30
; %bb.26:
	v_mul_f64 v[0:1], s[22:23], v[7:8]
	v_mul_f64 v[2:3], s[20:21], v[7:8]
	v_lshlrev_b64 v[4:5], 4, v[11:12]
	v_cmp_ne_u32_e32 vcc_lo, 1, v6
	s_and_b32 vcc_lo, exec_lo, vcc_lo
	v_add_co_u32 v4, s0, v13, v4
	v_add_co_ci_u32_e64 v5, null, v14, v5, s0
	v_fma_f64 v[0:1], s[20:21], v[9:10], -v[0:1]
	v_fma_f64 v[2:3], s[22:23], v[9:10], v[2:3]
	s_cbranch_vccnz .LBB133_28
; %bb.27:
	global_load_dwordx4 v[6:9], v[4:5], off
	s_waitcnt vmcnt(0)
	v_mul_f64 v[10:11], s[16:17], v[8:9]
	v_mul_f64 v[8:9], s[14:15], v[8:9]
	v_fma_f64 v[10:11], s[14:15], v[6:7], -v[10:11]
	v_fma_f64 v[6:7], s[16:17], v[6:7], v[8:9]
	v_add_f64 v[0:1], v[0:1], v[10:11]
	v_add_f64 v[2:3], v[2:3], v[6:7]
.LBB133_28:
	global_store_dwordx4 v[4:5], v[0:3], off
	s_endpgm
.LBB133_29:
.LBB133_30:
	s_endpgm
	.section	.rodata,"a",@progbits
	.p2align	6, 0x0
	.amdhsa_kernel _ZL29rocblas_internal_gemmt_kernelIiLi16ELi32ELi8ELc67ELc84ELc85ELb1ELb0E19rocblas_complex_numIdES1_PKS1_PS1_EviT_T9_T10_S5_lS7_S5_lS6_T11_S5_li
		.amdhsa_group_segment_fixed_size 8192
		.amdhsa_private_segment_fixed_size 0
		.amdhsa_kernarg_size 116
		.amdhsa_user_sgpr_count 6
		.amdhsa_user_sgpr_private_segment_buffer 1
		.amdhsa_user_sgpr_dispatch_ptr 0
		.amdhsa_user_sgpr_queue_ptr 0
		.amdhsa_user_sgpr_kernarg_segment_ptr 1
		.amdhsa_user_sgpr_dispatch_id 0
		.amdhsa_user_sgpr_flat_scratch_init 0
		.amdhsa_user_sgpr_private_segment_size 0
		.amdhsa_wavefront_size32 1
		.amdhsa_uses_dynamic_stack 0
		.amdhsa_system_sgpr_private_segment_wavefront_offset 0
		.amdhsa_system_sgpr_workgroup_id_x 1
		.amdhsa_system_sgpr_workgroup_id_y 1
		.amdhsa_system_sgpr_workgroup_id_z 1
		.amdhsa_system_sgpr_workgroup_info 0
		.amdhsa_system_vgpr_workitem_id 1
		.amdhsa_next_free_vgpr 127
		.amdhsa_next_free_sgpr 32
		.amdhsa_reserve_vcc 1
		.amdhsa_reserve_flat_scratch 0
		.amdhsa_float_round_mode_32 0
		.amdhsa_float_round_mode_16_64 0
		.amdhsa_float_denorm_mode_32 3
		.amdhsa_float_denorm_mode_16_64 3
		.amdhsa_dx10_clamp 1
		.amdhsa_ieee_mode 1
		.amdhsa_fp16_overflow 0
		.amdhsa_workgroup_processor_mode 1
		.amdhsa_memory_ordered 1
		.amdhsa_forward_progress 1
		.amdhsa_shared_vgpr_count 0
		.amdhsa_exception_fp_ieee_invalid_op 0
		.amdhsa_exception_fp_denorm_src 0
		.amdhsa_exception_fp_ieee_div_zero 0
		.amdhsa_exception_fp_ieee_overflow 0
		.amdhsa_exception_fp_ieee_underflow 0
		.amdhsa_exception_fp_ieee_inexact 0
		.amdhsa_exception_int_div_zero 0
	.end_amdhsa_kernel
	.section	.text._ZL29rocblas_internal_gemmt_kernelIiLi16ELi32ELi8ELc67ELc84ELc85ELb1ELb0E19rocblas_complex_numIdES1_PKS1_PS1_EviT_T9_T10_S5_lS7_S5_lS6_T11_S5_li,"axG",@progbits,_ZL29rocblas_internal_gemmt_kernelIiLi16ELi32ELi8ELc67ELc84ELc85ELb1ELb0E19rocblas_complex_numIdES1_PKS1_PS1_EviT_T9_T10_S5_lS7_S5_lS6_T11_S5_li,comdat
.Lfunc_end133:
	.size	_ZL29rocblas_internal_gemmt_kernelIiLi16ELi32ELi8ELc67ELc84ELc85ELb1ELb0E19rocblas_complex_numIdES1_PKS1_PS1_EviT_T9_T10_S5_lS7_S5_lS6_T11_S5_li, .Lfunc_end133-_ZL29rocblas_internal_gemmt_kernelIiLi16ELi32ELi8ELc67ELc84ELc85ELb1ELb0E19rocblas_complex_numIdES1_PKS1_PS1_EviT_T9_T10_S5_lS7_S5_lS6_T11_S5_li
                                        ; -- End function
	.set _ZL29rocblas_internal_gemmt_kernelIiLi16ELi32ELi8ELc67ELc84ELc85ELb1ELb0E19rocblas_complex_numIdES1_PKS1_PS1_EviT_T9_T10_S5_lS7_S5_lS6_T11_S5_li.num_vgpr, 127
	.set _ZL29rocblas_internal_gemmt_kernelIiLi16ELi32ELi8ELc67ELc84ELc85ELb1ELb0E19rocblas_complex_numIdES1_PKS1_PS1_EviT_T9_T10_S5_lS7_S5_lS6_T11_S5_li.num_agpr, 0
	.set _ZL29rocblas_internal_gemmt_kernelIiLi16ELi32ELi8ELc67ELc84ELc85ELb1ELb0E19rocblas_complex_numIdES1_PKS1_PS1_EviT_T9_T10_S5_lS7_S5_lS6_T11_S5_li.numbered_sgpr, 32
	.set _ZL29rocblas_internal_gemmt_kernelIiLi16ELi32ELi8ELc67ELc84ELc85ELb1ELb0E19rocblas_complex_numIdES1_PKS1_PS1_EviT_T9_T10_S5_lS7_S5_lS6_T11_S5_li.num_named_barrier, 0
	.set _ZL29rocblas_internal_gemmt_kernelIiLi16ELi32ELi8ELc67ELc84ELc85ELb1ELb0E19rocblas_complex_numIdES1_PKS1_PS1_EviT_T9_T10_S5_lS7_S5_lS6_T11_S5_li.private_seg_size, 0
	.set _ZL29rocblas_internal_gemmt_kernelIiLi16ELi32ELi8ELc67ELc84ELc85ELb1ELb0E19rocblas_complex_numIdES1_PKS1_PS1_EviT_T9_T10_S5_lS7_S5_lS6_T11_S5_li.uses_vcc, 1
	.set _ZL29rocblas_internal_gemmt_kernelIiLi16ELi32ELi8ELc67ELc84ELc85ELb1ELb0E19rocblas_complex_numIdES1_PKS1_PS1_EviT_T9_T10_S5_lS7_S5_lS6_T11_S5_li.uses_flat_scratch, 0
	.set _ZL29rocblas_internal_gemmt_kernelIiLi16ELi32ELi8ELc67ELc84ELc85ELb1ELb0E19rocblas_complex_numIdES1_PKS1_PS1_EviT_T9_T10_S5_lS7_S5_lS6_T11_S5_li.has_dyn_sized_stack, 0
	.set _ZL29rocblas_internal_gemmt_kernelIiLi16ELi32ELi8ELc67ELc84ELc85ELb1ELb0E19rocblas_complex_numIdES1_PKS1_PS1_EviT_T9_T10_S5_lS7_S5_lS6_T11_S5_li.has_recursion, 0
	.set _ZL29rocblas_internal_gemmt_kernelIiLi16ELi32ELi8ELc67ELc84ELc85ELb1ELb0E19rocblas_complex_numIdES1_PKS1_PS1_EviT_T9_T10_S5_lS7_S5_lS6_T11_S5_li.has_indirect_call, 0
	.section	.AMDGPU.csdata,"",@progbits
; Kernel info:
; codeLenInByte = 3544
; TotalNumSgprs: 34
; NumVgprs: 127
; ScratchSize: 0
; MemoryBound: 1
; FloatMode: 240
; IeeeMode: 1
; LDSByteSize: 8192 bytes/workgroup (compile time only)
; SGPRBlocks: 0
; VGPRBlocks: 15
; NumSGPRsForWavesPerEU: 34
; NumVGPRsForWavesPerEU: 127
; Occupancy: 8
; WaveLimiterHint : 0
; COMPUTE_PGM_RSRC2:SCRATCH_EN: 0
; COMPUTE_PGM_RSRC2:USER_SGPR: 6
; COMPUTE_PGM_RSRC2:TRAP_HANDLER: 0
; COMPUTE_PGM_RSRC2:TGID_X_EN: 1
; COMPUTE_PGM_RSRC2:TGID_Y_EN: 1
; COMPUTE_PGM_RSRC2:TGID_Z_EN: 1
; COMPUTE_PGM_RSRC2:TIDIG_COMP_CNT: 1
	.section	.text._ZL29rocblas_internal_gemmt_kernelIiLi16ELi32ELi8ELc67ELc67ELc85ELb1ELb1E19rocblas_complex_numIdES1_PKS1_PS1_EviT_T9_T10_S5_lS7_S5_lS6_T11_S5_li,"axG",@progbits,_ZL29rocblas_internal_gemmt_kernelIiLi16ELi32ELi8ELc67ELc67ELc85ELb1ELb1E19rocblas_complex_numIdES1_PKS1_PS1_EviT_T9_T10_S5_lS7_S5_lS6_T11_S5_li,comdat
	.globl	_ZL29rocblas_internal_gemmt_kernelIiLi16ELi32ELi8ELc67ELc67ELc85ELb1ELb1E19rocblas_complex_numIdES1_PKS1_PS1_EviT_T9_T10_S5_lS7_S5_lS6_T11_S5_li ; -- Begin function _ZL29rocblas_internal_gemmt_kernelIiLi16ELi32ELi8ELc67ELc67ELc85ELb1ELb1E19rocblas_complex_numIdES1_PKS1_PS1_EviT_T9_T10_S5_lS7_S5_lS6_T11_S5_li
	.p2align	8
	.type	_ZL29rocblas_internal_gemmt_kernelIiLi16ELi32ELi8ELc67ELc67ELc85ELb1ELb1E19rocblas_complex_numIdES1_PKS1_PS1_EviT_T9_T10_S5_lS7_S5_lS6_T11_S5_li,@function
_ZL29rocblas_internal_gemmt_kernelIiLi16ELi32ELi8ELc67ELc67ELc85ELb1ELb1E19rocblas_complex_numIdES1_PKS1_PS1_EviT_T9_T10_S5_lS7_S5_lS6_T11_S5_li: ; @_ZL29rocblas_internal_gemmt_kernelIiLi16ELi32ELi8ELc67ELc67ELc85ELb1ELb1E19rocblas_complex_numIdES1_PKS1_PS1_EviT_T9_T10_S5_lS7_S5_lS6_T11_S5_li
; %bb.0:
	s_clause 0x2
	s_load_dwordx8 s[12:19], s[4:5], 0x40
	s_load_dwordx2 s[2:3], s[4:5], 0x0
	s_load_dwordx4 s[20:23], s[4:5], 0x8
	s_waitcnt lgkmcnt(0)
	v_cmp_eq_f64_e64 s0, s[14:15], 1.0
	v_cmp_eq_f64_e64 s9, s[16:17], 0
	s_and_b32 s0, s0, s9
	s_andn2_b32 vcc_lo, exec_lo, s0
	s_mov_b32 s0, -1
	s_cbranch_vccnz .LBB134_3
; %bb.1:
	s_cmp_lg_u32 s3, 0
	s_cbranch_scc0 .LBB134_27
; %bb.2:
	v_cmp_neq_f64_e64 s0, s[20:21], 0
	v_cmp_neq_f64_e64 s1, s[22:23], 0
	s_or_b32 s0, s0, s1
.LBB134_3:
	s_and_b32 vcc_lo, exec_lo, s0
	s_cbranch_vccz .LBB134_28
; %bb.4:
	v_cmp_eq_f64_e64 s0, s[20:21], 0
	v_cmp_eq_f64_e64 s1, s[22:23], 0
	s_lshl_b32 s10, s6, 5
	s_lshl_b32 s11, s7, 5
	v_mov_b32_e32 v26, 0
	v_mov_b32_e32 v28, 0
	;; [unrolled: 1-line block ×16, first 2 shown]
	s_mov_b32 s28, 0
	s_and_b32 s0, s0, s1
	s_cmp_lt_i32 s3, 1
	s_cselect_b32 s1, -1, 0
	s_or_b32 s0, s0, s1
	s_and_b32 vcc_lo, exec_lo, s0
	s_cbranch_vccnz .LBB134_11
; %bb.5:
	s_clause 0x1
	s_load_dword s0, s[4:5], 0x20
	s_load_dwordx2 s[30:31], s[4:5], 0x18
	v_lshl_add_u32 v2, v1, 4, v0
	s_clause 0x1
	s_load_dwordx4 s[24:27], s[4:5], 0x28
	s_load_dword s6, s[4:5], 0x38
	v_and_b32_e32 v30, 7, v0
	v_mov_b32_e32 v12, 0
	v_mov_b32_e32 v18, 0
	v_and_b32_e32 v3, 31, v2
	v_lshrrev_b32_e32 v4, 3, v2
	v_lshlrev_b32_e32 v5, 4, v30
	v_lshrrev_b32_e32 v33, 5, v2
	v_mov_b32_e32 v16, 0
	v_add_nc_u32_e32 v7, s10, v3
	v_add_nc_u32_e32 v2, s11, v4
	v_lshl_or_b32 v8, v4, 7, v5
	v_or_b32_e32 v6, s10, v3
	v_lshlrev_b32_e32 v3, 4, v3
	v_lshlrev_b32_e32 v10, 4, v33
	v_mov_b32_e32 v24, 0
	v_add_nc_u32_e32 v35, 0x1000, v8
	s_waitcnt lgkmcnt(0)
	v_mad_i64_i32 v[4:5], null, s0, v7, 0
	v_cmp_gt_i32_e32 vcc_lo, s2, v6
	s_mul_i32 s1, s25, s8
	s_mul_hi_u32 s7, s24, s8
	v_mad_i64_i32 v[6:7], null, s6, v30, 0
	s_mul_i32 s24, s24, s8
	v_lshlrev_b64 v[4:5], 4, v[4:5]
	s_add_i32 s25, s7, s1
	v_lshl_or_b32 v34, v33, 9, v3
	s_lshl_b64 s[24:25], s[24:25], 4
	v_ashrrev_i32_e32 v3, 31, v2
	s_mul_hi_u32 s7, s12, s8
	v_add_co_u32 v8, s1, v4, s24
	v_add_co_ci_u32_e64 v9, null, s25, v5, s1
	s_mul_i32 s1, s13, s8
	v_lshlrev_b64 v[4:5], 4, v[6:7]
	s_add_i32 s13, s7, s1
	s_mul_i32 s12, s12, s8
	v_add_co_u32 v6, s1, v8, v10
	s_lshl_b64 s[12:13], s[12:13], 4
	v_cmp_gt_i32_e64 s0, s2, v2
	v_lshlrev_b64 v[2:3], 4, v[2:3]
	v_add_co_ci_u32_e64 v7, null, 0, v9, s1
	v_add_co_u32 v4, s1, s12, v4
	v_add_co_ci_u32_e64 v5, null, s13, v5, s1
	v_add_co_u32 v6, s1, s30, v6
	;; [unrolled: 2-line block ×5, first 2 shown]
	v_add_co_ci_u32_e64 v3, null, s27, v3, s1
	v_mov_b32_e32 v10, 0
	v_add_co_u32 v20, s1, v2, 8
	v_mov_b32_e32 v22, 0
	v_mov_b32_e32 v28, 0
	;; [unrolled: 1-line block ×3, first 2 shown]
	v_lshlrev_b32_e32 v31, 4, v0
	v_lshl_add_u32 v32, v1, 7, 0x1000
	v_mov_b32_e32 v11, 0
	v_mov_b32_e32 v13, 0
	v_mov_b32_e32 v19, 0
	v_mov_b32_e32 v17, 0
	v_mov_b32_e32 v25, 0
	v_mov_b32_e32 v23, 0
	v_mov_b32_e32 v29, 0
	v_mov_b32_e32 v27, 0
	v_add_co_ci_u32_e64 v21, null, 0, v3, s1
	s_ashr_i32 s7, s6, 31
	s_lshl_b64 s[6:7], s[6:7], 7
	s_branch .LBB134_7
.LBB134_6:                              ;   in Loop: Header=BB134_7 Depth=1
	s_or_b32 exec_lo, exec_lo, s1
	ds_write_b128 v35, v[6:9]
	s_waitcnt lgkmcnt(0)
	s_barrier
	buffer_gl0_inv
	ds_read_b128 v[2:5], v32
	ds_read_b128 v[6:9], v31
	ds_read_b128 v[36:39], v31 offset:256
	ds_read_b128 v[40:43], v32 offset:2048
	;; [unrolled: 1-line block ×12, first 2 shown]
	v_add_co_u32 v14, s1, 0x80, v14
	v_add_co_ci_u32_e64 v15, null, 0, v15, s1
	v_add_co_u32 v20, s1, v20, s6
	v_add_co_ci_u32_e64 v21, null, s7, v21, s1
	s_waitcnt lgkmcnt(12)
	v_mul_f64 v[84:85], v[4:5], v[8:9]
	v_mul_f64 v[86:87], v[2:3], v[8:9]
	s_waitcnt lgkmcnt(11)
	v_mul_f64 v[88:89], v[4:5], v[38:39]
	v_mul_f64 v[90:91], v[2:3], v[38:39]
	s_waitcnt lgkmcnt(10)
	v_mul_f64 v[92:93], v[42:43], v[8:9]
	v_mul_f64 v[8:9], v[40:41], v[8:9]
	v_mul_f64 v[94:95], v[42:43], v[38:39]
	v_mul_f64 v[38:39], v[40:41], v[38:39]
	s_waitcnt lgkmcnt(8)
	v_mul_f64 v[96:97], v[46:47], v[50:51]
	v_mul_f64 v[98:99], v[44:45], v[50:51]
	s_waitcnt lgkmcnt(7)
	;; [unrolled: 3-line block ×3, first 2 shown]
	v_mul_f64 v[104:105], v[58:59], v[50:51]
	v_mul_f64 v[50:51], v[56:57], v[50:51]
	;; [unrolled: 1-line block ×4, first 2 shown]
	s_waitcnt lgkmcnt(4)
	v_mul_f64 v[108:109], v[62:63], v[66:67]
	v_mul_f64 v[110:111], v[60:61], v[66:67]
	s_waitcnt lgkmcnt(3)
	v_mul_f64 v[112:113], v[62:63], v[70:71]
	v_mul_f64 v[114:115], v[60:61], v[70:71]
	;; [unrolled: 3-line block ×3, first 2 shown]
	v_fma_f64 v[84:85], v[2:3], v[6:7], -v[84:85]
	v_fma_f64 v[86:87], v[4:5], v[6:7], v[86:87]
	v_fma_f64 v[88:89], v[2:3], v[36:37], -v[88:89]
	v_fma_f64 v[90:91], v[4:5], v[36:37], v[90:91]
	;; [unrolled: 2-line block ×4, first 2 shown]
	v_mul_f64 v[122:123], v[74:75], v[70:71]
	v_mul_f64 v[70:71], v[72:73], v[70:71]
	ds_read_b128 v[2:5], v31 offset:1536
	ds_read_b128 v[6:9], v31 offset:1792
	v_fma_f64 v[96:97], v[44:45], v[48:49], -v[96:97]
	v_fma_f64 v[98:99], v[46:47], v[48:49], v[98:99]
	v_fma_f64 v[100:101], v[44:45], v[52:53], -v[100:101]
	v_fma_f64 v[102:103], v[46:47], v[52:53], v[102:103]
	;; [unrolled: 2-line block ×7, first 2 shown]
	v_add_f64 v[26:27], v[26:27], v[84:85]
	v_add_f64 v[28:29], v[86:87], v[28:29]
	;; [unrolled: 1-line block ×4, first 2 shown]
	s_waitcnt lgkmcnt(1)
	v_mul_f64 v[108:109], v[78:79], v[4:5]
	v_mul_f64 v[110:111], v[76:77], v[4:5]
	s_waitcnt lgkmcnt(0)
	v_mul_f64 v[66:67], v[78:79], v[8:9]
	v_fma_f64 v[72:73], v[72:73], v[68:69], -v[122:123]
	v_mul_f64 v[114:115], v[82:83], v[4:5]
	v_mul_f64 v[4:5], v[80:81], v[4:5]
	v_fma_f64 v[68:69], v[74:75], v[68:69], v[70:71]
	v_add_f64 v[70:71], v[16:17], v[92:93]
	v_add_f64 v[74:75], v[118:119], v[18:19]
	;; [unrolled: 1-line block ×4, first 2 shown]
	ds_read_b128 v[36:39], v32 offset:64
	ds_read_b128 v[40:43], v31 offset:2048
	;; [unrolled: 1-line block ×3, first 2 shown]
	v_mul_f64 v[112:113], v[76:77], v[8:9]
	v_mul_f64 v[86:87], v[82:83], v[8:9]
	;; [unrolled: 1-line block ×3, first 2 shown]
	ds_read_b128 v[48:51], v32 offset:2112
	ds_read_b128 v[16:19], v32 offset:2128
	v_add_f64 v[26:27], v[26:27], v[96:97]
	v_add_f64 v[28:29], v[98:99], v[28:29]
	;; [unrolled: 1-line block ×4, first 2 shown]
	v_fma_f64 v[88:89], v[76:77], v[2:3], -v[108:109]
	v_fma_f64 v[90:91], v[78:79], v[2:3], v[110:111]
	v_fma_f64 v[66:67], v[76:77], v[6:7], -v[66:67]
	ds_read_b128 v[8:11], v32 offset:80
	ds_read_b128 v[22:25], v31 offset:2816
	s_add_i32 s28, s28, 8
	v_add_f64 v[70:71], v[70:71], v[104:105]
	v_add_f64 v[74:75], v[124:125], v[74:75]
	s_waitcnt lgkmcnt(5)
	v_mul_f64 v[76:77], v[38:39], v[42:43]
	v_mul_f64 v[94:95], v[36:37], v[42:43]
	v_add_f64 v[12:13], v[12:13], v[56:57]
	v_add_f64 v[52:53], v[52:53], v[84:85]
	v_fma_f64 v[56:57], v[80:81], v[2:3], -v[114:115]
	v_fma_f64 v[84:85], v[82:83], v[2:3], v[4:5]
	ds_read_b128 v[2:5], v31 offset:2560
	s_waitcnt lgkmcnt(5)
	v_mul_f64 v[108:109], v[38:39], v[46:47]
	v_mul_f64 v[110:111], v[36:37], v[46:47]
	v_fma_f64 v[78:79], v[78:79], v[6:7], v[112:113]
	s_waitcnt lgkmcnt(4)
	v_mul_f64 v[112:113], v[50:51], v[42:43]
	v_mul_f64 v[42:43], v[48:49], v[42:43]
	v_fma_f64 v[80:81], v[80:81], v[6:7], -v[86:87]
	v_fma_f64 v[82:83], v[82:83], v[6:7], v[92:93]
	v_add_f64 v[54:55], v[26:27], v[54:55]
	v_add_f64 v[28:29], v[58:59], v[28:29]
	;; [unrolled: 1-line block ×4, first 2 shown]
	s_waitcnt lgkmcnt(1)
	v_mul_f64 v[102:103], v[18:19], v[24:25]
	v_mul_f64 v[104:105], v[16:17], v[24:25]
	v_add_f64 v[62:63], v[70:71], v[106:107]
	v_add_f64 v[64:65], v[64:65], v[74:75]
	v_fma_f64 v[76:77], v[36:37], v[40:41], -v[76:77]
	v_fma_f64 v[86:87], v[38:39], v[40:41], v[94:95]
	v_add_f64 v[12:13], v[12:13], v[72:73]
	v_add_f64 v[52:53], v[68:69], v[52:53]
	s_waitcnt lgkmcnt(0)
	v_mul_f64 v[68:69], v[10:11], v[4:5]
	v_mul_f64 v[70:71], v[8:9], v[4:5]
	;; [unrolled: 1-line block ×3, first 2 shown]
	v_fma_f64 v[92:93], v[36:37], v[44:45], -v[108:109]
	v_fma_f64 v[94:95], v[38:39], v[44:45], v[110:111]
	v_mul_f64 v[36:37], v[50:51], v[46:47]
	v_mul_f64 v[38:39], v[48:49], v[46:47]
	v_fma_f64 v[46:47], v[48:49], v[40:41], -v[112:113]
	v_fma_f64 v[100:101], v[50:51], v[40:41], v[42:43]
	v_mul_f64 v[74:75], v[8:9], v[24:25]
	v_mul_f64 v[96:97], v[18:19], v[4:5]
	v_mul_f64 v[98:99], v[16:17], v[4:5]
	v_add_f64 v[28:29], v[90:91], v[28:29]
	ds_read_b128 v[4:7], v32 offset:96
	ds_read_b128 v[24:27], v31 offset:3072
	s_cmp_lt_i32 s28, s3
	v_add_f64 v[56:57], v[62:63], v[56:57]
	v_add_f64 v[12:13], v[12:13], v[80:81]
	;; [unrolled: 1-line block ×3, first 2 shown]
	v_fma_f64 v[62:63], v[8:9], v[2:3], -v[68:69]
	v_fma_f64 v[48:49], v[48:49], v[44:45], -v[36:37]
	v_fma_f64 v[44:45], v[50:51], v[44:45], v[38:39]
	v_add_f64 v[50:51], v[54:55], v[88:89]
	v_add_f64 v[54:55], v[58:59], v[66:67]
	;; [unrolled: 1-line block ×4, first 2 shown]
	ds_read_b128 v[36:39], v31 offset:3328
	ds_read_b128 v[40:43], v32 offset:2144
	v_fma_f64 v[64:65], v[10:11], v[2:3], v[70:71]
	v_fma_f64 v[66:67], v[8:9], v[22:23], -v[72:73]
	v_fma_f64 v[68:69], v[10:11], v[22:23], v[74:75]
	v_fma_f64 v[70:71], v[16:17], v[2:3], -v[96:97]
	;; [unrolled: 2-line block ×3, first 2 shown]
	s_waitcnt lgkmcnt(2)
	v_mul_f64 v[74:75], v[6:7], v[26:27]
	v_fma_f64 v[22:23], v[18:19], v[22:23], v[104:105]
	v_mul_f64 v[78:79], v[4:5], v[26:27]
	v_add_f64 v[56:57], v[56:57], v[46:47]
	ds_read_b128 v[8:11], v32 offset:112
	ds_read_b128 v[16:19], v32 offset:2160
	v_add_f64 v[12:13], v[12:13], v[48:49]
	v_add_f64 v[48:49], v[44:45], v[52:53]
	;; [unrolled: 1-line block ×3, first 2 shown]
	s_waitcnt lgkmcnt(3)
	v_mul_f64 v[80:81], v[6:7], v[38:39]
	v_mul_f64 v[82:83], v[4:5], v[38:39]
	s_waitcnt lgkmcnt(2)
	v_mul_f64 v[84:85], v[42:43], v[26:27]
	v_mul_f64 v[88:89], v[40:41], v[26:27]
	v_add_f64 v[76:77], v[86:87], v[28:29]
	v_add_f64 v[54:55], v[54:55], v[92:93]
	;; [unrolled: 1-line block ×4, first 2 shown]
	v_mul_f64 v[52:53], v[42:43], v[38:39]
	v_mul_f64 v[38:39], v[40:41], v[38:39]
	ds_read_b128 v[26:29], v31 offset:3584
	ds_read_b128 v[44:47], v31 offset:3840
	v_fma_f64 v[74:75], v[4:5], v[24:25], -v[74:75]
	v_fma_f64 v[78:79], v[6:7], v[24:25], v[78:79]
	v_add_f64 v[56:57], v[56:57], v[70:71]
	s_waitcnt lgkmcnt(0)
	s_barrier
	buffer_gl0_inv
	v_add_f64 v[12:13], v[12:13], v[72:73]
	v_add_f64 v[22:23], v[22:23], v[48:49]
	;; [unrolled: 1-line block ×3, first 2 shown]
	v_fma_f64 v[4:5], v[4:5], v[36:37], -v[80:81]
	v_fma_f64 v[6:7], v[6:7], v[36:37], v[82:83]
	v_fma_f64 v[80:81], v[40:41], v[24:25], -v[84:85]
	v_fma_f64 v[24:25], v[42:43], v[24:25], v[88:89]
	v_add_f64 v[62:63], v[64:65], v[76:77]
	v_add_f64 v[54:55], v[54:55], v[66:67]
	;; [unrolled: 1-line block ×4, first 2 shown]
	v_fma_f64 v[40:41], v[40:41], v[36:37], -v[52:53]
	v_fma_f64 v[36:37], v[42:43], v[36:37], v[38:39]
	v_mul_f64 v[38:39], v[10:11], v[28:29]
	v_mul_f64 v[42:43], v[8:9], v[28:29]
	v_mul_f64 v[48:49], v[10:11], v[46:47]
	v_mul_f64 v[52:53], v[8:9], v[46:47]
	v_mul_f64 v[60:61], v[18:19], v[28:29]
	v_mul_f64 v[28:29], v[16:17], v[28:29]
	v_mul_f64 v[64:65], v[18:19], v[46:47]
	v_mul_f64 v[46:47], v[16:17], v[46:47]
	v_add_f64 v[50:51], v[50:51], v[74:75]
	v_add_f64 v[62:63], v[78:79], v[62:63]
	;; [unrolled: 1-line block ×8, first 2 shown]
	v_fma_f64 v[22:23], v[8:9], v[26:27], -v[38:39]
	v_fma_f64 v[24:25], v[10:11], v[26:27], v[42:43]
	v_fma_f64 v[8:9], v[8:9], v[44:45], -v[48:49]
	v_fma_f64 v[10:11], v[10:11], v[44:45], v[52:53]
	;; [unrolled: 2-line block ×4, first 2 shown]
	v_add_f64 v[26:27], v[50:51], v[22:23]
	v_add_f64 v[28:29], v[24:25], v[62:63]
	;; [unrolled: 1-line block ×8, first 2 shown]
	s_cbranch_scc0 .LBB134_11
.LBB134_7:                              ; =>This Inner Loop Header: Depth=1
	v_add_nc_u32_e32 v2, s28, v33
	v_mov_b32_e32 v4, 0
	v_mov_b32_e32 v5, 0
	v_cmp_gt_i32_e64 s1, s3, v2
	v_mov_b32_e32 v2, 0
	v_mov_b32_e32 v3, 0
	s_and_b32 s12, vcc_lo, s1
	s_and_saveexec_b32 s1, s12
	s_cbranch_execz .LBB134_9
; %bb.8:                                ;   in Loop: Header=BB134_7 Depth=1
	global_load_dwordx4 v[2:5], v[14:15], off offset:-8
	s_waitcnt vmcnt(0)
	v_xor_b32_e32 v5, 0x80000000, v5
.LBB134_9:                              ;   in Loop: Header=BB134_7 Depth=1
	s_or_b32 exec_lo, exec_lo, s1
	v_add_nc_u32_e32 v6, s28, v30
	v_mov_b32_e32 v8, 0
	v_mov_b32_e32 v9, 0
	ds_write_b128 v34, v[2:5]
	v_cmp_gt_i32_e64 s1, s3, v6
	v_mov_b32_e32 v6, 0
	v_mov_b32_e32 v7, 0
	s_and_b32 s12, s1, s0
	s_and_saveexec_b32 s1, s12
	s_cbranch_execz .LBB134_6
; %bb.10:                               ;   in Loop: Header=BB134_7 Depth=1
	global_load_dwordx4 v[6:9], v[20:21], off offset:-8
	s_waitcnt vmcnt(0)
	v_xor_b32_e32 v9, 0x80000000, v9
	s_branch .LBB134_6
.LBB134_11:
	s_clause 0x1
	s_load_dword s3, s[4:5], 0x60
	s_load_dwordx2 s[4:5], s[4:5], 0x68
	v_cmp_neq_f64_e64 s6, s[14:15], 0
	v_add_nc_u32_e32 v15, s11, v1
	v_add_nc_u32_e32 v4, s10, v0
	v_cmp_gt_i32_e64 s0, s2, v15
	v_cmp_le_i32_e32 vcc_lo, v4, v15
	v_ashrrev_i32_e32 v5, 31, v4
	s_waitcnt lgkmcnt(0)
	v_mad_i64_i32 v[0:1], null, v15, s3, 0
	s_mul_i32 s1, s5, s8
	s_mul_hi_u32 s5, s4, s8
	s_mul_i32 s4, s4, s8
	s_add_i32 s5, s5, s1
	s_lshl_b64 s[4:5], s[4:5], 4
	v_lshlrev_b64 v[0:1], 4, v[0:1]
	s_add_u32 s4, s18, s4
	s_addc_u32 s5, s19, s5
	s_xor_b32 s7, s9, -1
	s_or_b32 s6, s6, s7
	v_add_co_u32 v8, s1, s4, v0
	v_add_co_ci_u32_e64 v9, null, s5, v1, s1
	v_cndmask_b32_e64 v14, 0, 1, s6
	s_and_b32 s7, s0, vcc_lo
	s_and_saveexec_b32 s1, s7
	s_cbranch_execz .LBB134_15
; %bb.12:
	v_mul_f64 v[0:1], s[22:23], v[28:29]
	v_mul_f64 v[2:3], s[20:21], v[28:29]
	v_lshlrev_b64 v[6:7], 4, v[4:5]
	v_add_co_u32 v6, vcc_lo, v8, v6
	v_add_co_ci_u32_e64 v7, null, v9, v7, vcc_lo
	s_andn2_b32 vcc_lo, exec_lo, s6
	v_fma_f64 v[0:1], s[20:21], v[26:27], -v[0:1]
	v_fma_f64 v[2:3], s[22:23], v[26:27], v[2:3]
	s_cbranch_vccnz .LBB134_14
; %bb.13:
	global_load_dwordx4 v[26:29], v[6:7], off
	s_waitcnt vmcnt(0)
	v_mul_f64 v[20:21], s[16:17], v[28:29]
	v_mul_f64 v[28:29], s[14:15], v[28:29]
	v_fma_f64 v[20:21], s[14:15], v[26:27], -v[20:21]
	v_fma_f64 v[26:27], s[16:17], v[26:27], v[28:29]
	v_add_f64 v[0:1], v[0:1], v[20:21]
	v_add_f64 v[2:3], v[2:3], v[26:27]
.LBB134_14:
	global_store_dwordx4 v[6:7], v[0:3], off
.LBB134_15:
	s_or_b32 exec_lo, exec_lo, s1
	v_add_nc_u32_e32 v6, 16, v4
	v_cmp_le_i32_e32 vcc_lo, v6, v15
	v_ashrrev_i32_e32 v7, 31, v6
	s_and_b32 s0, s0, vcc_lo
	s_and_saveexec_b32 s1, s0
	s_cbranch_execz .LBB134_19
; %bb.16:
	v_mul_f64 v[0:1], s[22:23], v[24:25]
	v_mul_f64 v[2:3], s[20:21], v[24:25]
	v_lshlrev_b64 v[20:21], 4, v[6:7]
	v_cmp_ne_u32_e32 vcc_lo, 1, v14
	s_and_b32 vcc_lo, exec_lo, vcc_lo
	v_add_co_u32 v8, s0, v8, v20
	v_add_co_ci_u32_e64 v9, null, v9, v21, s0
	v_fma_f64 v[0:1], s[20:21], v[22:23], -v[0:1]
	v_fma_f64 v[2:3], s[22:23], v[22:23], v[2:3]
	s_cbranch_vccnz .LBB134_18
; %bb.17:
	global_load_dwordx4 v[20:23], v[8:9], off
	s_waitcnt vmcnt(0)
	v_mul_f64 v[24:25], s[16:17], v[22:23]
	v_mul_f64 v[22:23], s[14:15], v[22:23]
	v_fma_f64 v[24:25], s[14:15], v[20:21], -v[24:25]
	v_fma_f64 v[20:21], s[16:17], v[20:21], v[22:23]
	v_add_f64 v[0:1], v[0:1], v[24:25]
	v_add_f64 v[2:3], v[2:3], v[20:21]
.LBB134_18:
	global_store_dwordx4 v[8:9], v[0:3], off
.LBB134_19:
	s_or_b32 exec_lo, exec_lo, s1
	v_add_nc_u32_e32 v15, 16, v15
	v_mad_i64_i32 v[0:1], null, v15, s3, 0
	v_cmp_gt_i32_e64 s0, s2, v15
	v_cmp_le_i32_e32 vcc_lo, v4, v15
	v_lshlrev_b64 v[0:1], 4, v[0:1]
	v_add_co_u32 v8, s1, s4, v0
	v_add_co_ci_u32_e64 v9, null, s5, v1, s1
	s_and_b32 s1, s0, vcc_lo
	s_and_saveexec_b32 s2, s1
	s_cbranch_execz .LBB134_23
; %bb.20:
	v_mul_f64 v[0:1], s[22:23], v[18:19]
	v_mul_f64 v[2:3], s[20:21], v[18:19]
	v_lshlrev_b64 v[4:5], 4, v[4:5]
	v_cmp_ne_u32_e32 vcc_lo, 1, v14
	s_and_b32 vcc_lo, exec_lo, vcc_lo
	v_add_co_u32 v4, s1, v8, v4
	v_add_co_ci_u32_e64 v5, null, v9, v5, s1
	v_fma_f64 v[0:1], s[20:21], v[16:17], -v[0:1]
	v_fma_f64 v[2:3], s[22:23], v[16:17], v[2:3]
	s_cbranch_vccnz .LBB134_22
; %bb.21:
	global_load_dwordx4 v[16:19], v[4:5], off
	s_waitcnt vmcnt(0)
	v_mul_f64 v[20:21], s[16:17], v[18:19]
	v_mul_f64 v[18:19], s[14:15], v[18:19]
	v_fma_f64 v[20:21], s[14:15], v[16:17], -v[20:21]
	v_fma_f64 v[16:17], s[16:17], v[16:17], v[18:19]
	v_add_f64 v[0:1], v[0:1], v[20:21]
	v_add_f64 v[2:3], v[2:3], v[16:17]
.LBB134_22:
	global_store_dwordx4 v[4:5], v[0:3], off
.LBB134_23:
	s_or_b32 exec_lo, exec_lo, s2
	v_cmp_le_i32_e32 vcc_lo, v6, v15
	s_and_b32 s0, s0, vcc_lo
	s_and_saveexec_b32 s1, s0
	s_cbranch_execz .LBB134_28
; %bb.24:
	v_mul_f64 v[0:1], s[22:23], v[10:11]
	v_mul_f64 v[2:3], s[20:21], v[10:11]
	v_lshlrev_b64 v[4:5], 4, v[6:7]
	v_cmp_ne_u32_e32 vcc_lo, 1, v14
	s_and_b32 vcc_lo, exec_lo, vcc_lo
	v_add_co_u32 v4, s0, v8, v4
	v_add_co_ci_u32_e64 v5, null, v9, v5, s0
	v_fma_f64 v[0:1], s[20:21], v[12:13], -v[0:1]
	v_fma_f64 v[2:3], s[22:23], v[12:13], v[2:3]
	s_cbranch_vccnz .LBB134_26
; %bb.25:
	global_load_dwordx4 v[6:9], v[4:5], off
	s_waitcnt vmcnt(0)
	v_mul_f64 v[10:11], s[16:17], v[8:9]
	v_mul_f64 v[8:9], s[14:15], v[8:9]
	v_fma_f64 v[10:11], s[14:15], v[6:7], -v[10:11]
	v_fma_f64 v[6:7], s[16:17], v[6:7], v[8:9]
	v_add_f64 v[0:1], v[0:1], v[10:11]
	v_add_f64 v[2:3], v[2:3], v[6:7]
.LBB134_26:
	global_store_dwordx4 v[4:5], v[0:3], off
	s_endpgm
.LBB134_27:
.LBB134_28:
	s_endpgm
	.section	.rodata,"a",@progbits
	.p2align	6, 0x0
	.amdhsa_kernel _ZL29rocblas_internal_gemmt_kernelIiLi16ELi32ELi8ELc67ELc67ELc85ELb1ELb1E19rocblas_complex_numIdES1_PKS1_PS1_EviT_T9_T10_S5_lS7_S5_lS6_T11_S5_li
		.amdhsa_group_segment_fixed_size 8192
		.amdhsa_private_segment_fixed_size 0
		.amdhsa_kernarg_size 116
		.amdhsa_user_sgpr_count 6
		.amdhsa_user_sgpr_private_segment_buffer 1
		.amdhsa_user_sgpr_dispatch_ptr 0
		.amdhsa_user_sgpr_queue_ptr 0
		.amdhsa_user_sgpr_kernarg_segment_ptr 1
		.amdhsa_user_sgpr_dispatch_id 0
		.amdhsa_user_sgpr_flat_scratch_init 0
		.amdhsa_user_sgpr_private_segment_size 0
		.amdhsa_wavefront_size32 1
		.amdhsa_uses_dynamic_stack 0
		.amdhsa_system_sgpr_private_segment_wavefront_offset 0
		.amdhsa_system_sgpr_workgroup_id_x 1
		.amdhsa_system_sgpr_workgroup_id_y 1
		.amdhsa_system_sgpr_workgroup_id_z 1
		.amdhsa_system_sgpr_workgroup_info 0
		.amdhsa_system_vgpr_workitem_id 1
		.amdhsa_next_free_vgpr 126
		.amdhsa_next_free_sgpr 32
		.amdhsa_reserve_vcc 1
		.amdhsa_reserve_flat_scratch 0
		.amdhsa_float_round_mode_32 0
		.amdhsa_float_round_mode_16_64 0
		.amdhsa_float_denorm_mode_32 3
		.amdhsa_float_denorm_mode_16_64 3
		.amdhsa_dx10_clamp 1
		.amdhsa_ieee_mode 1
		.amdhsa_fp16_overflow 0
		.amdhsa_workgroup_processor_mode 1
		.amdhsa_memory_ordered 1
		.amdhsa_forward_progress 1
		.amdhsa_shared_vgpr_count 0
		.amdhsa_exception_fp_ieee_invalid_op 0
		.amdhsa_exception_fp_denorm_src 0
		.amdhsa_exception_fp_ieee_div_zero 0
		.amdhsa_exception_fp_ieee_overflow 0
		.amdhsa_exception_fp_ieee_underflow 0
		.amdhsa_exception_fp_ieee_inexact 0
		.amdhsa_exception_int_div_zero 0
	.end_amdhsa_kernel
	.section	.text._ZL29rocblas_internal_gemmt_kernelIiLi16ELi32ELi8ELc67ELc67ELc85ELb1ELb1E19rocblas_complex_numIdES1_PKS1_PS1_EviT_T9_T10_S5_lS7_S5_lS6_T11_S5_li,"axG",@progbits,_ZL29rocblas_internal_gemmt_kernelIiLi16ELi32ELi8ELc67ELc67ELc85ELb1ELb1E19rocblas_complex_numIdES1_PKS1_PS1_EviT_T9_T10_S5_lS7_S5_lS6_T11_S5_li,comdat
.Lfunc_end134:
	.size	_ZL29rocblas_internal_gemmt_kernelIiLi16ELi32ELi8ELc67ELc67ELc85ELb1ELb1E19rocblas_complex_numIdES1_PKS1_PS1_EviT_T9_T10_S5_lS7_S5_lS6_T11_S5_li, .Lfunc_end134-_ZL29rocblas_internal_gemmt_kernelIiLi16ELi32ELi8ELc67ELc67ELc85ELb1ELb1E19rocblas_complex_numIdES1_PKS1_PS1_EviT_T9_T10_S5_lS7_S5_lS6_T11_S5_li
                                        ; -- End function
	.set _ZL29rocblas_internal_gemmt_kernelIiLi16ELi32ELi8ELc67ELc67ELc85ELb1ELb1E19rocblas_complex_numIdES1_PKS1_PS1_EviT_T9_T10_S5_lS7_S5_lS6_T11_S5_li.num_vgpr, 126
	.set _ZL29rocblas_internal_gemmt_kernelIiLi16ELi32ELi8ELc67ELc67ELc85ELb1ELb1E19rocblas_complex_numIdES1_PKS1_PS1_EviT_T9_T10_S5_lS7_S5_lS6_T11_S5_li.num_agpr, 0
	.set _ZL29rocblas_internal_gemmt_kernelIiLi16ELi32ELi8ELc67ELc67ELc85ELb1ELb1E19rocblas_complex_numIdES1_PKS1_PS1_EviT_T9_T10_S5_lS7_S5_lS6_T11_S5_li.numbered_sgpr, 32
	.set _ZL29rocblas_internal_gemmt_kernelIiLi16ELi32ELi8ELc67ELc67ELc85ELb1ELb1E19rocblas_complex_numIdES1_PKS1_PS1_EviT_T9_T10_S5_lS7_S5_lS6_T11_S5_li.num_named_barrier, 0
	.set _ZL29rocblas_internal_gemmt_kernelIiLi16ELi32ELi8ELc67ELc67ELc85ELb1ELb1E19rocblas_complex_numIdES1_PKS1_PS1_EviT_T9_T10_S5_lS7_S5_lS6_T11_S5_li.private_seg_size, 0
	.set _ZL29rocblas_internal_gemmt_kernelIiLi16ELi32ELi8ELc67ELc67ELc85ELb1ELb1E19rocblas_complex_numIdES1_PKS1_PS1_EviT_T9_T10_S5_lS7_S5_lS6_T11_S5_li.uses_vcc, 1
	.set _ZL29rocblas_internal_gemmt_kernelIiLi16ELi32ELi8ELc67ELc67ELc85ELb1ELb1E19rocblas_complex_numIdES1_PKS1_PS1_EviT_T9_T10_S5_lS7_S5_lS6_T11_S5_li.uses_flat_scratch, 0
	.set _ZL29rocblas_internal_gemmt_kernelIiLi16ELi32ELi8ELc67ELc67ELc85ELb1ELb1E19rocblas_complex_numIdES1_PKS1_PS1_EviT_T9_T10_S5_lS7_S5_lS6_T11_S5_li.has_dyn_sized_stack, 0
	.set _ZL29rocblas_internal_gemmt_kernelIiLi16ELi32ELi8ELc67ELc67ELc85ELb1ELb1E19rocblas_complex_numIdES1_PKS1_PS1_EviT_T9_T10_S5_lS7_S5_lS6_T11_S5_li.has_recursion, 0
	.set _ZL29rocblas_internal_gemmt_kernelIiLi16ELi32ELi8ELc67ELc67ELc85ELb1ELb1E19rocblas_complex_numIdES1_PKS1_PS1_EviT_T9_T10_S5_lS7_S5_lS6_T11_S5_li.has_indirect_call, 0
	.section	.AMDGPU.csdata,"",@progbits
; Kernel info:
; codeLenInByte = 3548
; TotalNumSgprs: 34
; NumVgprs: 126
; ScratchSize: 0
; MemoryBound: 1
; FloatMode: 240
; IeeeMode: 1
; LDSByteSize: 8192 bytes/workgroup (compile time only)
; SGPRBlocks: 0
; VGPRBlocks: 15
; NumSGPRsForWavesPerEU: 34
; NumVGPRsForWavesPerEU: 126
; Occupancy: 8
; WaveLimiterHint : 0
; COMPUTE_PGM_RSRC2:SCRATCH_EN: 0
; COMPUTE_PGM_RSRC2:USER_SGPR: 6
; COMPUTE_PGM_RSRC2:TRAP_HANDLER: 0
; COMPUTE_PGM_RSRC2:TGID_X_EN: 1
; COMPUTE_PGM_RSRC2:TGID_Y_EN: 1
; COMPUTE_PGM_RSRC2:TGID_Z_EN: 1
; COMPUTE_PGM_RSRC2:TIDIG_COMP_CNT: 1
	.section	.text._ZL29rocblas_internal_gemmt_kernelIiLi16ELi32ELi8ELc78ELc78ELc76ELb0ELb0E19rocblas_complex_numIdES1_PKS1_PS1_EviT_T9_T10_S5_lS7_S5_lS6_T11_S5_li,"axG",@progbits,_ZL29rocblas_internal_gemmt_kernelIiLi16ELi32ELi8ELc78ELc78ELc76ELb0ELb0E19rocblas_complex_numIdES1_PKS1_PS1_EviT_T9_T10_S5_lS7_S5_lS6_T11_S5_li,comdat
	.globl	_ZL29rocblas_internal_gemmt_kernelIiLi16ELi32ELi8ELc78ELc78ELc76ELb0ELb0E19rocblas_complex_numIdES1_PKS1_PS1_EviT_T9_T10_S5_lS7_S5_lS6_T11_S5_li ; -- Begin function _ZL29rocblas_internal_gemmt_kernelIiLi16ELi32ELi8ELc78ELc78ELc76ELb0ELb0E19rocblas_complex_numIdES1_PKS1_PS1_EviT_T9_T10_S5_lS7_S5_lS6_T11_S5_li
	.p2align	8
	.type	_ZL29rocblas_internal_gemmt_kernelIiLi16ELi32ELi8ELc78ELc78ELc76ELb0ELb0E19rocblas_complex_numIdES1_PKS1_PS1_EviT_T9_T10_S5_lS7_S5_lS6_T11_S5_li,@function
_ZL29rocblas_internal_gemmt_kernelIiLi16ELi32ELi8ELc78ELc78ELc76ELb0ELb0E19rocblas_complex_numIdES1_PKS1_PS1_EviT_T9_T10_S5_lS7_S5_lS6_T11_S5_li: ; @_ZL29rocblas_internal_gemmt_kernelIiLi16ELi32ELi8ELc78ELc78ELc76ELb0ELb0E19rocblas_complex_numIdES1_PKS1_PS1_EviT_T9_T10_S5_lS7_S5_lS6_T11_S5_li
; %bb.0:
	s_clause 0x2
	s_load_dwordx8 s[12:19], s[4:5], 0x40
	s_load_dwordx2 s[2:3], s[4:5], 0x0
	s_load_dwordx4 s[20:23], s[4:5], 0x8
	s_waitcnt lgkmcnt(0)
	v_cmp_eq_f64_e64 s0, s[14:15], 1.0
	v_cmp_eq_f64_e64 s9, s[16:17], 0
	s_and_b32 s0, s0, s9
	s_andn2_b32 vcc_lo, exec_lo, s0
	s_mov_b32 s0, -1
	s_cbranch_vccnz .LBB135_3
; %bb.1:
	s_cmp_lg_u32 s3, 0
	s_cbranch_scc0 .LBB135_31
; %bb.2:
	v_cmp_neq_f64_e64 s0, s[20:21], 0
	v_cmp_neq_f64_e64 s1, s[22:23], 0
	s_or_b32 s0, s0, s1
.LBB135_3:
	s_and_b32 vcc_lo, exec_lo, s0
	s_cbranch_vccz .LBB135_32
; %bb.4:
	v_cmp_eq_f64_e64 s0, s[20:21], 0
	v_cmp_eq_f64_e64 s1, s[22:23], 0
	s_lshl_b32 s10, s6, 5
	s_lshl_b32 s11, s7, 5
	v_mov_b32_e32 v22, 0
	v_mov_b32_e32 v24, 0
	;; [unrolled: 1-line block ×16, first 2 shown]
	s_mov_b32 s28, 0
	s_and_b32 s0, s0, s1
	s_cmp_lt_i32 s3, 1
	s_cselect_b32 s1, -1, 0
	s_or_b32 s0, s0, s1
	s_and_b32 vcc_lo, exec_lo, s0
	s_cbranch_vccnz .LBB135_15
; %bb.5:
	s_clause 0x3
	s_load_dword s6, s[4:5], 0x20
	s_load_dwordx2 s[30:31], s[4:5], 0x18
	s_load_dwordx4 s[24:27], s[4:5], 0x28
	s_load_dword s1, s[4:5], 0x38
	v_lshl_add_u32 v2, v1, 4, v0
	v_and_b32_e32 v26, 7, v0
	v_mov_b32_e32 v10, 0
	v_mov_b32_e32 v12, 0
	;; [unrolled: 1-line block ×3, first 2 shown]
	v_and_b32_e32 v3, 31, v2
	v_lshrrev_b32_e32 v4, 3, v2
	v_lshlrev_b32_e32 v7, 4, v26
	v_lshrrev_b32_e32 v29, 5, v2
	v_mov_b32_e32 v18, 0
	v_or_b32_e32 v5, s10, v3
	v_add_nc_u32_e32 v6, s11, v4
	v_lshlrev_b32_e32 v8, 4, v3
	v_lshl_or_b32 v9, v4, 7, v7
	v_add_nc_u32_e32 v2, s10, v3
	v_cmp_gt_i32_e32 vcc_lo, s2, v5
	v_cmp_gt_i32_e64 s0, s2, v6
	s_waitcnt lgkmcnt(0)
	v_mad_i64_i32 v[3:4], null, v29, s6, 0
	s_mul_i32 s25, s25, s8
	s_mul_hi_u32 s29, s24, s8
	v_mad_i64_i32 v[5:6], null, s1, v6, 0
	s_mul_i32 s24, s24, s8
	s_add_i32 s25, s29, s25
	v_lshlrev_b64 v[3:4], 4, v[3:4]
	s_lshl_b64 s[24:25], s[24:25], 4
	v_lshl_or_b32 v30, v29, 9, v8
	v_add_nc_u32_e32 v31, 0x1000, v9
	v_mov_b32_e32 v16, 0
	v_mov_b32_e32 v14, 0
	v_add_co_u32 v8, s1, v3, s24
	v_ashrrev_i32_e32 v3, 31, v2
	v_add_co_ci_u32_e64 v9, null, s25, v4, s1
	s_mul_i32 s1, s13, s8
	s_mul_hi_u32 s13, s12, s8
	v_lshlrev_b64 v[4:5], 4, v[5:6]
	s_add_i32 s13, s13, s1
	s_mul_i32 s12, s12, s8
	v_lshlrev_b64 v[2:3], 4, v[2:3]
	s_lshl_b64 s[12:13], s[12:13], 4
	v_mov_b32_e32 v24, 0
	v_add_co_u32 v4, s1, v4, s12
	v_add_co_ci_u32_e64 v5, null, s13, v5, s1
	v_add_co_u32 v2, s1, v8, v2
	v_add_co_ci_u32_e64 v3, null, v9, v3, s1
	;; [unrolled: 2-line block ×4, first 2 shown]
	v_add_co_u32 v8, s1, s26, v4
	v_mov_b32_e32 v22, 0
	v_lshlrev_b32_e32 v27, 4, v0
	v_lshl_add_u32 v28, v1, 7, 0x1000
	v_add_co_ci_u32_e64 v9, null, s27, v5, s1
	v_mov_b32_e32 v11, 0
	v_mov_b32_e32 v13, 0
	;; [unrolled: 1-line block ×9, first 2 shown]
	s_ashr_i32 s7, s6, 31
	s_xor_b32 s1, vcc_lo, -1
	s_lshl_b64 s[6:7], s[6:7], 7
	s_xor_b32 s0, s0, -1
	s_branch .LBB135_7
.LBB135_6:                              ;   in Loop: Header=BB135_7 Depth=1
	s_or_b32 exec_lo, exec_lo, s12
	s_waitcnt lgkmcnt(0)
	s_barrier
	buffer_gl0_inv
	ds_read_b128 v[32:35], v28
	ds_read_b128 v[36:39], v28 offset:16
	ds_read_b128 v[40:43], v28 offset:32
	ds_read_b128 v[44:47], v28 offset:48
	ds_read_b128 v[48:51], v27
	v_add_co_u32 v6, vcc_lo, v6, s6
	v_add_co_ci_u32_e64 v7, null, s7, v7, vcc_lo
	v_add_co_u32 v8, vcc_lo, 0x80, v8
	v_add_co_ci_u32_e64 v9, null, 0, v9, vcc_lo
	s_add_i32 s28, s28, 8
	s_cmp_lt_i32 s28, s3
	s_waitcnt lgkmcnt(0)
	v_mul_f64 v[3:4], v[34:35], v[50:51]
	v_mul_f64 v[52:53], v[32:33], v[50:51]
	v_fma_f64 v[3:4], v[32:33], v[48:49], -v[3:4]
	v_fma_f64 v[52:53], v[34:35], v[48:49], v[52:53]
	v_add_f64 v[3:4], v[22:23], v[3:4]
	v_add_f64 v[52:53], v[52:53], v[24:25]
	ds_read_b128 v[22:25], v27 offset:256
	s_waitcnt lgkmcnt(0)
	v_mul_f64 v[54:55], v[34:35], v[24:25]
	v_fma_f64 v[54:55], v[32:33], v[22:23], -v[54:55]
	v_mul_f64 v[32:33], v[32:33], v[24:25]
	v_fma_f64 v[32:33], v[34:35], v[22:23], v[32:33]
	v_add_f64 v[34:35], v[14:15], v[54:55]
	v_add_f64 v[32:33], v[32:33], v[16:17]
	ds_read_b128 v[14:17], v28 offset:2048
	s_waitcnt lgkmcnt(0)
	v_mul_f64 v[54:55], v[16:17], v[50:51]
	v_mul_f64 v[50:51], v[14:15], v[50:51]
	v_fma_f64 v[54:55], v[14:15], v[48:49], -v[54:55]
	v_fma_f64 v[48:49], v[16:17], v[48:49], v[50:51]
	v_add_f64 v[50:51], v[18:19], v[54:55]
	v_mul_f64 v[18:19], v[16:17], v[24:25]
	v_add_f64 v[48:49], v[48:49], v[20:21]
	v_fma_f64 v[18:19], v[14:15], v[22:23], -v[18:19]
	v_mul_f64 v[14:15], v[14:15], v[24:25]
	v_fma_f64 v[14:15], v[16:17], v[22:23], v[14:15]
	v_add_f64 v[22:23], v[12:13], v[18:19]
	v_add_f64 v[24:25], v[14:15], v[10:11]
	ds_read_b128 v[10:13], v27 offset:512
	s_waitcnt lgkmcnt(0)
	v_mul_f64 v[14:15], v[38:39], v[12:13]
	v_mul_f64 v[16:17], v[36:37], v[12:13]
	v_fma_f64 v[14:15], v[36:37], v[10:11], -v[14:15]
	v_fma_f64 v[16:17], v[38:39], v[10:11], v[16:17]
	v_add_f64 v[3:4], v[3:4], v[14:15]
	v_add_f64 v[52:53], v[16:17], v[52:53]
	ds_read_b128 v[14:17], v27 offset:768
	s_waitcnt lgkmcnt(0)
	v_mul_f64 v[18:19], v[38:39], v[16:17]
	v_mul_f64 v[20:21], v[36:37], v[16:17]
	v_fma_f64 v[18:19], v[36:37], v[14:15], -v[18:19]
	;; [unrolled: 8-line block ×3, first 2 shown]
	v_fma_f64 v[10:11], v[20:21], v[10:11], v[12:13]
	v_mul_f64 v[12:13], v[18:19], v[16:17]
	v_add_f64 v[36:37], v[50:51], v[36:37]
	v_add_f64 v[38:39], v[10:11], v[48:49]
	v_mul_f64 v[10:11], v[20:21], v[16:17]
	v_fma_f64 v[12:13], v[20:21], v[14:15], v[12:13]
	v_fma_f64 v[10:11], v[18:19], v[14:15], -v[10:11]
	v_add_f64 v[24:25], v[12:13], v[24:25]
	v_add_f64 v[22:23], v[22:23], v[10:11]
	ds_read_b128 v[10:13], v27 offset:1024
	s_waitcnt lgkmcnt(0)
	v_mul_f64 v[14:15], v[42:43], v[12:13]
	v_mul_f64 v[16:17], v[40:41], v[12:13]
	v_fma_f64 v[14:15], v[40:41], v[10:11], -v[14:15]
	v_fma_f64 v[16:17], v[42:43], v[10:11], v[16:17]
	v_add_f64 v[3:4], v[3:4], v[14:15]
	v_add_f64 v[48:49], v[16:17], v[52:53]
	ds_read_b128 v[14:17], v27 offset:1280
	s_waitcnt lgkmcnt(0)
	v_mul_f64 v[18:19], v[42:43], v[16:17]
	v_mul_f64 v[20:21], v[40:41], v[16:17]
	v_fma_f64 v[18:19], v[40:41], v[14:15], -v[18:19]
	v_fma_f64 v[20:21], v[42:43], v[14:15], v[20:21]
	;; [unrolled: 8-line block ×3, first 2 shown]
	v_mul_f64 v[12:13], v[18:19], v[16:17]
	v_add_f64 v[36:37], v[36:37], v[40:41]
	v_add_f64 v[38:39], v[10:11], v[38:39]
	v_mul_f64 v[10:11], v[20:21], v[16:17]
	v_fma_f64 v[12:13], v[20:21], v[14:15], v[12:13]
	v_fma_f64 v[10:11], v[18:19], v[14:15], -v[10:11]
	v_add_f64 v[24:25], v[12:13], v[24:25]
	v_add_f64 v[22:23], v[22:23], v[10:11]
	ds_read_b128 v[10:13], v27 offset:1536
	s_waitcnt lgkmcnt(0)
	v_mul_f64 v[14:15], v[46:47], v[12:13]
	v_mul_f64 v[16:17], v[44:45], v[12:13]
	v_fma_f64 v[14:15], v[44:45], v[10:11], -v[14:15]
	v_fma_f64 v[16:17], v[46:47], v[10:11], v[16:17]
	v_add_f64 v[3:4], v[3:4], v[14:15]
	v_add_f64 v[40:41], v[16:17], v[48:49]
	ds_read_b128 v[14:17], v27 offset:1792
	s_waitcnt lgkmcnt(0)
	v_mul_f64 v[18:19], v[46:47], v[16:17]
	v_mul_f64 v[20:21], v[44:45], v[16:17]
	v_fma_f64 v[18:19], v[44:45], v[14:15], -v[18:19]
	v_fma_f64 v[20:21], v[46:47], v[14:15], v[20:21]
	;; [unrolled: 8-line block ×3, first 2 shown]
	v_mul_f64 v[12:13], v[18:19], v[16:17]
	v_add_f64 v[36:37], v[36:37], v[42:43]
	v_add_f64 v[38:39], v[10:11], v[38:39]
	v_mul_f64 v[10:11], v[20:21], v[16:17]
	v_fma_f64 v[12:13], v[20:21], v[14:15], v[12:13]
	v_fma_f64 v[10:11], v[18:19], v[14:15], -v[10:11]
	v_add_f64 v[24:25], v[12:13], v[24:25]
	v_add_f64 v[22:23], v[22:23], v[10:11]
	ds_read_b128 v[10:13], v28 offset:64
	ds_read_b128 v[14:17], v27 offset:2048
	s_waitcnt lgkmcnt(0)
	v_mul_f64 v[18:19], v[12:13], v[16:17]
	v_mul_f64 v[20:21], v[10:11], v[16:17]
	v_fma_f64 v[18:19], v[10:11], v[14:15], -v[18:19]
	v_fma_f64 v[20:21], v[12:13], v[14:15], v[20:21]
	v_add_f64 v[3:4], v[3:4], v[18:19]
	v_add_f64 v[40:41], v[20:21], v[40:41]
	ds_read_b128 v[18:21], v27 offset:2304
	s_waitcnt lgkmcnt(0)
	v_mul_f64 v[42:43], v[12:13], v[20:21]
	v_fma_f64 v[42:43], v[10:11], v[18:19], -v[42:43]
	v_mul_f64 v[10:11], v[10:11], v[20:21]
	v_add_f64 v[34:35], v[34:35], v[42:43]
	v_fma_f64 v[10:11], v[12:13], v[18:19], v[10:11]
	v_add_f64 v[32:33], v[10:11], v[32:33]
	ds_read_b128 v[10:13], v28 offset:2112
	s_waitcnt lgkmcnt(0)
	v_mul_f64 v[42:43], v[12:13], v[16:17]
	v_mul_f64 v[16:17], v[10:11], v[16:17]
	v_fma_f64 v[42:43], v[10:11], v[14:15], -v[42:43]
	v_fma_f64 v[14:15], v[12:13], v[14:15], v[16:17]
	v_add_f64 v[36:37], v[36:37], v[42:43]
	v_add_f64 v[38:39], v[14:15], v[38:39]
	v_mul_f64 v[14:15], v[12:13], v[20:21]
	v_fma_f64 v[14:15], v[10:11], v[18:19], -v[14:15]
	v_mul_f64 v[10:11], v[10:11], v[20:21]
	v_add_f64 v[22:23], v[22:23], v[14:15]
	v_fma_f64 v[10:11], v[12:13], v[18:19], v[10:11]
	v_add_f64 v[24:25], v[10:11], v[24:25]
	ds_read_b128 v[10:13], v28 offset:80
	ds_read_b128 v[14:17], v27 offset:2560
	s_waitcnt lgkmcnt(0)
	v_mul_f64 v[18:19], v[12:13], v[16:17]
	v_mul_f64 v[20:21], v[10:11], v[16:17]
	v_fma_f64 v[18:19], v[10:11], v[14:15], -v[18:19]
	v_fma_f64 v[20:21], v[12:13], v[14:15], v[20:21]
	v_add_f64 v[3:4], v[3:4], v[18:19]
	v_add_f64 v[40:41], v[20:21], v[40:41]
	ds_read_b128 v[18:21], v27 offset:2816
	s_waitcnt lgkmcnt(0)
	v_mul_f64 v[42:43], v[12:13], v[20:21]
	v_fma_f64 v[42:43], v[10:11], v[18:19], -v[42:43]
	v_mul_f64 v[10:11], v[10:11], v[20:21]
	v_add_f64 v[34:35], v[34:35], v[42:43]
	v_fma_f64 v[10:11], v[12:13], v[18:19], v[10:11]
	v_add_f64 v[32:33], v[10:11], v[32:33]
	ds_read_b128 v[10:13], v28 offset:2128
	s_waitcnt lgkmcnt(0)
	v_mul_f64 v[42:43], v[12:13], v[16:17]
	v_mul_f64 v[16:17], v[10:11], v[16:17]
	v_fma_f64 v[42:43], v[10:11], v[14:15], -v[42:43]
	v_fma_f64 v[14:15], v[12:13], v[14:15], v[16:17]
	v_add_f64 v[36:37], v[36:37], v[42:43]
	v_add_f64 v[38:39], v[14:15], v[38:39]
	v_mul_f64 v[14:15], v[12:13], v[20:21]
	v_fma_f64 v[14:15], v[10:11], v[18:19], -v[14:15]
	v_mul_f64 v[10:11], v[10:11], v[20:21]
	v_add_f64 v[22:23], v[22:23], v[14:15]
	v_fma_f64 v[10:11], v[12:13], v[18:19], v[10:11]
	;; [unrolled: 31-line block ×3, first 2 shown]
	v_add_f64 v[48:49], v[10:11], v[24:25]
	ds_read_b128 v[10:13], v28 offset:112
	ds_read_b128 v[18:21], v27 offset:3584
	;; [unrolled: 1-line block ×3, first 2 shown]
	s_waitcnt lgkmcnt(1)
	v_mul_f64 v[14:15], v[12:13], v[20:21]
	v_mul_f64 v[16:17], v[10:11], v[20:21]
	v_fma_f64 v[14:15], v[10:11], v[18:19], -v[14:15]
	v_fma_f64 v[16:17], v[12:13], v[18:19], v[16:17]
	v_add_f64 v[22:23], v[3:4], v[14:15]
	s_waitcnt lgkmcnt(0)
	v_mul_f64 v[3:4], v[12:13], v[34:35]
	v_add_f64 v[24:25], v[16:17], v[40:41]
	v_fma_f64 v[3:4], v[10:11], v[32:33], -v[3:4]
	v_mul_f64 v[10:11], v[10:11], v[34:35]
	v_add_f64 v[14:15], v[42:43], v[3:4]
	v_fma_f64 v[10:11], v[12:13], v[32:33], v[10:11]
	v_add_f64 v[16:17], v[10:11], v[44:45]
	ds_read_b128 v[10:13], v28 offset:2160
	s_waitcnt lgkmcnt(0)
	s_barrier
	buffer_gl0_inv
	v_mul_f64 v[3:4], v[12:13], v[20:21]
	v_mul_f64 v[20:21], v[10:11], v[20:21]
	v_fma_f64 v[3:4], v[10:11], v[18:19], -v[3:4]
	v_fma_f64 v[20:21], v[12:13], v[18:19], v[20:21]
	v_add_f64 v[18:19], v[36:37], v[3:4]
	v_mul_f64 v[3:4], v[12:13], v[34:35]
	v_add_f64 v[20:21], v[20:21], v[38:39]
	v_fma_f64 v[3:4], v[10:11], v[32:33], -v[3:4]
	v_mul_f64 v[10:11], v[10:11], v[34:35]
	v_fma_f64 v[10:11], v[12:13], v[32:33], v[10:11]
	v_add_f64 v[12:13], v[46:47], v[3:4]
	v_add_f64 v[10:11], v[10:11], v[48:49]
	s_cbranch_scc0 .LBB135_15
.LBB135_7:                              ; =>This Inner Loop Header: Depth=1
	v_add_nc_u32_e32 v3, s28, v29
	v_cmp_le_i32_e32 vcc_lo, s3, v3
	s_or_b32 s12, s1, vcc_lo
	s_and_saveexec_b32 s13, s12
	s_xor_b32 s12, exec_lo, s13
	s_cbranch_execz .LBB135_9
; %bb.8:                                ;   in Loop: Header=BB135_7 Depth=1
	v_mov_b32_e32 v3, v2
	v_mov_b32_e32 v4, v2
	;; [unrolled: 1-line block ×3, first 2 shown]
	ds_write_b128 v30, v[2:5]
.LBB135_9:                              ;   in Loop: Header=BB135_7 Depth=1
	s_andn2_saveexec_b32 s12, s12
	s_cbranch_execz .LBB135_11
; %bb.10:                               ;   in Loop: Header=BB135_7 Depth=1
	global_load_dwordx4 v[32:35], v[6:7], off
	s_waitcnt vmcnt(0)
	ds_write2_b64 v30, v[32:33], v[34:35] offset1:1
.LBB135_11:                             ;   in Loop: Header=BB135_7 Depth=1
	s_or_b32 exec_lo, exec_lo, s12
	v_add_nc_u32_e32 v3, s28, v26
	v_cmp_le_i32_e32 vcc_lo, s3, v3
	s_or_b32 s12, vcc_lo, s0
	s_and_saveexec_b32 s13, s12
	s_xor_b32 s12, exec_lo, s13
	s_cbranch_execz .LBB135_13
; %bb.12:                               ;   in Loop: Header=BB135_7 Depth=1
	v_mov_b32_e32 v3, v2
	v_mov_b32_e32 v4, v2
	v_mov_b32_e32 v5, v2
	ds_write_b128 v31, v[2:5]
.LBB135_13:                             ;   in Loop: Header=BB135_7 Depth=1
	s_andn2_saveexec_b32 s12, s12
	s_cbranch_execz .LBB135_6
; %bb.14:                               ;   in Loop: Header=BB135_7 Depth=1
	global_load_dwordx4 v[32:35], v[8:9], off
	s_waitcnt vmcnt(0)
	ds_write2_b64 v31, v[32:33], v[34:35] offset1:1
	s_branch .LBB135_6
.LBB135_15:
	s_clause 0x1
	s_load_dword s3, s[4:5], 0x60
	s_load_dwordx2 s[0:1], s[4:5], 0x68
	v_cmp_neq_f64_e64 s6, s[14:15], 0
	v_add_nc_u32_e32 v27, s11, v1
	v_add_nc_u32_e32 v4, s10, v0
	v_cmp_le_i32_e32 vcc_lo, v27, v4
	v_ashrrev_i32_e32 v5, 31, v4
	s_waitcnt lgkmcnt(0)
	v_mad_i64_i32 v[0:1], null, v27, s3, 0
	s_mul_i32 s1, s1, s8
	s_mul_hi_u32 s5, s0, s8
	s_mul_i32 s4, s0, s8
	s_add_i32 s5, s5, s1
	v_cmp_gt_i32_e64 s0, s2, v4
	s_lshl_b64 s[4:5], s[4:5], 4
	v_lshlrev_b64 v[0:1], 4, v[0:1]
	s_add_u32 s4, s18, s4
	s_addc_u32 s5, s19, s5
	s_xor_b32 s7, s9, -1
	s_or_b32 s6, s6, s7
	v_add_co_u32 v8, s1, s4, v0
	v_add_co_ci_u32_e64 v9, null, s5, v1, s1
	v_cndmask_b32_e64 v26, 0, 1, s6
	s_and_b32 s7, vcc_lo, s0
	s_and_saveexec_b32 s1, s7
	s_cbranch_execz .LBB135_19
; %bb.16:
	v_mul_f64 v[0:1], s[22:23], v[24:25]
	v_mul_f64 v[2:3], s[20:21], v[24:25]
	v_lshlrev_b64 v[6:7], 4, v[4:5]
	v_add_co_u32 v6, vcc_lo, v8, v6
	v_add_co_ci_u32_e64 v7, null, v9, v7, vcc_lo
	s_andn2_b32 vcc_lo, exec_lo, s6
	v_fma_f64 v[0:1], s[20:21], v[22:23], -v[0:1]
	v_fma_f64 v[2:3], s[22:23], v[22:23], v[2:3]
	s_cbranch_vccnz .LBB135_18
; %bb.17:
	global_load_dwordx4 v[22:25], v[6:7], off
	s_waitcnt vmcnt(0)
	v_mul_f64 v[28:29], s[16:17], v[24:25]
	v_mul_f64 v[24:25], s[14:15], v[24:25]
	v_fma_f64 v[28:29], s[14:15], v[22:23], -v[28:29]
	v_fma_f64 v[22:23], s[16:17], v[22:23], v[24:25]
	v_add_f64 v[0:1], v[0:1], v[28:29]
	v_add_f64 v[2:3], v[2:3], v[22:23]
.LBB135_18:
	global_store_dwordx4 v[6:7], v[0:3], off
.LBB135_19:
	s_or_b32 exec_lo, exec_lo, s1
	v_add_nc_u32_e32 v6, 16, v4
	v_cmp_le_i32_e32 vcc_lo, v27, v6
	v_cmp_gt_i32_e64 s1, s2, v6
	v_ashrrev_i32_e32 v7, 31, v6
	s_and_b32 s2, vcc_lo, s1
	s_and_saveexec_b32 s6, s2
	s_cbranch_execz .LBB135_23
; %bb.20:
	v_mul_f64 v[0:1], s[22:23], v[16:17]
	v_mul_f64 v[2:3], s[20:21], v[16:17]
	v_cmp_ne_u32_e32 vcc_lo, 1, v26
	s_and_b32 vcc_lo, exec_lo, vcc_lo
	v_fma_f64 v[0:1], s[20:21], v[14:15], -v[0:1]
	v_fma_f64 v[2:3], s[22:23], v[14:15], v[2:3]
	v_lshlrev_b64 v[14:15], 4, v[6:7]
	v_add_co_u32 v8, s2, v8, v14
	v_add_co_ci_u32_e64 v9, null, v9, v15, s2
	s_cbranch_vccnz .LBB135_22
; %bb.21:
	global_load_dwordx4 v[14:17], v[8:9], off
	s_waitcnt vmcnt(0)
	v_mul_f64 v[22:23], s[16:17], v[16:17]
	v_mul_f64 v[16:17], s[14:15], v[16:17]
	v_fma_f64 v[22:23], s[14:15], v[14:15], -v[22:23]
	v_fma_f64 v[14:15], s[16:17], v[14:15], v[16:17]
	v_add_f64 v[0:1], v[0:1], v[22:23]
	v_add_f64 v[2:3], v[2:3], v[14:15]
.LBB135_22:
	global_store_dwordx4 v[8:9], v[0:3], off
.LBB135_23:
	s_or_b32 exec_lo, exec_lo, s6
	v_add_nc_u32_e32 v14, 16, v27
	v_mad_i64_i32 v[0:1], null, v14, s3, 0
	v_cmp_le_i32_e32 vcc_lo, v14, v4
	s_and_b32 s0, vcc_lo, s0
	v_lshlrev_b64 v[0:1], 4, v[0:1]
	v_add_co_u32 v8, s2, s4, v0
	v_add_co_ci_u32_e64 v9, null, s5, v1, s2
	s_and_saveexec_b32 s2, s0
	s_cbranch_execz .LBB135_27
; %bb.24:
	v_mul_f64 v[0:1], s[22:23], v[20:21]
	v_mul_f64 v[2:3], s[20:21], v[20:21]
	v_lshlrev_b64 v[4:5], 4, v[4:5]
	v_cmp_ne_u32_e32 vcc_lo, 1, v26
	s_and_b32 vcc_lo, exec_lo, vcc_lo
	v_add_co_u32 v4, s0, v8, v4
	v_add_co_ci_u32_e64 v5, null, v9, v5, s0
	v_fma_f64 v[0:1], s[20:21], v[18:19], -v[0:1]
	v_fma_f64 v[2:3], s[22:23], v[18:19], v[2:3]
	s_cbranch_vccnz .LBB135_26
; %bb.25:
	global_load_dwordx4 v[15:18], v[4:5], off
	s_waitcnt vmcnt(0)
	v_mul_f64 v[19:20], s[16:17], v[17:18]
	v_mul_f64 v[17:18], s[14:15], v[17:18]
	v_fma_f64 v[19:20], s[14:15], v[15:16], -v[19:20]
	v_fma_f64 v[15:16], s[16:17], v[15:16], v[17:18]
	v_add_f64 v[0:1], v[0:1], v[19:20]
	v_add_f64 v[2:3], v[2:3], v[15:16]
.LBB135_26:
	global_store_dwordx4 v[4:5], v[0:3], off
.LBB135_27:
	s_or_b32 exec_lo, exec_lo, s2
	v_cmp_le_i32_e32 vcc_lo, v14, v6
	s_and_b32 s0, vcc_lo, s1
	s_and_saveexec_b32 s1, s0
	s_cbranch_execz .LBB135_32
; %bb.28:
	v_mul_f64 v[0:1], s[22:23], v[10:11]
	v_mul_f64 v[2:3], s[20:21], v[10:11]
	v_lshlrev_b64 v[4:5], 4, v[6:7]
	v_cmp_ne_u32_e32 vcc_lo, 1, v26
	s_and_b32 vcc_lo, exec_lo, vcc_lo
	v_add_co_u32 v4, s0, v8, v4
	v_add_co_ci_u32_e64 v5, null, v9, v5, s0
	v_fma_f64 v[0:1], s[20:21], v[12:13], -v[0:1]
	v_fma_f64 v[2:3], s[22:23], v[12:13], v[2:3]
	s_cbranch_vccnz .LBB135_30
; %bb.29:
	global_load_dwordx4 v[6:9], v[4:5], off
	s_waitcnt vmcnt(0)
	v_mul_f64 v[10:11], s[16:17], v[8:9]
	v_mul_f64 v[8:9], s[14:15], v[8:9]
	v_fma_f64 v[10:11], s[14:15], v[6:7], -v[10:11]
	v_fma_f64 v[6:7], s[16:17], v[6:7], v[8:9]
	v_add_f64 v[0:1], v[0:1], v[10:11]
	v_add_f64 v[2:3], v[2:3], v[6:7]
.LBB135_30:
	global_store_dwordx4 v[4:5], v[0:3], off
	s_endpgm
.LBB135_31:
.LBB135_32:
	s_endpgm
	.section	.rodata,"a",@progbits
	.p2align	6, 0x0
	.amdhsa_kernel _ZL29rocblas_internal_gemmt_kernelIiLi16ELi32ELi8ELc78ELc78ELc76ELb0ELb0E19rocblas_complex_numIdES1_PKS1_PS1_EviT_T9_T10_S5_lS7_S5_lS6_T11_S5_li
		.amdhsa_group_segment_fixed_size 8192
		.amdhsa_private_segment_fixed_size 0
		.amdhsa_kernarg_size 116
		.amdhsa_user_sgpr_count 6
		.amdhsa_user_sgpr_private_segment_buffer 1
		.amdhsa_user_sgpr_dispatch_ptr 0
		.amdhsa_user_sgpr_queue_ptr 0
		.amdhsa_user_sgpr_kernarg_segment_ptr 1
		.amdhsa_user_sgpr_dispatch_id 0
		.amdhsa_user_sgpr_flat_scratch_init 0
		.amdhsa_user_sgpr_private_segment_size 0
		.amdhsa_wavefront_size32 1
		.amdhsa_uses_dynamic_stack 0
		.amdhsa_system_sgpr_private_segment_wavefront_offset 0
		.amdhsa_system_sgpr_workgroup_id_x 1
		.amdhsa_system_sgpr_workgroup_id_y 1
		.amdhsa_system_sgpr_workgroup_id_z 1
		.amdhsa_system_sgpr_workgroup_info 0
		.amdhsa_system_vgpr_workitem_id 1
		.amdhsa_next_free_vgpr 56
		.amdhsa_next_free_sgpr 32
		.amdhsa_reserve_vcc 1
		.amdhsa_reserve_flat_scratch 0
		.amdhsa_float_round_mode_32 0
		.amdhsa_float_round_mode_16_64 0
		.amdhsa_float_denorm_mode_32 3
		.amdhsa_float_denorm_mode_16_64 3
		.amdhsa_dx10_clamp 1
		.amdhsa_ieee_mode 1
		.amdhsa_fp16_overflow 0
		.amdhsa_workgroup_processor_mode 1
		.amdhsa_memory_ordered 1
		.amdhsa_forward_progress 1
		.amdhsa_shared_vgpr_count 0
		.amdhsa_exception_fp_ieee_invalid_op 0
		.amdhsa_exception_fp_denorm_src 0
		.amdhsa_exception_fp_ieee_div_zero 0
		.amdhsa_exception_fp_ieee_overflow 0
		.amdhsa_exception_fp_ieee_underflow 0
		.amdhsa_exception_fp_ieee_inexact 0
		.amdhsa_exception_int_div_zero 0
	.end_amdhsa_kernel
	.section	.text._ZL29rocblas_internal_gemmt_kernelIiLi16ELi32ELi8ELc78ELc78ELc76ELb0ELb0E19rocblas_complex_numIdES1_PKS1_PS1_EviT_T9_T10_S5_lS7_S5_lS6_T11_S5_li,"axG",@progbits,_ZL29rocblas_internal_gemmt_kernelIiLi16ELi32ELi8ELc78ELc78ELc76ELb0ELb0E19rocblas_complex_numIdES1_PKS1_PS1_EviT_T9_T10_S5_lS7_S5_lS6_T11_S5_li,comdat
.Lfunc_end135:
	.size	_ZL29rocblas_internal_gemmt_kernelIiLi16ELi32ELi8ELc78ELc78ELc76ELb0ELb0E19rocblas_complex_numIdES1_PKS1_PS1_EviT_T9_T10_S5_lS7_S5_lS6_T11_S5_li, .Lfunc_end135-_ZL29rocblas_internal_gemmt_kernelIiLi16ELi32ELi8ELc78ELc78ELc76ELb0ELb0E19rocblas_complex_numIdES1_PKS1_PS1_EviT_T9_T10_S5_lS7_S5_lS6_T11_S5_li
                                        ; -- End function
	.set _ZL29rocblas_internal_gemmt_kernelIiLi16ELi32ELi8ELc78ELc78ELc76ELb0ELb0E19rocblas_complex_numIdES1_PKS1_PS1_EviT_T9_T10_S5_lS7_S5_lS6_T11_S5_li.num_vgpr, 56
	.set _ZL29rocblas_internal_gemmt_kernelIiLi16ELi32ELi8ELc78ELc78ELc76ELb0ELb0E19rocblas_complex_numIdES1_PKS1_PS1_EviT_T9_T10_S5_lS7_S5_lS6_T11_S5_li.num_agpr, 0
	.set _ZL29rocblas_internal_gemmt_kernelIiLi16ELi32ELi8ELc78ELc78ELc76ELb0ELb0E19rocblas_complex_numIdES1_PKS1_PS1_EviT_T9_T10_S5_lS7_S5_lS6_T11_S5_li.numbered_sgpr, 32
	.set _ZL29rocblas_internal_gemmt_kernelIiLi16ELi32ELi8ELc78ELc78ELc76ELb0ELb0E19rocblas_complex_numIdES1_PKS1_PS1_EviT_T9_T10_S5_lS7_S5_lS6_T11_S5_li.num_named_barrier, 0
	.set _ZL29rocblas_internal_gemmt_kernelIiLi16ELi32ELi8ELc78ELc78ELc76ELb0ELb0E19rocblas_complex_numIdES1_PKS1_PS1_EviT_T9_T10_S5_lS7_S5_lS6_T11_S5_li.private_seg_size, 0
	.set _ZL29rocblas_internal_gemmt_kernelIiLi16ELi32ELi8ELc78ELc78ELc76ELb0ELb0E19rocblas_complex_numIdES1_PKS1_PS1_EviT_T9_T10_S5_lS7_S5_lS6_T11_S5_li.uses_vcc, 1
	.set _ZL29rocblas_internal_gemmt_kernelIiLi16ELi32ELi8ELc78ELc78ELc76ELb0ELb0E19rocblas_complex_numIdES1_PKS1_PS1_EviT_T9_T10_S5_lS7_S5_lS6_T11_S5_li.uses_flat_scratch, 0
	.set _ZL29rocblas_internal_gemmt_kernelIiLi16ELi32ELi8ELc78ELc78ELc76ELb0ELb0E19rocblas_complex_numIdES1_PKS1_PS1_EviT_T9_T10_S5_lS7_S5_lS6_T11_S5_li.has_dyn_sized_stack, 0
	.set _ZL29rocblas_internal_gemmt_kernelIiLi16ELi32ELi8ELc78ELc78ELc76ELb0ELb0E19rocblas_complex_numIdES1_PKS1_PS1_EviT_T9_T10_S5_lS7_S5_lS6_T11_S5_li.has_recursion, 0
	.set _ZL29rocblas_internal_gemmt_kernelIiLi16ELi32ELi8ELc78ELc78ELc76ELb0ELb0E19rocblas_complex_numIdES1_PKS1_PS1_EviT_T9_T10_S5_lS7_S5_lS6_T11_S5_li.has_indirect_call, 0
	.section	.AMDGPU.csdata,"",@progbits
; Kernel info:
; codeLenInByte = 3544
; TotalNumSgprs: 34
; NumVgprs: 56
; ScratchSize: 0
; MemoryBound: 0
; FloatMode: 240
; IeeeMode: 1
; LDSByteSize: 8192 bytes/workgroup (compile time only)
; SGPRBlocks: 0
; VGPRBlocks: 6
; NumSGPRsForWavesPerEU: 34
; NumVGPRsForWavesPerEU: 56
; Occupancy: 16
; WaveLimiterHint : 0
; COMPUTE_PGM_RSRC2:SCRATCH_EN: 0
; COMPUTE_PGM_RSRC2:USER_SGPR: 6
; COMPUTE_PGM_RSRC2:TRAP_HANDLER: 0
; COMPUTE_PGM_RSRC2:TGID_X_EN: 1
; COMPUTE_PGM_RSRC2:TGID_Y_EN: 1
; COMPUTE_PGM_RSRC2:TGID_Z_EN: 1
; COMPUTE_PGM_RSRC2:TIDIG_COMP_CNT: 1
	.section	.text._ZL29rocblas_internal_gemmt_kernelIiLi16ELi32ELi8ELc78ELc84ELc76ELb0ELb0E19rocblas_complex_numIdES1_PKS1_PS1_EviT_T9_T10_S5_lS7_S5_lS6_T11_S5_li,"axG",@progbits,_ZL29rocblas_internal_gemmt_kernelIiLi16ELi32ELi8ELc78ELc84ELc76ELb0ELb0E19rocblas_complex_numIdES1_PKS1_PS1_EviT_T9_T10_S5_lS7_S5_lS6_T11_S5_li,comdat
	.globl	_ZL29rocblas_internal_gemmt_kernelIiLi16ELi32ELi8ELc78ELc84ELc76ELb0ELb0E19rocblas_complex_numIdES1_PKS1_PS1_EviT_T9_T10_S5_lS7_S5_lS6_T11_S5_li ; -- Begin function _ZL29rocblas_internal_gemmt_kernelIiLi16ELi32ELi8ELc78ELc84ELc76ELb0ELb0E19rocblas_complex_numIdES1_PKS1_PS1_EviT_T9_T10_S5_lS7_S5_lS6_T11_S5_li
	.p2align	8
	.type	_ZL29rocblas_internal_gemmt_kernelIiLi16ELi32ELi8ELc78ELc84ELc76ELb0ELb0E19rocblas_complex_numIdES1_PKS1_PS1_EviT_T9_T10_S5_lS7_S5_lS6_T11_S5_li,@function
_ZL29rocblas_internal_gemmt_kernelIiLi16ELi32ELi8ELc78ELc84ELc76ELb0ELb0E19rocblas_complex_numIdES1_PKS1_PS1_EviT_T9_T10_S5_lS7_S5_lS6_T11_S5_li: ; @_ZL29rocblas_internal_gemmt_kernelIiLi16ELi32ELi8ELc78ELc84ELc76ELb0ELb0E19rocblas_complex_numIdES1_PKS1_PS1_EviT_T9_T10_S5_lS7_S5_lS6_T11_S5_li
; %bb.0:
	s_clause 0x2
	s_load_dwordx8 s[12:19], s[4:5], 0x40
	s_load_dwordx2 s[2:3], s[4:5], 0x0
	s_load_dwordx4 s[20:23], s[4:5], 0x8
	s_waitcnt lgkmcnt(0)
	v_cmp_eq_f64_e64 s0, s[14:15], 1.0
	v_cmp_eq_f64_e64 s9, s[16:17], 0
	s_and_b32 s0, s0, s9
	s_andn2_b32 vcc_lo, exec_lo, s0
	s_mov_b32 s0, -1
	s_cbranch_vccnz .LBB136_3
; %bb.1:
	s_cmp_lg_u32 s3, 0
	s_cbranch_scc0 .LBB136_31
; %bb.2:
	v_cmp_neq_f64_e64 s0, s[20:21], 0
	v_cmp_neq_f64_e64 s1, s[22:23], 0
	s_or_b32 s0, s0, s1
.LBB136_3:
	s_and_b32 vcc_lo, exec_lo, s0
	s_cbranch_vccz .LBB136_32
; %bb.4:
	v_cmp_eq_f64_e64 s0, s[20:21], 0
	v_cmp_eq_f64_e64 s1, s[22:23], 0
	s_lshl_b32 s28, s6, 5
	s_lshl_b32 s29, s7, 5
	v_mov_b32_e32 v22, 0
	v_mov_b32_e32 v24, 0
	;; [unrolled: 1-line block ×16, first 2 shown]
	s_mov_b32 s30, 0
	s_and_b32 s0, s0, s1
	s_cmp_lt_i32 s3, 1
	s_cselect_b32 s1, -1, 0
	s_or_b32 s0, s0, s1
	s_and_b32 vcc_lo, exec_lo, s0
	s_cbranch_vccnz .LBB136_15
; %bb.5:
	s_clause 0x1
	s_load_dword s6, s[4:5], 0x20
	s_load_dword s10, s[4:5], 0x38
	v_lshl_add_u32 v2, v1, 4, v0
	s_clause 0x1
	s_load_dwordx4 s[24:27], s[4:5], 0x28
	s_load_dwordx2 s[34:35], s[4:5], 0x18
	v_and_b32_e32 v26, 7, v0
	s_mul_i32 s13, s13, s8
	v_and_b32_e32 v6, 31, v2
	v_lshrrev_b32_e32 v3, 3, v2
	v_lshrrev_b32_e32 v27, 5, v2
	v_lshlrev_b32_e32 v4, 4, v26
	s_mul_hi_u32 s31, s12, s8
	v_or_b32_e32 v5, s28, v6
	v_add_nc_u32_e32 v2, s29, v3
	v_lshlrev_b32_e32 v7, 4, v6
	v_lshl_or_b32 v3, v3, 7, v4
	v_add_nc_u32_e32 v6, s28, v6
	v_cmp_gt_i32_e32 vcc_lo, s2, v5
	s_add_i32 s13, s31, s13
	v_lshl_or_b32 v28, v27, 9, v7
	s_waitcnt lgkmcnt(0)
	v_mad_i64_i32 v[4:5], null, v27, s6, 0
	v_mad_i64_i32 v[8:9], null, s10, v26, 0
	s_mul_i32 s1, s25, s8
	s_mul_hi_u32 s25, s24, s8
	v_ashrrev_i32_e32 v7, 31, v6
	s_add_i32 s25, s25, s1
	v_lshlrev_b64 v[4:5], 4, v[4:5]
	s_mul_i32 s24, s24, s8
	v_add_nc_u32_e32 v29, 0x1000, v3
	s_lshl_b64 s[24:25], s[24:25], 4
	v_lshlrev_b64 v[6:7], 4, v[6:7]
	v_ashrrev_i32_e32 v3, 31, v2
	v_add_co_u32 v10, s1, v4, s24
	v_add_co_ci_u32_e64 v11, null, s25, v5, s1
	v_lshlrev_b64 v[4:5], 4, v[8:9]
	s_mul_i32 s12, s12, s8
	v_add_co_u32 v6, s1, v10, v6
	s_lshl_b64 s[12:13], s[12:13], 4
	v_cmp_gt_i32_e64 s0, s2, v2
	v_lshlrev_b64 v[2:3], 4, v[2:3]
	v_add_co_ci_u32_e64 v7, null, v11, v7, s1
	v_add_co_u32 v4, s1, s12, v4
	v_add_co_ci_u32_e64 v5, null, s13, v5, s1
	v_add_co_u32 v6, s1, s34, v6
	;; [unrolled: 2-line block ×3, first 2 shown]
	v_add_co_ci_u32_e64 v3, null, v5, v3, s1
	v_mov_b32_e32 v10, 0
	v_add_co_u32 v8, s1, s26, v2
	v_mov_b32_e32 v12, 0
	v_mov_b32_e32 v20, 0
	;; [unrolled: 1-line block ×7, first 2 shown]
	v_lshlrev_b32_e32 v30, 4, v0
	v_lshl_add_u32 v31, v1, 7, 0x1000
	v_add_co_ci_u32_e64 v9, null, s27, v3, s1
	v_mov_b32_e32 v11, 0
	v_mov_b32_e32 v13, 0
	;; [unrolled: 1-line block ×9, first 2 shown]
	s_ashr_i32 s7, s6, 31
	s_ashr_i32 s11, s10, 31
	s_lshl_b64 s[6:7], s[6:7], 7
	s_lshl_b64 s[10:11], s[10:11], 7
	s_xor_b32 s1, vcc_lo, -1
	s_xor_b32 s0, s0, -1
	s_branch .LBB136_7
.LBB136_6:                              ;   in Loop: Header=BB136_7 Depth=1
	s_or_b32 exec_lo, exec_lo, s12
	s_waitcnt lgkmcnt(0)
	s_barrier
	buffer_gl0_inv
	ds_read_b128 v[32:35], v31
	ds_read_b128 v[36:39], v31 offset:16
	ds_read_b128 v[40:43], v31 offset:32
	;; [unrolled: 1-line block ×3, first 2 shown]
	ds_read_b128 v[48:51], v30
	v_add_co_u32 v6, vcc_lo, v6, s6
	v_add_co_ci_u32_e64 v7, null, s7, v7, vcc_lo
	v_add_co_u32 v8, vcc_lo, v8, s10
	v_add_co_ci_u32_e64 v9, null, s11, v9, vcc_lo
	s_add_i32 s30, s30, 8
	s_cmp_lt_i32 s30, s3
	s_waitcnt lgkmcnt(0)
	v_mul_f64 v[3:4], v[34:35], v[50:51]
	v_mul_f64 v[52:53], v[32:33], v[50:51]
	v_fma_f64 v[3:4], v[32:33], v[48:49], -v[3:4]
	v_fma_f64 v[52:53], v[34:35], v[48:49], v[52:53]
	v_add_f64 v[3:4], v[22:23], v[3:4]
	v_add_f64 v[52:53], v[52:53], v[24:25]
	ds_read_b128 v[22:25], v30 offset:256
	s_waitcnt lgkmcnt(0)
	v_mul_f64 v[54:55], v[34:35], v[24:25]
	v_fma_f64 v[54:55], v[32:33], v[22:23], -v[54:55]
	v_mul_f64 v[32:33], v[32:33], v[24:25]
	v_fma_f64 v[32:33], v[34:35], v[22:23], v[32:33]
	v_add_f64 v[34:35], v[14:15], v[54:55]
	v_add_f64 v[32:33], v[32:33], v[16:17]
	ds_read_b128 v[14:17], v31 offset:2048
	s_waitcnt lgkmcnt(0)
	v_mul_f64 v[54:55], v[16:17], v[50:51]
	v_mul_f64 v[50:51], v[14:15], v[50:51]
	v_fma_f64 v[54:55], v[14:15], v[48:49], -v[54:55]
	v_fma_f64 v[48:49], v[16:17], v[48:49], v[50:51]
	v_add_f64 v[50:51], v[18:19], v[54:55]
	v_mul_f64 v[18:19], v[16:17], v[24:25]
	v_add_f64 v[48:49], v[48:49], v[20:21]
	v_fma_f64 v[18:19], v[14:15], v[22:23], -v[18:19]
	v_mul_f64 v[14:15], v[14:15], v[24:25]
	v_fma_f64 v[14:15], v[16:17], v[22:23], v[14:15]
	v_add_f64 v[22:23], v[12:13], v[18:19]
	v_add_f64 v[24:25], v[14:15], v[10:11]
	ds_read_b128 v[10:13], v30 offset:512
	s_waitcnt lgkmcnt(0)
	v_mul_f64 v[14:15], v[38:39], v[12:13]
	v_mul_f64 v[16:17], v[36:37], v[12:13]
	v_fma_f64 v[14:15], v[36:37], v[10:11], -v[14:15]
	v_fma_f64 v[16:17], v[38:39], v[10:11], v[16:17]
	v_add_f64 v[3:4], v[3:4], v[14:15]
	v_add_f64 v[52:53], v[16:17], v[52:53]
	ds_read_b128 v[14:17], v30 offset:768
	s_waitcnt lgkmcnt(0)
	v_mul_f64 v[18:19], v[38:39], v[16:17]
	v_mul_f64 v[20:21], v[36:37], v[16:17]
	v_fma_f64 v[18:19], v[36:37], v[14:15], -v[18:19]
	;; [unrolled: 8-line block ×3, first 2 shown]
	v_fma_f64 v[10:11], v[20:21], v[10:11], v[12:13]
	v_mul_f64 v[12:13], v[18:19], v[16:17]
	v_add_f64 v[36:37], v[50:51], v[36:37]
	v_add_f64 v[38:39], v[10:11], v[48:49]
	v_mul_f64 v[10:11], v[20:21], v[16:17]
	v_fma_f64 v[12:13], v[20:21], v[14:15], v[12:13]
	v_fma_f64 v[10:11], v[18:19], v[14:15], -v[10:11]
	v_add_f64 v[24:25], v[12:13], v[24:25]
	v_add_f64 v[22:23], v[22:23], v[10:11]
	ds_read_b128 v[10:13], v30 offset:1024
	s_waitcnt lgkmcnt(0)
	v_mul_f64 v[14:15], v[42:43], v[12:13]
	v_mul_f64 v[16:17], v[40:41], v[12:13]
	v_fma_f64 v[14:15], v[40:41], v[10:11], -v[14:15]
	v_fma_f64 v[16:17], v[42:43], v[10:11], v[16:17]
	v_add_f64 v[3:4], v[3:4], v[14:15]
	v_add_f64 v[48:49], v[16:17], v[52:53]
	ds_read_b128 v[14:17], v30 offset:1280
	s_waitcnt lgkmcnt(0)
	v_mul_f64 v[18:19], v[42:43], v[16:17]
	v_mul_f64 v[20:21], v[40:41], v[16:17]
	v_fma_f64 v[18:19], v[40:41], v[14:15], -v[18:19]
	v_fma_f64 v[20:21], v[42:43], v[14:15], v[20:21]
	;; [unrolled: 8-line block ×3, first 2 shown]
	v_mul_f64 v[12:13], v[18:19], v[16:17]
	v_add_f64 v[36:37], v[36:37], v[40:41]
	v_add_f64 v[38:39], v[10:11], v[38:39]
	v_mul_f64 v[10:11], v[20:21], v[16:17]
	v_fma_f64 v[12:13], v[20:21], v[14:15], v[12:13]
	v_fma_f64 v[10:11], v[18:19], v[14:15], -v[10:11]
	v_add_f64 v[24:25], v[12:13], v[24:25]
	v_add_f64 v[22:23], v[22:23], v[10:11]
	ds_read_b128 v[10:13], v30 offset:1536
	s_waitcnt lgkmcnt(0)
	v_mul_f64 v[14:15], v[46:47], v[12:13]
	v_mul_f64 v[16:17], v[44:45], v[12:13]
	v_fma_f64 v[14:15], v[44:45], v[10:11], -v[14:15]
	v_fma_f64 v[16:17], v[46:47], v[10:11], v[16:17]
	v_add_f64 v[3:4], v[3:4], v[14:15]
	v_add_f64 v[40:41], v[16:17], v[48:49]
	ds_read_b128 v[14:17], v30 offset:1792
	s_waitcnt lgkmcnt(0)
	v_mul_f64 v[18:19], v[46:47], v[16:17]
	v_mul_f64 v[20:21], v[44:45], v[16:17]
	v_fma_f64 v[18:19], v[44:45], v[14:15], -v[18:19]
	v_fma_f64 v[20:21], v[46:47], v[14:15], v[20:21]
	;; [unrolled: 8-line block ×3, first 2 shown]
	v_mul_f64 v[12:13], v[18:19], v[16:17]
	v_add_f64 v[36:37], v[36:37], v[42:43]
	v_add_f64 v[38:39], v[10:11], v[38:39]
	v_mul_f64 v[10:11], v[20:21], v[16:17]
	v_fma_f64 v[12:13], v[20:21], v[14:15], v[12:13]
	v_fma_f64 v[10:11], v[18:19], v[14:15], -v[10:11]
	v_add_f64 v[24:25], v[12:13], v[24:25]
	v_add_f64 v[22:23], v[22:23], v[10:11]
	ds_read_b128 v[10:13], v31 offset:64
	ds_read_b128 v[14:17], v30 offset:2048
	s_waitcnt lgkmcnt(0)
	v_mul_f64 v[18:19], v[12:13], v[16:17]
	v_mul_f64 v[20:21], v[10:11], v[16:17]
	v_fma_f64 v[18:19], v[10:11], v[14:15], -v[18:19]
	v_fma_f64 v[20:21], v[12:13], v[14:15], v[20:21]
	v_add_f64 v[3:4], v[3:4], v[18:19]
	v_add_f64 v[40:41], v[20:21], v[40:41]
	ds_read_b128 v[18:21], v30 offset:2304
	s_waitcnt lgkmcnt(0)
	v_mul_f64 v[42:43], v[12:13], v[20:21]
	v_fma_f64 v[42:43], v[10:11], v[18:19], -v[42:43]
	v_mul_f64 v[10:11], v[10:11], v[20:21]
	v_add_f64 v[34:35], v[34:35], v[42:43]
	v_fma_f64 v[10:11], v[12:13], v[18:19], v[10:11]
	v_add_f64 v[32:33], v[10:11], v[32:33]
	ds_read_b128 v[10:13], v31 offset:2112
	s_waitcnt lgkmcnt(0)
	v_mul_f64 v[42:43], v[12:13], v[16:17]
	v_mul_f64 v[16:17], v[10:11], v[16:17]
	v_fma_f64 v[42:43], v[10:11], v[14:15], -v[42:43]
	v_fma_f64 v[14:15], v[12:13], v[14:15], v[16:17]
	v_add_f64 v[36:37], v[36:37], v[42:43]
	v_add_f64 v[38:39], v[14:15], v[38:39]
	v_mul_f64 v[14:15], v[12:13], v[20:21]
	v_fma_f64 v[14:15], v[10:11], v[18:19], -v[14:15]
	v_mul_f64 v[10:11], v[10:11], v[20:21]
	v_add_f64 v[22:23], v[22:23], v[14:15]
	v_fma_f64 v[10:11], v[12:13], v[18:19], v[10:11]
	v_add_f64 v[24:25], v[10:11], v[24:25]
	ds_read_b128 v[10:13], v31 offset:80
	ds_read_b128 v[14:17], v30 offset:2560
	s_waitcnt lgkmcnt(0)
	v_mul_f64 v[18:19], v[12:13], v[16:17]
	v_mul_f64 v[20:21], v[10:11], v[16:17]
	v_fma_f64 v[18:19], v[10:11], v[14:15], -v[18:19]
	v_fma_f64 v[20:21], v[12:13], v[14:15], v[20:21]
	v_add_f64 v[3:4], v[3:4], v[18:19]
	v_add_f64 v[40:41], v[20:21], v[40:41]
	ds_read_b128 v[18:21], v30 offset:2816
	s_waitcnt lgkmcnt(0)
	v_mul_f64 v[42:43], v[12:13], v[20:21]
	v_fma_f64 v[42:43], v[10:11], v[18:19], -v[42:43]
	v_mul_f64 v[10:11], v[10:11], v[20:21]
	v_add_f64 v[34:35], v[34:35], v[42:43]
	v_fma_f64 v[10:11], v[12:13], v[18:19], v[10:11]
	v_add_f64 v[32:33], v[10:11], v[32:33]
	ds_read_b128 v[10:13], v31 offset:2128
	s_waitcnt lgkmcnt(0)
	v_mul_f64 v[42:43], v[12:13], v[16:17]
	v_mul_f64 v[16:17], v[10:11], v[16:17]
	v_fma_f64 v[42:43], v[10:11], v[14:15], -v[42:43]
	v_fma_f64 v[14:15], v[12:13], v[14:15], v[16:17]
	v_add_f64 v[36:37], v[36:37], v[42:43]
	v_add_f64 v[38:39], v[14:15], v[38:39]
	v_mul_f64 v[14:15], v[12:13], v[20:21]
	v_fma_f64 v[14:15], v[10:11], v[18:19], -v[14:15]
	v_mul_f64 v[10:11], v[10:11], v[20:21]
	v_add_f64 v[22:23], v[22:23], v[14:15]
	v_fma_f64 v[10:11], v[12:13], v[18:19], v[10:11]
	;; [unrolled: 31-line block ×3, first 2 shown]
	v_add_f64 v[48:49], v[10:11], v[24:25]
	ds_read_b128 v[10:13], v31 offset:112
	ds_read_b128 v[18:21], v30 offset:3584
	;; [unrolled: 1-line block ×3, first 2 shown]
	s_waitcnt lgkmcnt(1)
	v_mul_f64 v[14:15], v[12:13], v[20:21]
	v_mul_f64 v[16:17], v[10:11], v[20:21]
	v_fma_f64 v[14:15], v[10:11], v[18:19], -v[14:15]
	v_fma_f64 v[16:17], v[12:13], v[18:19], v[16:17]
	v_add_f64 v[22:23], v[3:4], v[14:15]
	s_waitcnt lgkmcnt(0)
	v_mul_f64 v[3:4], v[12:13], v[34:35]
	v_add_f64 v[24:25], v[16:17], v[40:41]
	v_fma_f64 v[3:4], v[10:11], v[32:33], -v[3:4]
	v_mul_f64 v[10:11], v[10:11], v[34:35]
	v_add_f64 v[14:15], v[42:43], v[3:4]
	v_fma_f64 v[10:11], v[12:13], v[32:33], v[10:11]
	v_add_f64 v[16:17], v[10:11], v[44:45]
	ds_read_b128 v[10:13], v31 offset:2160
	s_waitcnt lgkmcnt(0)
	s_barrier
	buffer_gl0_inv
	v_mul_f64 v[3:4], v[12:13], v[20:21]
	v_mul_f64 v[20:21], v[10:11], v[20:21]
	v_fma_f64 v[3:4], v[10:11], v[18:19], -v[3:4]
	v_fma_f64 v[20:21], v[12:13], v[18:19], v[20:21]
	v_add_f64 v[18:19], v[36:37], v[3:4]
	v_mul_f64 v[3:4], v[12:13], v[34:35]
	v_add_f64 v[20:21], v[20:21], v[38:39]
	v_fma_f64 v[3:4], v[10:11], v[32:33], -v[3:4]
	v_mul_f64 v[10:11], v[10:11], v[34:35]
	v_fma_f64 v[10:11], v[12:13], v[32:33], v[10:11]
	v_add_f64 v[12:13], v[46:47], v[3:4]
	v_add_f64 v[10:11], v[10:11], v[48:49]
	s_cbranch_scc0 .LBB136_15
.LBB136_7:                              ; =>This Inner Loop Header: Depth=1
	v_add_nc_u32_e32 v3, s30, v27
	v_cmp_le_i32_e32 vcc_lo, s3, v3
	s_or_b32 s12, s1, vcc_lo
	s_and_saveexec_b32 s13, s12
	s_xor_b32 s12, exec_lo, s13
	s_cbranch_execz .LBB136_9
; %bb.8:                                ;   in Loop: Header=BB136_7 Depth=1
	v_mov_b32_e32 v3, v2
	v_mov_b32_e32 v4, v2
	;; [unrolled: 1-line block ×3, first 2 shown]
	ds_write_b128 v28, v[2:5]
.LBB136_9:                              ;   in Loop: Header=BB136_7 Depth=1
	s_andn2_saveexec_b32 s12, s12
	s_cbranch_execz .LBB136_11
; %bb.10:                               ;   in Loop: Header=BB136_7 Depth=1
	global_load_dwordx4 v[32:35], v[6:7], off
	s_waitcnt vmcnt(0)
	ds_write2_b64 v28, v[32:33], v[34:35] offset1:1
.LBB136_11:                             ;   in Loop: Header=BB136_7 Depth=1
	s_or_b32 exec_lo, exec_lo, s12
	v_add_nc_u32_e32 v3, s30, v26
	v_cmp_le_i32_e32 vcc_lo, s3, v3
	s_or_b32 s12, vcc_lo, s0
	s_and_saveexec_b32 s13, s12
	s_xor_b32 s12, exec_lo, s13
	s_cbranch_execz .LBB136_13
; %bb.12:                               ;   in Loop: Header=BB136_7 Depth=1
	v_mov_b32_e32 v3, v2
	v_mov_b32_e32 v4, v2
	;; [unrolled: 1-line block ×3, first 2 shown]
	ds_write_b128 v29, v[2:5]
.LBB136_13:                             ;   in Loop: Header=BB136_7 Depth=1
	s_andn2_saveexec_b32 s12, s12
	s_cbranch_execz .LBB136_6
; %bb.14:                               ;   in Loop: Header=BB136_7 Depth=1
	global_load_dwordx4 v[32:35], v[8:9], off
	s_waitcnt vmcnt(0)
	ds_write2_b64 v29, v[32:33], v[34:35] offset1:1
	s_branch .LBB136_6
.LBB136_15:
	s_clause 0x1
	s_load_dword s3, s[4:5], 0x60
	s_load_dwordx2 s[0:1], s[4:5], 0x68
	v_cmp_neq_f64_e64 s6, s[14:15], 0
	v_add_nc_u32_e32 v27, s29, v1
	v_add_nc_u32_e32 v4, s28, v0
	v_cmp_le_i32_e32 vcc_lo, v27, v4
	v_ashrrev_i32_e32 v5, 31, v4
	s_waitcnt lgkmcnt(0)
	v_mad_i64_i32 v[0:1], null, v27, s3, 0
	s_mul_i32 s1, s1, s8
	s_mul_hi_u32 s5, s0, s8
	s_mul_i32 s4, s0, s8
	s_add_i32 s5, s5, s1
	v_cmp_gt_i32_e64 s0, s2, v4
	s_lshl_b64 s[4:5], s[4:5], 4
	v_lshlrev_b64 v[0:1], 4, v[0:1]
	s_add_u32 s4, s18, s4
	s_addc_u32 s5, s19, s5
	s_xor_b32 s7, s9, -1
	s_or_b32 s6, s6, s7
	v_add_co_u32 v8, s1, s4, v0
	v_add_co_ci_u32_e64 v9, null, s5, v1, s1
	v_cndmask_b32_e64 v26, 0, 1, s6
	s_and_b32 s7, vcc_lo, s0
	s_and_saveexec_b32 s1, s7
	s_cbranch_execz .LBB136_19
; %bb.16:
	v_mul_f64 v[0:1], s[22:23], v[24:25]
	v_mul_f64 v[2:3], s[20:21], v[24:25]
	v_lshlrev_b64 v[6:7], 4, v[4:5]
	v_add_co_u32 v6, vcc_lo, v8, v6
	v_add_co_ci_u32_e64 v7, null, v9, v7, vcc_lo
	s_andn2_b32 vcc_lo, exec_lo, s6
	v_fma_f64 v[0:1], s[20:21], v[22:23], -v[0:1]
	v_fma_f64 v[2:3], s[22:23], v[22:23], v[2:3]
	s_cbranch_vccnz .LBB136_18
; %bb.17:
	global_load_dwordx4 v[22:25], v[6:7], off
	s_waitcnt vmcnt(0)
	v_mul_f64 v[28:29], s[16:17], v[24:25]
	v_mul_f64 v[24:25], s[14:15], v[24:25]
	v_fma_f64 v[28:29], s[14:15], v[22:23], -v[28:29]
	v_fma_f64 v[22:23], s[16:17], v[22:23], v[24:25]
	v_add_f64 v[0:1], v[0:1], v[28:29]
	v_add_f64 v[2:3], v[2:3], v[22:23]
.LBB136_18:
	global_store_dwordx4 v[6:7], v[0:3], off
.LBB136_19:
	s_or_b32 exec_lo, exec_lo, s1
	v_add_nc_u32_e32 v6, 16, v4
	v_cmp_le_i32_e32 vcc_lo, v27, v6
	v_cmp_gt_i32_e64 s1, s2, v6
	v_ashrrev_i32_e32 v7, 31, v6
	s_and_b32 s2, vcc_lo, s1
	s_and_saveexec_b32 s6, s2
	s_cbranch_execz .LBB136_23
; %bb.20:
	v_mul_f64 v[0:1], s[22:23], v[16:17]
	v_mul_f64 v[2:3], s[20:21], v[16:17]
	v_cmp_ne_u32_e32 vcc_lo, 1, v26
	s_and_b32 vcc_lo, exec_lo, vcc_lo
	v_fma_f64 v[0:1], s[20:21], v[14:15], -v[0:1]
	v_fma_f64 v[2:3], s[22:23], v[14:15], v[2:3]
	v_lshlrev_b64 v[14:15], 4, v[6:7]
	v_add_co_u32 v8, s2, v8, v14
	v_add_co_ci_u32_e64 v9, null, v9, v15, s2
	s_cbranch_vccnz .LBB136_22
; %bb.21:
	global_load_dwordx4 v[14:17], v[8:9], off
	s_waitcnt vmcnt(0)
	v_mul_f64 v[22:23], s[16:17], v[16:17]
	v_mul_f64 v[16:17], s[14:15], v[16:17]
	v_fma_f64 v[22:23], s[14:15], v[14:15], -v[22:23]
	v_fma_f64 v[14:15], s[16:17], v[14:15], v[16:17]
	v_add_f64 v[0:1], v[0:1], v[22:23]
	v_add_f64 v[2:3], v[2:3], v[14:15]
.LBB136_22:
	global_store_dwordx4 v[8:9], v[0:3], off
.LBB136_23:
	s_or_b32 exec_lo, exec_lo, s6
	v_add_nc_u32_e32 v14, 16, v27
	v_mad_i64_i32 v[0:1], null, v14, s3, 0
	v_cmp_le_i32_e32 vcc_lo, v14, v4
	s_and_b32 s0, vcc_lo, s0
	v_lshlrev_b64 v[0:1], 4, v[0:1]
	v_add_co_u32 v8, s2, s4, v0
	v_add_co_ci_u32_e64 v9, null, s5, v1, s2
	s_and_saveexec_b32 s2, s0
	s_cbranch_execz .LBB136_27
; %bb.24:
	v_mul_f64 v[0:1], s[22:23], v[20:21]
	v_mul_f64 v[2:3], s[20:21], v[20:21]
	v_lshlrev_b64 v[4:5], 4, v[4:5]
	v_cmp_ne_u32_e32 vcc_lo, 1, v26
	s_and_b32 vcc_lo, exec_lo, vcc_lo
	v_add_co_u32 v4, s0, v8, v4
	v_add_co_ci_u32_e64 v5, null, v9, v5, s0
	v_fma_f64 v[0:1], s[20:21], v[18:19], -v[0:1]
	v_fma_f64 v[2:3], s[22:23], v[18:19], v[2:3]
	s_cbranch_vccnz .LBB136_26
; %bb.25:
	global_load_dwordx4 v[15:18], v[4:5], off
	s_waitcnt vmcnt(0)
	v_mul_f64 v[19:20], s[16:17], v[17:18]
	v_mul_f64 v[17:18], s[14:15], v[17:18]
	v_fma_f64 v[19:20], s[14:15], v[15:16], -v[19:20]
	v_fma_f64 v[15:16], s[16:17], v[15:16], v[17:18]
	v_add_f64 v[0:1], v[0:1], v[19:20]
	v_add_f64 v[2:3], v[2:3], v[15:16]
.LBB136_26:
	global_store_dwordx4 v[4:5], v[0:3], off
.LBB136_27:
	s_or_b32 exec_lo, exec_lo, s2
	v_cmp_le_i32_e32 vcc_lo, v14, v6
	s_and_b32 s0, vcc_lo, s1
	s_and_saveexec_b32 s1, s0
	s_cbranch_execz .LBB136_32
; %bb.28:
	v_mul_f64 v[0:1], s[22:23], v[10:11]
	v_mul_f64 v[2:3], s[20:21], v[10:11]
	v_lshlrev_b64 v[4:5], 4, v[6:7]
	v_cmp_ne_u32_e32 vcc_lo, 1, v26
	s_and_b32 vcc_lo, exec_lo, vcc_lo
	v_add_co_u32 v4, s0, v8, v4
	v_add_co_ci_u32_e64 v5, null, v9, v5, s0
	v_fma_f64 v[0:1], s[20:21], v[12:13], -v[0:1]
	v_fma_f64 v[2:3], s[22:23], v[12:13], v[2:3]
	s_cbranch_vccnz .LBB136_30
; %bb.29:
	global_load_dwordx4 v[6:9], v[4:5], off
	s_waitcnt vmcnt(0)
	v_mul_f64 v[10:11], s[16:17], v[8:9]
	v_mul_f64 v[8:9], s[14:15], v[8:9]
	v_fma_f64 v[10:11], s[14:15], v[6:7], -v[10:11]
	v_fma_f64 v[6:7], s[16:17], v[6:7], v[8:9]
	v_add_f64 v[0:1], v[0:1], v[10:11]
	v_add_f64 v[2:3], v[2:3], v[6:7]
.LBB136_30:
	global_store_dwordx4 v[4:5], v[0:3], off
	s_endpgm
.LBB136_31:
.LBB136_32:
	s_endpgm
	.section	.rodata,"a",@progbits
	.p2align	6, 0x0
	.amdhsa_kernel _ZL29rocblas_internal_gemmt_kernelIiLi16ELi32ELi8ELc78ELc84ELc76ELb0ELb0E19rocblas_complex_numIdES1_PKS1_PS1_EviT_T9_T10_S5_lS7_S5_lS6_T11_S5_li
		.amdhsa_group_segment_fixed_size 8192
		.amdhsa_private_segment_fixed_size 0
		.amdhsa_kernarg_size 116
		.amdhsa_user_sgpr_count 6
		.amdhsa_user_sgpr_private_segment_buffer 1
		.amdhsa_user_sgpr_dispatch_ptr 0
		.amdhsa_user_sgpr_queue_ptr 0
		.amdhsa_user_sgpr_kernarg_segment_ptr 1
		.amdhsa_user_sgpr_dispatch_id 0
		.amdhsa_user_sgpr_flat_scratch_init 0
		.amdhsa_user_sgpr_private_segment_size 0
		.amdhsa_wavefront_size32 1
		.amdhsa_uses_dynamic_stack 0
		.amdhsa_system_sgpr_private_segment_wavefront_offset 0
		.amdhsa_system_sgpr_workgroup_id_x 1
		.amdhsa_system_sgpr_workgroup_id_y 1
		.amdhsa_system_sgpr_workgroup_id_z 1
		.amdhsa_system_sgpr_workgroup_info 0
		.amdhsa_system_vgpr_workitem_id 1
		.amdhsa_next_free_vgpr 56
		.amdhsa_next_free_sgpr 36
		.amdhsa_reserve_vcc 1
		.amdhsa_reserve_flat_scratch 0
		.amdhsa_float_round_mode_32 0
		.amdhsa_float_round_mode_16_64 0
		.amdhsa_float_denorm_mode_32 3
		.amdhsa_float_denorm_mode_16_64 3
		.amdhsa_dx10_clamp 1
		.amdhsa_ieee_mode 1
		.amdhsa_fp16_overflow 0
		.amdhsa_workgroup_processor_mode 1
		.amdhsa_memory_ordered 1
		.amdhsa_forward_progress 1
		.amdhsa_shared_vgpr_count 0
		.amdhsa_exception_fp_ieee_invalid_op 0
		.amdhsa_exception_fp_denorm_src 0
		.amdhsa_exception_fp_ieee_div_zero 0
		.amdhsa_exception_fp_ieee_overflow 0
		.amdhsa_exception_fp_ieee_underflow 0
		.amdhsa_exception_fp_ieee_inexact 0
		.amdhsa_exception_int_div_zero 0
	.end_amdhsa_kernel
	.section	.text._ZL29rocblas_internal_gemmt_kernelIiLi16ELi32ELi8ELc78ELc84ELc76ELb0ELb0E19rocblas_complex_numIdES1_PKS1_PS1_EviT_T9_T10_S5_lS7_S5_lS6_T11_S5_li,"axG",@progbits,_ZL29rocblas_internal_gemmt_kernelIiLi16ELi32ELi8ELc78ELc84ELc76ELb0ELb0E19rocblas_complex_numIdES1_PKS1_PS1_EviT_T9_T10_S5_lS7_S5_lS6_T11_S5_li,comdat
.Lfunc_end136:
	.size	_ZL29rocblas_internal_gemmt_kernelIiLi16ELi32ELi8ELc78ELc84ELc76ELb0ELb0E19rocblas_complex_numIdES1_PKS1_PS1_EviT_T9_T10_S5_lS7_S5_lS6_T11_S5_li, .Lfunc_end136-_ZL29rocblas_internal_gemmt_kernelIiLi16ELi32ELi8ELc78ELc84ELc76ELb0ELb0E19rocblas_complex_numIdES1_PKS1_PS1_EviT_T9_T10_S5_lS7_S5_lS6_T11_S5_li
                                        ; -- End function
	.set _ZL29rocblas_internal_gemmt_kernelIiLi16ELi32ELi8ELc78ELc84ELc76ELb0ELb0E19rocblas_complex_numIdES1_PKS1_PS1_EviT_T9_T10_S5_lS7_S5_lS6_T11_S5_li.num_vgpr, 56
	.set _ZL29rocblas_internal_gemmt_kernelIiLi16ELi32ELi8ELc78ELc84ELc76ELb0ELb0E19rocblas_complex_numIdES1_PKS1_PS1_EviT_T9_T10_S5_lS7_S5_lS6_T11_S5_li.num_agpr, 0
	.set _ZL29rocblas_internal_gemmt_kernelIiLi16ELi32ELi8ELc78ELc84ELc76ELb0ELb0E19rocblas_complex_numIdES1_PKS1_PS1_EviT_T9_T10_S5_lS7_S5_lS6_T11_S5_li.numbered_sgpr, 36
	.set _ZL29rocblas_internal_gemmt_kernelIiLi16ELi32ELi8ELc78ELc84ELc76ELb0ELb0E19rocblas_complex_numIdES1_PKS1_PS1_EviT_T9_T10_S5_lS7_S5_lS6_T11_S5_li.num_named_barrier, 0
	.set _ZL29rocblas_internal_gemmt_kernelIiLi16ELi32ELi8ELc78ELc84ELc76ELb0ELb0E19rocblas_complex_numIdES1_PKS1_PS1_EviT_T9_T10_S5_lS7_S5_lS6_T11_S5_li.private_seg_size, 0
	.set _ZL29rocblas_internal_gemmt_kernelIiLi16ELi32ELi8ELc78ELc84ELc76ELb0ELb0E19rocblas_complex_numIdES1_PKS1_PS1_EviT_T9_T10_S5_lS7_S5_lS6_T11_S5_li.uses_vcc, 1
	.set _ZL29rocblas_internal_gemmt_kernelIiLi16ELi32ELi8ELc78ELc84ELc76ELb0ELb0E19rocblas_complex_numIdES1_PKS1_PS1_EviT_T9_T10_S5_lS7_S5_lS6_T11_S5_li.uses_flat_scratch, 0
	.set _ZL29rocblas_internal_gemmt_kernelIiLi16ELi32ELi8ELc78ELc84ELc76ELb0ELb0E19rocblas_complex_numIdES1_PKS1_PS1_EviT_T9_T10_S5_lS7_S5_lS6_T11_S5_li.has_dyn_sized_stack, 0
	.set _ZL29rocblas_internal_gemmt_kernelIiLi16ELi32ELi8ELc78ELc84ELc76ELb0ELb0E19rocblas_complex_numIdES1_PKS1_PS1_EviT_T9_T10_S5_lS7_S5_lS6_T11_S5_li.has_recursion, 0
	.set _ZL29rocblas_internal_gemmt_kernelIiLi16ELi32ELi8ELc78ELc84ELc76ELb0ELb0E19rocblas_complex_numIdES1_PKS1_PS1_EviT_T9_T10_S5_lS7_S5_lS6_T11_S5_li.has_indirect_call, 0
	.section	.AMDGPU.csdata,"",@progbits
; Kernel info:
; codeLenInByte = 3564
; TotalNumSgprs: 38
; NumVgprs: 56
; ScratchSize: 0
; MemoryBound: 0
; FloatMode: 240
; IeeeMode: 1
; LDSByteSize: 8192 bytes/workgroup (compile time only)
; SGPRBlocks: 0
; VGPRBlocks: 6
; NumSGPRsForWavesPerEU: 38
; NumVGPRsForWavesPerEU: 56
; Occupancy: 16
; WaveLimiterHint : 0
; COMPUTE_PGM_RSRC2:SCRATCH_EN: 0
; COMPUTE_PGM_RSRC2:USER_SGPR: 6
; COMPUTE_PGM_RSRC2:TRAP_HANDLER: 0
; COMPUTE_PGM_RSRC2:TGID_X_EN: 1
; COMPUTE_PGM_RSRC2:TGID_Y_EN: 1
; COMPUTE_PGM_RSRC2:TGID_Z_EN: 1
; COMPUTE_PGM_RSRC2:TIDIG_COMP_CNT: 1
	.section	.text._ZL29rocblas_internal_gemmt_kernelIiLi16ELi32ELi8ELc78ELc67ELc76ELb0ELb1E19rocblas_complex_numIdES1_PKS1_PS1_EviT_T9_T10_S5_lS7_S5_lS6_T11_S5_li,"axG",@progbits,_ZL29rocblas_internal_gemmt_kernelIiLi16ELi32ELi8ELc78ELc67ELc76ELb0ELb1E19rocblas_complex_numIdES1_PKS1_PS1_EviT_T9_T10_S5_lS7_S5_lS6_T11_S5_li,comdat
	.globl	_ZL29rocblas_internal_gemmt_kernelIiLi16ELi32ELi8ELc78ELc67ELc76ELb0ELb1E19rocblas_complex_numIdES1_PKS1_PS1_EviT_T9_T10_S5_lS7_S5_lS6_T11_S5_li ; -- Begin function _ZL29rocblas_internal_gemmt_kernelIiLi16ELi32ELi8ELc78ELc67ELc76ELb0ELb1E19rocblas_complex_numIdES1_PKS1_PS1_EviT_T9_T10_S5_lS7_S5_lS6_T11_S5_li
	.p2align	8
	.type	_ZL29rocblas_internal_gemmt_kernelIiLi16ELi32ELi8ELc78ELc67ELc76ELb0ELb1E19rocblas_complex_numIdES1_PKS1_PS1_EviT_T9_T10_S5_lS7_S5_lS6_T11_S5_li,@function
_ZL29rocblas_internal_gemmt_kernelIiLi16ELi32ELi8ELc78ELc67ELc76ELb0ELb1E19rocblas_complex_numIdES1_PKS1_PS1_EviT_T9_T10_S5_lS7_S5_lS6_T11_S5_li: ; @_ZL29rocblas_internal_gemmt_kernelIiLi16ELi32ELi8ELc78ELc67ELc76ELb0ELb1E19rocblas_complex_numIdES1_PKS1_PS1_EviT_T9_T10_S5_lS7_S5_lS6_T11_S5_li
; %bb.0:
	s_clause 0x2
	s_load_dwordx8 s[12:19], s[4:5], 0x40
	s_load_dwordx2 s[2:3], s[4:5], 0x0
	s_load_dwordx4 s[20:23], s[4:5], 0x8
	s_waitcnt lgkmcnt(0)
	v_cmp_eq_f64_e64 s0, s[14:15], 1.0
	v_cmp_eq_f64_e64 s9, s[16:17], 0
	s_and_b32 s0, s0, s9
	s_andn2_b32 vcc_lo, exec_lo, s0
	s_mov_b32 s0, -1
	s_cbranch_vccnz .LBB137_3
; %bb.1:
	s_cmp_lg_u32 s3, 0
	s_cbranch_scc0 .LBB137_29
; %bb.2:
	v_cmp_neq_f64_e64 s0, s[20:21], 0
	v_cmp_neq_f64_e64 s1, s[22:23], 0
	s_or_b32 s0, s0, s1
.LBB137_3:
	s_and_b32 vcc_lo, exec_lo, s0
	s_cbranch_vccz .LBB137_30
; %bb.4:
	v_cmp_eq_f64_e64 s0, s[20:21], 0
	v_cmp_eq_f64_e64 s1, s[22:23], 0
	s_lshl_b32 s28, s6, 5
	s_lshl_b32 s29, s7, 5
	v_mov_b32_e32 v23, 0
	v_mov_b32_e32 v25, 0
	;; [unrolled: 1-line block ×16, first 2 shown]
	s_mov_b32 s30, 0
	s_and_b32 s0, s0, s1
	s_cmp_lt_i32 s3, 1
	s_cselect_b32 s1, -1, 0
	s_or_b32 s0, s0, s1
	s_and_b32 vcc_lo, exec_lo, s0
	s_cbranch_vccnz .LBB137_13
; %bb.5:
	s_clause 0x1
	s_load_dword s6, s[4:5], 0x20
	s_load_dword s10, s[4:5], 0x38
	v_lshl_add_u32 v2, v1, 4, v0
	s_clause 0x1
	s_load_dwordx4 s[24:27], s[4:5], 0x28
	s_load_dwordx2 s[34:35], s[4:5], 0x18
	v_and_b32_e32 v27, 7, v0
	s_mul_i32 s13, s13, s8
	v_and_b32_e32 v6, 31, v2
	v_lshrrev_b32_e32 v3, 3, v2
	v_lshrrev_b32_e32 v28, 5, v2
	v_lshlrev_b32_e32 v4, 4, v27
	s_mul_hi_u32 s31, s12, s8
	v_or_b32_e32 v5, s28, v6
	v_add_nc_u32_e32 v2, s29, v3
	v_lshlrev_b32_e32 v7, 4, v6
	v_lshl_or_b32 v3, v3, 7, v4
	v_add_nc_u32_e32 v6, s28, v6
	v_cmp_gt_i32_e64 s0, s2, v5
	s_add_i32 s13, s31, s13
	v_lshl_or_b32 v29, v28, 9, v7
	s_waitcnt lgkmcnt(0)
	v_mad_i64_i32 v[4:5], null, v28, s6, 0
	v_mad_i64_i32 v[7:8], null, s10, v27, 0
	s_mul_i32 s1, s25, s8
	s_mul_hi_u32 s25, s24, s8
	s_mul_i32 s24, s24, s8
	s_add_i32 s25, s25, s1
	v_lshlrev_b64 v[4:5], 4, v[4:5]
	s_lshl_b64 s[24:25], s[24:25], 4
	v_add_nc_u32_e32 v30, 0x1000, v3
	v_ashrrev_i32_e32 v3, 31, v2
	s_mul_i32 s12, s12, s8
	v_cmp_gt_i32_e32 vcc_lo, s2, v2
	v_add_co_u32 v9, s1, v4, s24
	v_add_co_ci_u32_e64 v10, null, s25, v5, s1
	v_lshlrev_b64 v[4:5], 4, v[7:8]
	v_ashrrev_i32_e32 v7, 31, v6
	s_lshl_b64 s[12:13], s[12:13], 4
	v_lshlrev_b64 v[2:3], 4, v[2:3]
	v_mov_b32_e32 v17, 0
	v_mov_b32_e32 v15, 0
	v_add_co_u32 v8, s1, s12, v4
	v_add_co_ci_u32_e64 v11, null, s13, v5, s1
	v_lshlrev_b64 v[4:5], 4, v[6:7]
	v_add_co_u32 v2, s1, v8, v2
	v_add_co_ci_u32_e64 v3, null, v11, v3, s1
	v_mov_b32_e32 v7, 0
	v_add_co_u32 v4, s1, v9, v4
	v_add_co_ci_u32_e64 v5, null, v10, v5, s1
	v_add_co_u32 v2, s1, s26, v2
	v_add_co_ci_u32_e64 v3, null, s27, v3, s1
	;; [unrolled: 2-line block ×3, first 2 shown]
	v_add_co_u32 v13, s1, v2, 8
	v_mov_b32_e32 v9, 0
	v_mov_b32_e32 v21, 0
	;; [unrolled: 1-line block ×5, first 2 shown]
	v_lshlrev_b32_e32 v31, 4, v0
	v_lshl_add_u32 v32, v1, 7, 0x1000
	v_add_co_ci_u32_e64 v14, null, 0, v3, s1
	v_mov_b32_e32 v8, 0
	v_mov_b32_e32 v10, 0
	;; [unrolled: 1-line block ×9, first 2 shown]
	s_ashr_i32 s7, s6, 31
	s_ashr_i32 s11, s10, 31
	s_lshl_b64 s[6:7], s[6:7], 7
	s_lshl_b64 s[10:11], s[10:11], 7
	s_xor_b32 s1, s0, -1
	s_branch .LBB137_7
.LBB137_6:                              ;   in Loop: Header=BB137_7 Depth=1
	s_or_b32 exec_lo, exec_lo, s0
	ds_write_b128 v30, v[3:6]
	s_waitcnt lgkmcnt(0)
	s_barrier
	buffer_gl0_inv
	ds_read_b128 v[3:6], v32
	ds_read_b128 v[33:36], v31
	ds_read_b128 v[37:40], v31 offset:256
	ds_read_b128 v[41:44], v32 offset:2048
	;; [unrolled: 1-line block ×12, first 2 shown]
	v_add_co_u32 v11, s0, v11, s6
	v_add_co_ci_u32_e64 v12, null, s7, v12, s0
	v_add_co_u32 v13, s0, v13, s10
	v_add_co_ci_u32_e64 v14, null, s11, v14, s0
	s_waitcnt lgkmcnt(12)
	v_mul_f64 v[85:86], v[5:6], v[35:36]
	v_mul_f64 v[87:88], v[3:4], v[35:36]
	s_waitcnt lgkmcnt(11)
	v_mul_f64 v[89:90], v[5:6], v[39:40]
	v_mul_f64 v[91:92], v[3:4], v[39:40]
	;; [unrolled: 3-line block ×3, first 2 shown]
	v_mul_f64 v[95:96], v[43:44], v[39:40]
	v_mul_f64 v[39:40], v[41:42], v[39:40]
	s_waitcnt lgkmcnt(8)
	v_mul_f64 v[97:98], v[47:48], v[51:52]
	v_mul_f64 v[99:100], v[45:46], v[51:52]
	s_waitcnt lgkmcnt(7)
	;; [unrolled: 3-line block ×3, first 2 shown]
	v_mul_f64 v[105:106], v[59:60], v[51:52]
	v_mul_f64 v[51:52], v[57:58], v[51:52]
	v_mul_f64 v[107:108], v[59:60], v[55:56]
	v_mul_f64 v[55:56], v[57:58], v[55:56]
	s_waitcnt lgkmcnt(4)
	v_mul_f64 v[109:110], v[63:64], v[67:68]
	v_mul_f64 v[111:112], v[61:62], v[67:68]
	s_waitcnt lgkmcnt(3)
	v_mul_f64 v[113:114], v[63:64], v[71:72]
	v_mul_f64 v[115:116], v[61:62], v[71:72]
	s_waitcnt lgkmcnt(2)
	v_mul_f64 v[117:118], v[75:76], v[67:68]
	v_mul_f64 v[67:68], v[73:74], v[67:68]
	v_fma_f64 v[85:86], v[3:4], v[33:34], -v[85:86]
	v_fma_f64 v[87:88], v[5:6], v[33:34], v[87:88]
	v_fma_f64 v[89:90], v[3:4], v[37:38], -v[89:90]
	v_fma_f64 v[91:92], v[5:6], v[37:38], v[91:92]
	;; [unrolled: 2-line block ×4, first 2 shown]
	v_mul_f64 v[123:124], v[75:76], v[71:72]
	v_mul_f64 v[71:72], v[73:74], v[71:72]
	v_fma_f64 v[97:98], v[45:46], v[49:50], -v[97:98]
	v_fma_f64 v[99:100], v[47:48], v[49:50], v[99:100]
	v_fma_f64 v[101:102], v[45:46], v[53:54], -v[101:102]
	v_fma_f64 v[103:104], v[47:48], v[53:54], v[103:104]
	v_fma_f64 v[105:106], v[57:58], v[49:50], -v[105:106]
	v_fma_f64 v[125:126], v[59:60], v[49:50], v[51:52]
	v_fma_f64 v[57:58], v[57:58], v[53:54], -v[107:108]
	v_fma_f64 v[53:54], v[59:60], v[53:54], v[55:56]
	v_fma_f64 v[55:56], v[61:62], v[65:66], -v[109:110]
	v_fma_f64 v[59:60], v[63:64], v[65:66], v[111:112]
	v_fma_f64 v[61:62], v[61:62], v[69:70], -v[113:114]
	v_fma_f64 v[63:64], v[63:64], v[69:70], v[115:116]
	v_fma_f64 v[107:108], v[73:74], v[65:66], -v[117:118]
	v_fma_f64 v[65:66], v[75:76], v[65:66], v[67:68]
	v_add_f64 v[23:24], v[23:24], v[85:86]
	v_add_f64 v[25:26], v[87:88], v[25:26]
	;; [unrolled: 1-line block ×6, first 2 shown]
	v_fma_f64 v[73:74], v[73:74], v[69:70], -v[123:124]
	v_fma_f64 v[69:70], v[75:76], v[69:70], v[71:72]
	v_add_f64 v[71:72], v[15:16], v[93:94]
	v_add_f64 v[75:76], v[119:120], v[17:18]
	ds_read_b128 v[3:6], v31 offset:1536
	ds_read_b128 v[33:36], v31 offset:1792
	;; [unrolled: 1-line block ×7, first 2 shown]
	s_add_i32 s30, s30, 8
	s_cmp_lt_i32 s30, s3
	v_add_f64 v[97:98], v[23:24], v[97:98]
	v_add_f64 v[99:100], v[99:100], v[25:26]
	v_add_f64 v[101:102], v[19:20], v[101:102]
	v_add_f64 v[103:104], v[103:104], v[21:22]
	v_add_f64 v[9:10], v[9:10], v[57:58]
	v_add_f64 v[53:54], v[53:54], v[85:86]
	ds_read_b128 v[19:22], v31 offset:2560
	ds_read_b128 v[23:26], v31 offset:2816
	s_waitcnt lgkmcnt(8)
	v_mul_f64 v[109:110], v[79:80], v[5:6]
	v_mul_f64 v[111:112], v[77:78], v[5:6]
	s_waitcnt lgkmcnt(7)
	v_mul_f64 v[67:68], v[79:80], v[35:36]
	v_mul_f64 v[113:114], v[77:78], v[35:36]
	;; [unrolled: 1-line block ×6, first 2 shown]
	s_waitcnt lgkmcnt(4)
	v_mul_f64 v[95:96], v[39:40], v[47:48]
	v_add_f64 v[71:72], v[71:72], v[105:106]
	v_add_f64 v[75:76], v[125:126], v[75:76]
	v_mul_f64 v[93:94], v[37:38], v[43:44]
	ds_read_b128 v[5:8], v32 offset:80
	v_add_f64 v[55:56], v[97:98], v[55:56]
	v_add_f64 v[59:60], v[59:60], v[99:100]
	;; [unrolled: 1-line block ×6, first 2 shown]
	s_waitcnt lgkmcnt(2)
	v_mul_f64 v[99:100], v[17:18], v[21:22]
	s_waitcnt lgkmcnt(1)
	v_mul_f64 v[101:102], v[17:18], v[25:26]
	v_fma_f64 v[89:90], v[77:78], v[3:4], -v[109:110]
	v_fma_f64 v[91:92], v[79:80], v[3:4], v[111:112]
	v_fma_f64 v[67:68], v[77:78], v[33:34], -v[67:68]
	v_mul_f64 v[77:78], v[39:40], v[43:44]
	v_mul_f64 v[109:110], v[37:38], v[47:48]
	v_fma_f64 v[79:80], v[79:80], v[33:34], v[113:114]
	v_mul_f64 v[111:112], v[51:52], v[43:44]
	v_mul_f64 v[43:44], v[49:50], v[43:44]
	v_fma_f64 v[57:58], v[81:82], v[3:4], -v[115:116]
	v_fma_f64 v[3:4], v[83:84], v[3:4], v[117:118]
	v_fma_f64 v[81:82], v[81:82], v[33:34], -v[87:88]
	v_fma_f64 v[83:84], v[83:84], v[33:34], v[35:36]
	v_fma_f64 v[87:88], v[37:38], v[45:46], -v[95:96]
	v_mul_f64 v[95:96], v[51:52], v[47:48]
	v_mul_f64 v[47:48], v[49:50], v[47:48]
	v_add_f64 v[71:72], v[71:72], v[107:108]
	v_add_f64 v[65:66], v[65:66], v[75:76]
	v_fma_f64 v[85:86], v[39:40], v[41:42], v[93:94]
	s_waitcnt lgkmcnt(0)
	v_mul_f64 v[69:70], v[7:8], v[21:22]
	v_mul_f64 v[73:74], v[5:6], v[21:22]
	;; [unrolled: 1-line block ×6, first 2 shown]
	v_add_f64 v[55:56], v[55:56], v[89:90]
	v_fma_f64 v[77:78], v[37:38], v[41:42], -v[77:78]
	v_fma_f64 v[93:94], v[39:40], v[45:46], v[109:110]
	v_add_f64 v[59:60], v[91:92], v[59:60]
	v_fma_f64 v[105:106], v[49:50], v[41:42], -v[111:112]
	v_fma_f64 v[109:110], v[51:52], v[41:42], v[43:44]
	v_add_f64 v[61:62], v[61:62], v[67:68]
	v_add_f64 v[63:64], v[79:80], v[63:64]
	;; [unrolled: 1-line block ×4, first 2 shown]
	ds_read_b128 v[33:36], v32 offset:96
	ds_read_b128 v[37:40], v31 offset:3072
	v_fma_f64 v[49:50], v[49:50], v[45:46], -v[95:96]
	v_fma_f64 v[51:52], v[51:52], v[45:46], v[47:48]
	v_add_f64 v[57:58], v[71:72], v[57:58]
	v_add_f64 v[65:66], v[3:4], v[65:66]
	ds_read_b128 v[41:44], v31 offset:3328
	ds_read_b128 v[45:48], v32 offset:2144
	v_fma_f64 v[69:70], v[5:6], v[19:20], -v[69:70]
	v_fma_f64 v[71:72], v[7:8], v[19:20], v[73:74]
	v_fma_f64 v[73:74], v[5:6], v[23:24], -v[75:76]
	v_fma_f64 v[75:76], v[7:8], v[23:24], v[97:98]
	;; [unrolled: 2-line block ×4, first 2 shown]
	v_add_f64 v[55:56], v[55:56], v[77:78]
	v_add_f64 v[59:60], v[85:86], v[59:60]
	ds_read_b128 v[3:6], v32 offset:112
	ds_read_b128 v[7:10], v32 offset:2160
	v_add_f64 v[61:62], v[61:62], v[87:88]
	v_add_f64 v[63:64], v[93:94], v[63:64]
	s_waitcnt lgkmcnt(4)
	v_mul_f64 v[89:90], v[35:36], v[39:40]
	v_mul_f64 v[25:26], v[33:34], v[39:40]
	ds_read_b128 v[15:18], v31 offset:3584
	ds_read_b128 v[19:22], v31 offset:3840
	v_add_f64 v[49:50], v[67:68], v[49:50]
	s_waitcnt lgkmcnt(5)
	v_mul_f64 v[91:92], v[35:36], v[43:44]
	v_mul_f64 v[95:96], v[33:34], v[43:44]
	s_waitcnt lgkmcnt(4)
	v_mul_f64 v[97:98], v[47:48], v[39:40]
	v_mul_f64 v[39:40], v[45:46], v[39:40]
	v_add_f64 v[57:58], v[57:58], v[105:106]
	v_add_f64 v[65:66], v[109:110], v[65:66]
	;; [unrolled: 1-line block ×3, first 2 shown]
	v_mul_f64 v[53:54], v[47:48], v[43:44]
	v_mul_f64 v[43:44], v[45:46], v[43:44]
	s_waitcnt lgkmcnt(0)
	s_barrier
	buffer_gl0_inv
	v_fma_f64 v[67:68], v[33:34], v[37:38], -v[89:90]
	v_fma_f64 v[25:26], v[35:36], v[37:38], v[25:26]
	v_add_f64 v[49:50], v[49:50], v[83:84]
	v_fma_f64 v[33:34], v[33:34], v[41:42], -v[91:92]
	v_fma_f64 v[35:36], v[35:36], v[41:42], v[95:96]
	v_fma_f64 v[77:78], v[45:46], v[37:38], -v[97:98]
	v_fma_f64 v[37:38], v[47:48], v[37:38], v[39:40]
	v_add_f64 v[39:40], v[55:56], v[69:70]
	v_add_f64 v[55:56], v[71:72], v[59:60]
	;; [unrolled: 1-line block ×7, first 2 shown]
	v_fma_f64 v[45:46], v[45:46], v[41:42], -v[53:54]
	v_fma_f64 v[41:42], v[47:48], v[41:42], v[43:44]
	v_mul_f64 v[43:44], v[5:6], v[17:18]
	v_mul_f64 v[47:48], v[3:4], v[17:18]
	;; [unrolled: 1-line block ×8, first 2 shown]
	v_add_f64 v[39:40], v[39:40], v[67:68]
	v_add_f64 v[25:26], v[25:26], v[55:56]
	;; [unrolled: 1-line block ×8, first 2 shown]
	v_fma_f64 v[23:24], v[3:4], v[15:16], -v[43:44]
	v_fma_f64 v[43:44], v[5:6], v[15:16], v[47:48]
	v_fma_f64 v[3:4], v[3:4], v[19:20], -v[51:52]
	v_fma_f64 v[5:6], v[5:6], v[19:20], v[53:54]
	;; [unrolled: 2-line block ×4, first 2 shown]
	v_add_f64 v[23:24], v[39:40], v[23:24]
	v_add_f64 v[25:26], v[43:44], v[25:26]
	;; [unrolled: 1-line block ×8, first 2 shown]
	s_cbranch_scc0 .LBB137_13
.LBB137_7:                              ; =>This Inner Loop Header: Depth=1
	v_add_nc_u32_e32 v3, s30, v28
	v_cmp_le_i32_e64 s0, s3, v3
	s_or_b32 s0, s1, s0
	s_and_saveexec_b32 s12, s0
	s_xor_b32 s0, exec_lo, s12
	s_cbranch_execz .LBB137_9
; %bb.8:                                ;   in Loop: Header=BB137_7 Depth=1
	v_mov_b32_e32 v3, v2
	v_mov_b32_e32 v4, v2
	;; [unrolled: 1-line block ×3, first 2 shown]
	ds_write_b128 v29, v[2:5]
.LBB137_9:                              ;   in Loop: Header=BB137_7 Depth=1
	s_andn2_saveexec_b32 s0, s0
	s_cbranch_execz .LBB137_11
; %bb.10:                               ;   in Loop: Header=BB137_7 Depth=1
	global_load_dwordx4 v[3:6], v[11:12], off
	s_waitcnt vmcnt(0)
	ds_write2_b64 v29, v[3:4], v[5:6] offset1:1
.LBB137_11:                             ;   in Loop: Header=BB137_7 Depth=1
	s_or_b32 exec_lo, exec_lo, s0
	v_add_nc_u32_e32 v3, s30, v27
	v_mov_b32_e32 v5, 0
	v_mov_b32_e32 v6, 0
	v_cmp_gt_i32_e64 s0, s3, v3
	v_mov_b32_e32 v3, 0
	v_mov_b32_e32 v4, 0
	s_and_b32 s12, s0, vcc_lo
	s_and_saveexec_b32 s0, s12
	s_cbranch_execz .LBB137_6
; %bb.12:                               ;   in Loop: Header=BB137_7 Depth=1
	global_load_dwordx4 v[3:6], v[13:14], off offset:-8
	s_waitcnt vmcnt(0)
	v_xor_b32_e32 v6, 0x80000000, v6
	s_branch .LBB137_6
.LBB137_13:
	s_clause 0x1
	s_load_dword s3, s[4:5], 0x60
	s_load_dwordx2 s[0:1], s[4:5], 0x68
	v_cmp_neq_f64_e64 s6, s[14:15], 0
	v_add_nc_u32_e32 v27, s29, v1
	v_add_nc_u32_e32 v4, s28, v0
	v_cmp_le_i32_e32 vcc_lo, v27, v4
	v_ashrrev_i32_e32 v5, 31, v4
	s_waitcnt lgkmcnt(0)
	v_mad_i64_i32 v[0:1], null, v27, s3, 0
	s_mul_i32 s1, s1, s8
	s_mul_hi_u32 s5, s0, s8
	s_mul_i32 s4, s0, s8
	s_add_i32 s5, s5, s1
	v_cmp_gt_i32_e64 s0, s2, v4
	s_lshl_b64 s[4:5], s[4:5], 4
	v_lshlrev_b64 v[0:1], 4, v[0:1]
	s_add_u32 s4, s18, s4
	s_addc_u32 s5, s19, s5
	s_xor_b32 s7, s9, -1
	s_or_b32 s6, s6, s7
	v_add_co_u32 v13, s1, s4, v0
	v_add_co_ci_u32_e64 v14, null, s5, v1, s1
	v_cndmask_b32_e64 v6, 0, 1, s6
	s_and_b32 s7, vcc_lo, s0
	s_and_saveexec_b32 s1, s7
	s_cbranch_execz .LBB137_17
; %bb.14:
	v_mul_f64 v[0:1], s[22:23], v[25:26]
	v_mul_f64 v[2:3], s[20:21], v[25:26]
	v_lshlrev_b64 v[11:12], 4, v[4:5]
	v_add_co_u32 v11, vcc_lo, v13, v11
	v_add_co_ci_u32_e64 v12, null, v14, v12, vcc_lo
	s_andn2_b32 vcc_lo, exec_lo, s6
	v_fma_f64 v[0:1], s[20:21], v[23:24], -v[0:1]
	v_fma_f64 v[2:3], s[22:23], v[23:24], v[2:3]
	s_cbranch_vccnz .LBB137_16
; %bb.15:
	global_load_dwordx4 v[23:26], v[11:12], off
	s_waitcnt vmcnt(0)
	v_mul_f64 v[28:29], s[16:17], v[25:26]
	v_mul_f64 v[25:26], s[14:15], v[25:26]
	v_fma_f64 v[28:29], s[14:15], v[23:24], -v[28:29]
	v_fma_f64 v[23:24], s[16:17], v[23:24], v[25:26]
	v_add_f64 v[0:1], v[0:1], v[28:29]
	v_add_f64 v[2:3], v[2:3], v[23:24]
.LBB137_16:
	global_store_dwordx4 v[11:12], v[0:3], off
.LBB137_17:
	s_or_b32 exec_lo, exec_lo, s1
	v_add_nc_u32_e32 v11, 16, v4
	v_cmp_le_i32_e32 vcc_lo, v27, v11
	v_cmp_gt_i32_e64 s1, s2, v11
	v_ashrrev_i32_e32 v12, 31, v11
	s_and_b32 s2, vcc_lo, s1
	s_and_saveexec_b32 s6, s2
	s_cbranch_execz .LBB137_21
; %bb.18:
	v_mul_f64 v[0:1], s[22:23], v[21:22]
	v_mul_f64 v[2:3], s[20:21], v[21:22]
	v_cmp_ne_u32_e32 vcc_lo, 1, v6
	s_and_b32 vcc_lo, exec_lo, vcc_lo
	v_fma_f64 v[0:1], s[20:21], v[19:20], -v[0:1]
	v_fma_f64 v[2:3], s[22:23], v[19:20], v[2:3]
	v_lshlrev_b64 v[19:20], 4, v[11:12]
	v_add_co_u32 v13, s2, v13, v19
	v_add_co_ci_u32_e64 v14, null, v14, v20, s2
	s_cbranch_vccnz .LBB137_20
; %bb.19:
	global_load_dwordx4 v[19:22], v[13:14], off
	s_waitcnt vmcnt(0)
	v_mul_f64 v[23:24], s[16:17], v[21:22]
	v_mul_f64 v[21:22], s[14:15], v[21:22]
	v_fma_f64 v[23:24], s[14:15], v[19:20], -v[23:24]
	v_fma_f64 v[19:20], s[16:17], v[19:20], v[21:22]
	v_add_f64 v[0:1], v[0:1], v[23:24]
	v_add_f64 v[2:3], v[2:3], v[19:20]
.LBB137_20:
	global_store_dwordx4 v[13:14], v[0:3], off
.LBB137_21:
	s_or_b32 exec_lo, exec_lo, s6
	v_add_nc_u32_e32 v19, 16, v27
	v_mad_i64_i32 v[0:1], null, v19, s3, 0
	v_cmp_le_i32_e32 vcc_lo, v19, v4
	s_and_b32 s0, vcc_lo, s0
	v_lshlrev_b64 v[0:1], 4, v[0:1]
	v_add_co_u32 v13, s2, s4, v0
	v_add_co_ci_u32_e64 v14, null, s5, v1, s2
	s_and_saveexec_b32 s2, s0
	s_cbranch_execz .LBB137_25
; %bb.22:
	v_mul_f64 v[0:1], s[22:23], v[17:18]
	v_mul_f64 v[2:3], s[20:21], v[17:18]
	v_lshlrev_b64 v[4:5], 4, v[4:5]
	v_cmp_ne_u32_e32 vcc_lo, 1, v6
	s_and_b32 vcc_lo, exec_lo, vcc_lo
	v_add_co_u32 v4, s0, v13, v4
	v_add_co_ci_u32_e64 v5, null, v14, v5, s0
	v_fma_f64 v[0:1], s[20:21], v[15:16], -v[0:1]
	v_fma_f64 v[2:3], s[22:23], v[15:16], v[2:3]
	s_cbranch_vccnz .LBB137_24
; %bb.23:
	global_load_dwordx4 v[15:18], v[4:5], off
	s_waitcnt vmcnt(0)
	v_mul_f64 v[20:21], s[16:17], v[17:18]
	v_mul_f64 v[17:18], s[14:15], v[17:18]
	v_fma_f64 v[20:21], s[14:15], v[15:16], -v[20:21]
	v_fma_f64 v[15:16], s[16:17], v[15:16], v[17:18]
	v_add_f64 v[0:1], v[0:1], v[20:21]
	v_add_f64 v[2:3], v[2:3], v[15:16]
.LBB137_24:
	global_store_dwordx4 v[4:5], v[0:3], off
.LBB137_25:
	s_or_b32 exec_lo, exec_lo, s2
	v_cmp_le_i32_e32 vcc_lo, v19, v11
	s_and_b32 s0, vcc_lo, s1
	s_and_saveexec_b32 s1, s0
	s_cbranch_execz .LBB137_30
; %bb.26:
	v_mul_f64 v[0:1], s[22:23], v[7:8]
	v_mul_f64 v[2:3], s[20:21], v[7:8]
	v_lshlrev_b64 v[4:5], 4, v[11:12]
	v_cmp_ne_u32_e32 vcc_lo, 1, v6
	s_and_b32 vcc_lo, exec_lo, vcc_lo
	v_add_co_u32 v4, s0, v13, v4
	v_add_co_ci_u32_e64 v5, null, v14, v5, s0
	v_fma_f64 v[0:1], s[20:21], v[9:10], -v[0:1]
	v_fma_f64 v[2:3], s[22:23], v[9:10], v[2:3]
	s_cbranch_vccnz .LBB137_28
; %bb.27:
	global_load_dwordx4 v[6:9], v[4:5], off
	s_waitcnt vmcnt(0)
	v_mul_f64 v[10:11], s[16:17], v[8:9]
	v_mul_f64 v[8:9], s[14:15], v[8:9]
	v_fma_f64 v[10:11], s[14:15], v[6:7], -v[10:11]
	v_fma_f64 v[6:7], s[16:17], v[6:7], v[8:9]
	v_add_f64 v[0:1], v[0:1], v[10:11]
	v_add_f64 v[2:3], v[2:3], v[6:7]
.LBB137_28:
	global_store_dwordx4 v[4:5], v[0:3], off
	s_endpgm
.LBB137_29:
.LBB137_30:
	s_endpgm
	.section	.rodata,"a",@progbits
	.p2align	6, 0x0
	.amdhsa_kernel _ZL29rocblas_internal_gemmt_kernelIiLi16ELi32ELi8ELc78ELc67ELc76ELb0ELb1E19rocblas_complex_numIdES1_PKS1_PS1_EviT_T9_T10_S5_lS7_S5_lS6_T11_S5_li
		.amdhsa_group_segment_fixed_size 8192
		.amdhsa_private_segment_fixed_size 0
		.amdhsa_kernarg_size 116
		.amdhsa_user_sgpr_count 6
		.amdhsa_user_sgpr_private_segment_buffer 1
		.amdhsa_user_sgpr_dispatch_ptr 0
		.amdhsa_user_sgpr_queue_ptr 0
		.amdhsa_user_sgpr_kernarg_segment_ptr 1
		.amdhsa_user_sgpr_dispatch_id 0
		.amdhsa_user_sgpr_flat_scratch_init 0
		.amdhsa_user_sgpr_private_segment_size 0
		.amdhsa_wavefront_size32 1
		.amdhsa_uses_dynamic_stack 0
		.amdhsa_system_sgpr_private_segment_wavefront_offset 0
		.amdhsa_system_sgpr_workgroup_id_x 1
		.amdhsa_system_sgpr_workgroup_id_y 1
		.amdhsa_system_sgpr_workgroup_id_z 1
		.amdhsa_system_sgpr_workgroup_info 0
		.amdhsa_system_vgpr_workitem_id 1
		.amdhsa_next_free_vgpr 127
		.amdhsa_next_free_sgpr 36
		.amdhsa_reserve_vcc 1
		.amdhsa_reserve_flat_scratch 0
		.amdhsa_float_round_mode_32 0
		.amdhsa_float_round_mode_16_64 0
		.amdhsa_float_denorm_mode_32 3
		.amdhsa_float_denorm_mode_16_64 3
		.amdhsa_dx10_clamp 1
		.amdhsa_ieee_mode 1
		.amdhsa_fp16_overflow 0
		.amdhsa_workgroup_processor_mode 1
		.amdhsa_memory_ordered 1
		.amdhsa_forward_progress 1
		.amdhsa_shared_vgpr_count 0
		.amdhsa_exception_fp_ieee_invalid_op 0
		.amdhsa_exception_fp_denorm_src 0
		.amdhsa_exception_fp_ieee_div_zero 0
		.amdhsa_exception_fp_ieee_overflow 0
		.amdhsa_exception_fp_ieee_underflow 0
		.amdhsa_exception_fp_ieee_inexact 0
		.amdhsa_exception_int_div_zero 0
	.end_amdhsa_kernel
	.section	.text._ZL29rocblas_internal_gemmt_kernelIiLi16ELi32ELi8ELc78ELc67ELc76ELb0ELb1E19rocblas_complex_numIdES1_PKS1_PS1_EviT_T9_T10_S5_lS7_S5_lS6_T11_S5_li,"axG",@progbits,_ZL29rocblas_internal_gemmt_kernelIiLi16ELi32ELi8ELc78ELc67ELc76ELb0ELb1E19rocblas_complex_numIdES1_PKS1_PS1_EviT_T9_T10_S5_lS7_S5_lS6_T11_S5_li,comdat
.Lfunc_end137:
	.size	_ZL29rocblas_internal_gemmt_kernelIiLi16ELi32ELi8ELc78ELc67ELc76ELb0ELb1E19rocblas_complex_numIdES1_PKS1_PS1_EviT_T9_T10_S5_lS7_S5_lS6_T11_S5_li, .Lfunc_end137-_ZL29rocblas_internal_gemmt_kernelIiLi16ELi32ELi8ELc78ELc67ELc76ELb0ELb1E19rocblas_complex_numIdES1_PKS1_PS1_EviT_T9_T10_S5_lS7_S5_lS6_T11_S5_li
                                        ; -- End function
	.set _ZL29rocblas_internal_gemmt_kernelIiLi16ELi32ELi8ELc78ELc67ELc76ELb0ELb1E19rocblas_complex_numIdES1_PKS1_PS1_EviT_T9_T10_S5_lS7_S5_lS6_T11_S5_li.num_vgpr, 127
	.set _ZL29rocblas_internal_gemmt_kernelIiLi16ELi32ELi8ELc78ELc67ELc76ELb0ELb1E19rocblas_complex_numIdES1_PKS1_PS1_EviT_T9_T10_S5_lS7_S5_lS6_T11_S5_li.num_agpr, 0
	.set _ZL29rocblas_internal_gemmt_kernelIiLi16ELi32ELi8ELc78ELc67ELc76ELb0ELb1E19rocblas_complex_numIdES1_PKS1_PS1_EviT_T9_T10_S5_lS7_S5_lS6_T11_S5_li.numbered_sgpr, 36
	.set _ZL29rocblas_internal_gemmt_kernelIiLi16ELi32ELi8ELc78ELc67ELc76ELb0ELb1E19rocblas_complex_numIdES1_PKS1_PS1_EviT_T9_T10_S5_lS7_S5_lS6_T11_S5_li.num_named_barrier, 0
	.set _ZL29rocblas_internal_gemmt_kernelIiLi16ELi32ELi8ELc78ELc67ELc76ELb0ELb1E19rocblas_complex_numIdES1_PKS1_PS1_EviT_T9_T10_S5_lS7_S5_lS6_T11_S5_li.private_seg_size, 0
	.set _ZL29rocblas_internal_gemmt_kernelIiLi16ELi32ELi8ELc78ELc67ELc76ELb0ELb1E19rocblas_complex_numIdES1_PKS1_PS1_EviT_T9_T10_S5_lS7_S5_lS6_T11_S5_li.uses_vcc, 1
	.set _ZL29rocblas_internal_gemmt_kernelIiLi16ELi32ELi8ELc78ELc67ELc76ELb0ELb1E19rocblas_complex_numIdES1_PKS1_PS1_EviT_T9_T10_S5_lS7_S5_lS6_T11_S5_li.uses_flat_scratch, 0
	.set _ZL29rocblas_internal_gemmt_kernelIiLi16ELi32ELi8ELc78ELc67ELc76ELb0ELb1E19rocblas_complex_numIdES1_PKS1_PS1_EviT_T9_T10_S5_lS7_S5_lS6_T11_S5_li.has_dyn_sized_stack, 0
	.set _ZL29rocblas_internal_gemmt_kernelIiLi16ELi32ELi8ELc78ELc67ELc76ELb0ELb1E19rocblas_complex_numIdES1_PKS1_PS1_EviT_T9_T10_S5_lS7_S5_lS6_T11_S5_li.has_recursion, 0
	.set _ZL29rocblas_internal_gemmt_kernelIiLi16ELi32ELi8ELc78ELc67ELc76ELb0ELb1E19rocblas_complex_numIdES1_PKS1_PS1_EviT_T9_T10_S5_lS7_S5_lS6_T11_S5_li.has_indirect_call, 0
	.section	.AMDGPU.csdata,"",@progbits
; Kernel info:
; codeLenInByte = 3556
; TotalNumSgprs: 38
; NumVgprs: 127
; ScratchSize: 0
; MemoryBound: 1
; FloatMode: 240
; IeeeMode: 1
; LDSByteSize: 8192 bytes/workgroup (compile time only)
; SGPRBlocks: 0
; VGPRBlocks: 15
; NumSGPRsForWavesPerEU: 38
; NumVGPRsForWavesPerEU: 127
; Occupancy: 8
; WaveLimiterHint : 0
; COMPUTE_PGM_RSRC2:SCRATCH_EN: 0
; COMPUTE_PGM_RSRC2:USER_SGPR: 6
; COMPUTE_PGM_RSRC2:TRAP_HANDLER: 0
; COMPUTE_PGM_RSRC2:TGID_X_EN: 1
; COMPUTE_PGM_RSRC2:TGID_Y_EN: 1
; COMPUTE_PGM_RSRC2:TGID_Z_EN: 1
; COMPUTE_PGM_RSRC2:TIDIG_COMP_CNT: 1
	.section	.text._ZL29rocblas_internal_gemmt_kernelIiLi16ELi32ELi8ELc84ELc78ELc76ELb0ELb0E19rocblas_complex_numIdES1_PKS1_PS1_EviT_T9_T10_S5_lS7_S5_lS6_T11_S5_li,"axG",@progbits,_ZL29rocblas_internal_gemmt_kernelIiLi16ELi32ELi8ELc84ELc78ELc76ELb0ELb0E19rocblas_complex_numIdES1_PKS1_PS1_EviT_T9_T10_S5_lS7_S5_lS6_T11_S5_li,comdat
	.globl	_ZL29rocblas_internal_gemmt_kernelIiLi16ELi32ELi8ELc84ELc78ELc76ELb0ELb0E19rocblas_complex_numIdES1_PKS1_PS1_EviT_T9_T10_S5_lS7_S5_lS6_T11_S5_li ; -- Begin function _ZL29rocblas_internal_gemmt_kernelIiLi16ELi32ELi8ELc84ELc78ELc76ELb0ELb0E19rocblas_complex_numIdES1_PKS1_PS1_EviT_T9_T10_S5_lS7_S5_lS6_T11_S5_li
	.p2align	8
	.type	_ZL29rocblas_internal_gemmt_kernelIiLi16ELi32ELi8ELc84ELc78ELc76ELb0ELb0E19rocblas_complex_numIdES1_PKS1_PS1_EviT_T9_T10_S5_lS7_S5_lS6_T11_S5_li,@function
_ZL29rocblas_internal_gemmt_kernelIiLi16ELi32ELi8ELc84ELc78ELc76ELb0ELb0E19rocblas_complex_numIdES1_PKS1_PS1_EviT_T9_T10_S5_lS7_S5_lS6_T11_S5_li: ; @_ZL29rocblas_internal_gemmt_kernelIiLi16ELi32ELi8ELc84ELc78ELc76ELb0ELb0E19rocblas_complex_numIdES1_PKS1_PS1_EviT_T9_T10_S5_lS7_S5_lS6_T11_S5_li
; %bb.0:
	s_clause 0x2
	s_load_dwordx8 s[12:19], s[4:5], 0x40
	s_load_dwordx2 s[2:3], s[4:5], 0x0
	s_load_dwordx4 s[20:23], s[4:5], 0x8
	s_waitcnt lgkmcnt(0)
	v_cmp_eq_f64_e64 s0, s[14:15], 1.0
	v_cmp_eq_f64_e64 s9, s[16:17], 0
	s_and_b32 s0, s0, s9
	s_andn2_b32 vcc_lo, exec_lo, s0
	s_mov_b32 s0, -1
	s_cbranch_vccnz .LBB138_3
; %bb.1:
	s_cmp_lg_u32 s3, 0
	s_cbranch_scc0 .LBB138_31
; %bb.2:
	v_cmp_neq_f64_e64 s0, s[20:21], 0
	v_cmp_neq_f64_e64 s1, s[22:23], 0
	s_or_b32 s0, s0, s1
.LBB138_3:
	s_and_b32 vcc_lo, exec_lo, s0
	s_cbranch_vccz .LBB138_32
; %bb.4:
	v_cmp_eq_f64_e64 s0, s[20:21], 0
	v_cmp_eq_f64_e64 s1, s[22:23], 0
	s_lshl_b32 s6, s6, 5
	s_lshl_b32 s7, s7, 5
	v_mov_b32_e32 v22, 0
	v_mov_b32_e32 v24, 0
	;; [unrolled: 1-line block ×16, first 2 shown]
	s_mov_b32 s10, 0
	s_and_b32 s0, s0, s1
	s_cmp_lt_i32 s3, 1
	s_cselect_b32 s1, -1, 0
	s_or_b32 s0, s0, s1
	s_and_b32 vcc_lo, exec_lo, s0
	s_cbranch_vccnz .LBB138_15
; %bb.5:
	s_clause 0x1
	s_load_dword s0, s[4:5], 0x20
	s_load_dwordx2 s[28:29], s[4:5], 0x18
	v_lshl_add_u32 v2, v1, 4, v0
	s_clause 0x1
	s_load_dwordx4 s[24:27], s[4:5], 0x28
	s_load_dword s1, s[4:5], 0x38
	v_and_b32_e32 v26, 7, v0
	v_mov_b32_e32 v10, 0
	v_and_b32_e32 v4, 31, v2
	v_lshrrev_b32_e32 v3, 3, v2
	v_lshrrev_b32_e32 v29, 5, v2
	v_lshlrev_b32_e32 v6, 4, v26
	v_mov_b32_e32 v12, 0
	v_add_nc_u32_e32 v2, s6, v4
	v_add_nc_u32_e32 v5, s7, v3
	v_or_b32_e32 v7, s6, v4
	v_lshl_or_b32 v8, v3, 7, v6
	v_lshlrev_b32_e32 v4, 4, v4
	v_mov_b32_e32 v20, 0
	v_mov_b32_e32 v18, 0
	v_cmp_gt_i32_e32 vcc_lo, s2, v7
	s_waitcnt lgkmcnt(0)
	v_mad_i64_i32 v[2:3], null, s0, v2, 0
	v_lshl_or_b32 v30, v29, 9, v4
	v_cmp_gt_i32_e64 s0, s2, v5
	s_mul_i32 s11, s25, s8
	s_mul_hi_u32 s25, s24, s8
	v_mad_i64_i32 v[4:5], null, s1, v5, 0
	v_lshlrev_b64 v[2:3], 4, v[2:3]
	s_mul_i32 s24, s24, s8
	s_add_i32 s25, s25, s11
	v_add_nc_u32_e32 v31, 0x1000, v8
	s_lshl_b64 s[24:25], s[24:25], 4
	s_mul_hi_u32 s11, s12, s8
	v_add_co_u32 v7, s1, v2, s24
	v_add_co_ci_u32_e64 v8, null, s25, v3, s1
	s_mul_i32 s1, s13, s8
	v_lshlrev_b64 v[2:3], 4, v[4:5]
	s_add_i32 s13, s11, s1
	s_mul_i32 s12, s12, s8
	v_lshlrev_b32_e32 v4, 4, v29
	s_lshl_b64 s[12:13], s[12:13], 4
	v_mov_b32_e32 v16, 0
	v_add_co_u32 v2, s1, v2, s12
	v_add_co_ci_u32_e64 v3, null, s13, v3, s1
	v_add_co_u32 v4, s1, v7, v4
	v_add_co_ci_u32_e64 v5, null, 0, v8, s1
	;; [unrolled: 2-line block ×4, first 2 shown]
	v_add_co_u32 v8, s1, s26, v2
	v_mov_b32_e32 v14, 0
	v_mov_b32_e32 v24, 0
	;; [unrolled: 1-line block ×3, first 2 shown]
	v_lshlrev_b32_e32 v27, 4, v0
	v_lshl_add_u32 v28, v1, 7, 0x1000
	v_add_co_ci_u32_e64 v9, null, s27, v3, s1
	v_mov_b32_e32 v11, 0
	v_mov_b32_e32 v13, 0
	;; [unrolled: 1-line block ×9, first 2 shown]
	s_xor_b32 s1, vcc_lo, -1
	s_xor_b32 s0, s0, -1
	s_branch .LBB138_7
.LBB138_6:                              ;   in Loop: Header=BB138_7 Depth=1
	s_or_b32 exec_lo, exec_lo, s11
	s_waitcnt lgkmcnt(0)
	s_barrier
	buffer_gl0_inv
	ds_read_b128 v[32:35], v28
	ds_read_b128 v[36:39], v28 offset:16
	ds_read_b128 v[40:43], v28 offset:32
	;; [unrolled: 1-line block ×3, first 2 shown]
	ds_read_b128 v[48:51], v27
	v_add_co_u32 v6, vcc_lo, 0x80, v6
	v_add_co_ci_u32_e64 v7, null, 0, v7, vcc_lo
	v_add_co_u32 v8, vcc_lo, 0x80, v8
	v_add_co_ci_u32_e64 v9, null, 0, v9, vcc_lo
	s_add_i32 s10, s10, 8
	s_cmp_lt_i32 s10, s3
	s_waitcnt lgkmcnt(0)
	v_mul_f64 v[3:4], v[34:35], v[50:51]
	v_mul_f64 v[52:53], v[32:33], v[50:51]
	v_fma_f64 v[3:4], v[32:33], v[48:49], -v[3:4]
	v_fma_f64 v[52:53], v[34:35], v[48:49], v[52:53]
	v_add_f64 v[3:4], v[22:23], v[3:4]
	v_add_f64 v[52:53], v[52:53], v[24:25]
	ds_read_b128 v[22:25], v27 offset:256
	s_waitcnt lgkmcnt(0)
	v_mul_f64 v[54:55], v[34:35], v[24:25]
	v_fma_f64 v[54:55], v[32:33], v[22:23], -v[54:55]
	v_mul_f64 v[32:33], v[32:33], v[24:25]
	v_fma_f64 v[32:33], v[34:35], v[22:23], v[32:33]
	v_add_f64 v[34:35], v[14:15], v[54:55]
	v_add_f64 v[32:33], v[32:33], v[16:17]
	ds_read_b128 v[14:17], v28 offset:2048
	s_waitcnt lgkmcnt(0)
	v_mul_f64 v[54:55], v[16:17], v[50:51]
	v_mul_f64 v[50:51], v[14:15], v[50:51]
	v_fma_f64 v[54:55], v[14:15], v[48:49], -v[54:55]
	v_fma_f64 v[48:49], v[16:17], v[48:49], v[50:51]
	v_add_f64 v[50:51], v[18:19], v[54:55]
	v_mul_f64 v[18:19], v[16:17], v[24:25]
	v_add_f64 v[48:49], v[48:49], v[20:21]
	v_fma_f64 v[18:19], v[14:15], v[22:23], -v[18:19]
	v_mul_f64 v[14:15], v[14:15], v[24:25]
	v_fma_f64 v[14:15], v[16:17], v[22:23], v[14:15]
	v_add_f64 v[22:23], v[12:13], v[18:19]
	v_add_f64 v[24:25], v[14:15], v[10:11]
	ds_read_b128 v[10:13], v27 offset:512
	s_waitcnt lgkmcnt(0)
	v_mul_f64 v[14:15], v[38:39], v[12:13]
	v_mul_f64 v[16:17], v[36:37], v[12:13]
	v_fma_f64 v[14:15], v[36:37], v[10:11], -v[14:15]
	v_fma_f64 v[16:17], v[38:39], v[10:11], v[16:17]
	v_add_f64 v[3:4], v[3:4], v[14:15]
	v_add_f64 v[52:53], v[16:17], v[52:53]
	ds_read_b128 v[14:17], v27 offset:768
	s_waitcnt lgkmcnt(0)
	v_mul_f64 v[18:19], v[38:39], v[16:17]
	v_mul_f64 v[20:21], v[36:37], v[16:17]
	v_fma_f64 v[18:19], v[36:37], v[14:15], -v[18:19]
	;; [unrolled: 8-line block ×3, first 2 shown]
	v_fma_f64 v[10:11], v[20:21], v[10:11], v[12:13]
	v_mul_f64 v[12:13], v[18:19], v[16:17]
	v_add_f64 v[36:37], v[50:51], v[36:37]
	v_add_f64 v[38:39], v[10:11], v[48:49]
	v_mul_f64 v[10:11], v[20:21], v[16:17]
	v_fma_f64 v[12:13], v[20:21], v[14:15], v[12:13]
	v_fma_f64 v[10:11], v[18:19], v[14:15], -v[10:11]
	v_add_f64 v[24:25], v[12:13], v[24:25]
	v_add_f64 v[22:23], v[22:23], v[10:11]
	ds_read_b128 v[10:13], v27 offset:1024
	s_waitcnt lgkmcnt(0)
	v_mul_f64 v[14:15], v[42:43], v[12:13]
	v_mul_f64 v[16:17], v[40:41], v[12:13]
	v_fma_f64 v[14:15], v[40:41], v[10:11], -v[14:15]
	v_fma_f64 v[16:17], v[42:43], v[10:11], v[16:17]
	v_add_f64 v[3:4], v[3:4], v[14:15]
	v_add_f64 v[48:49], v[16:17], v[52:53]
	ds_read_b128 v[14:17], v27 offset:1280
	s_waitcnt lgkmcnt(0)
	v_mul_f64 v[18:19], v[42:43], v[16:17]
	v_mul_f64 v[20:21], v[40:41], v[16:17]
	v_fma_f64 v[18:19], v[40:41], v[14:15], -v[18:19]
	v_fma_f64 v[20:21], v[42:43], v[14:15], v[20:21]
	;; [unrolled: 8-line block ×3, first 2 shown]
	v_mul_f64 v[12:13], v[18:19], v[16:17]
	v_add_f64 v[36:37], v[36:37], v[40:41]
	v_add_f64 v[38:39], v[10:11], v[38:39]
	v_mul_f64 v[10:11], v[20:21], v[16:17]
	v_fma_f64 v[12:13], v[20:21], v[14:15], v[12:13]
	v_fma_f64 v[10:11], v[18:19], v[14:15], -v[10:11]
	v_add_f64 v[24:25], v[12:13], v[24:25]
	v_add_f64 v[22:23], v[22:23], v[10:11]
	ds_read_b128 v[10:13], v27 offset:1536
	s_waitcnt lgkmcnt(0)
	v_mul_f64 v[14:15], v[46:47], v[12:13]
	v_mul_f64 v[16:17], v[44:45], v[12:13]
	v_fma_f64 v[14:15], v[44:45], v[10:11], -v[14:15]
	v_fma_f64 v[16:17], v[46:47], v[10:11], v[16:17]
	v_add_f64 v[3:4], v[3:4], v[14:15]
	v_add_f64 v[40:41], v[16:17], v[48:49]
	ds_read_b128 v[14:17], v27 offset:1792
	s_waitcnt lgkmcnt(0)
	v_mul_f64 v[18:19], v[46:47], v[16:17]
	v_mul_f64 v[20:21], v[44:45], v[16:17]
	v_fma_f64 v[18:19], v[44:45], v[14:15], -v[18:19]
	v_fma_f64 v[20:21], v[46:47], v[14:15], v[20:21]
	;; [unrolled: 8-line block ×3, first 2 shown]
	v_mul_f64 v[12:13], v[18:19], v[16:17]
	v_add_f64 v[36:37], v[36:37], v[42:43]
	v_add_f64 v[38:39], v[10:11], v[38:39]
	v_mul_f64 v[10:11], v[20:21], v[16:17]
	v_fma_f64 v[12:13], v[20:21], v[14:15], v[12:13]
	v_fma_f64 v[10:11], v[18:19], v[14:15], -v[10:11]
	v_add_f64 v[24:25], v[12:13], v[24:25]
	v_add_f64 v[22:23], v[22:23], v[10:11]
	ds_read_b128 v[10:13], v28 offset:64
	ds_read_b128 v[14:17], v27 offset:2048
	s_waitcnt lgkmcnt(0)
	v_mul_f64 v[18:19], v[12:13], v[16:17]
	v_mul_f64 v[20:21], v[10:11], v[16:17]
	v_fma_f64 v[18:19], v[10:11], v[14:15], -v[18:19]
	v_fma_f64 v[20:21], v[12:13], v[14:15], v[20:21]
	v_add_f64 v[3:4], v[3:4], v[18:19]
	v_add_f64 v[40:41], v[20:21], v[40:41]
	ds_read_b128 v[18:21], v27 offset:2304
	s_waitcnt lgkmcnt(0)
	v_mul_f64 v[42:43], v[12:13], v[20:21]
	v_fma_f64 v[42:43], v[10:11], v[18:19], -v[42:43]
	v_mul_f64 v[10:11], v[10:11], v[20:21]
	v_add_f64 v[34:35], v[34:35], v[42:43]
	v_fma_f64 v[10:11], v[12:13], v[18:19], v[10:11]
	v_add_f64 v[32:33], v[10:11], v[32:33]
	ds_read_b128 v[10:13], v28 offset:2112
	s_waitcnt lgkmcnt(0)
	v_mul_f64 v[42:43], v[12:13], v[16:17]
	v_mul_f64 v[16:17], v[10:11], v[16:17]
	v_fma_f64 v[42:43], v[10:11], v[14:15], -v[42:43]
	v_fma_f64 v[14:15], v[12:13], v[14:15], v[16:17]
	v_add_f64 v[36:37], v[36:37], v[42:43]
	v_add_f64 v[38:39], v[14:15], v[38:39]
	v_mul_f64 v[14:15], v[12:13], v[20:21]
	v_fma_f64 v[14:15], v[10:11], v[18:19], -v[14:15]
	v_mul_f64 v[10:11], v[10:11], v[20:21]
	v_add_f64 v[22:23], v[22:23], v[14:15]
	v_fma_f64 v[10:11], v[12:13], v[18:19], v[10:11]
	v_add_f64 v[24:25], v[10:11], v[24:25]
	ds_read_b128 v[10:13], v28 offset:80
	ds_read_b128 v[14:17], v27 offset:2560
	s_waitcnt lgkmcnt(0)
	v_mul_f64 v[18:19], v[12:13], v[16:17]
	v_mul_f64 v[20:21], v[10:11], v[16:17]
	v_fma_f64 v[18:19], v[10:11], v[14:15], -v[18:19]
	v_fma_f64 v[20:21], v[12:13], v[14:15], v[20:21]
	v_add_f64 v[3:4], v[3:4], v[18:19]
	v_add_f64 v[40:41], v[20:21], v[40:41]
	ds_read_b128 v[18:21], v27 offset:2816
	s_waitcnt lgkmcnt(0)
	v_mul_f64 v[42:43], v[12:13], v[20:21]
	v_fma_f64 v[42:43], v[10:11], v[18:19], -v[42:43]
	v_mul_f64 v[10:11], v[10:11], v[20:21]
	v_add_f64 v[34:35], v[34:35], v[42:43]
	v_fma_f64 v[10:11], v[12:13], v[18:19], v[10:11]
	v_add_f64 v[32:33], v[10:11], v[32:33]
	ds_read_b128 v[10:13], v28 offset:2128
	s_waitcnt lgkmcnt(0)
	v_mul_f64 v[42:43], v[12:13], v[16:17]
	v_mul_f64 v[16:17], v[10:11], v[16:17]
	v_fma_f64 v[42:43], v[10:11], v[14:15], -v[42:43]
	v_fma_f64 v[14:15], v[12:13], v[14:15], v[16:17]
	v_add_f64 v[36:37], v[36:37], v[42:43]
	v_add_f64 v[38:39], v[14:15], v[38:39]
	v_mul_f64 v[14:15], v[12:13], v[20:21]
	v_fma_f64 v[14:15], v[10:11], v[18:19], -v[14:15]
	v_mul_f64 v[10:11], v[10:11], v[20:21]
	v_add_f64 v[22:23], v[22:23], v[14:15]
	v_fma_f64 v[10:11], v[12:13], v[18:19], v[10:11]
	;; [unrolled: 31-line block ×3, first 2 shown]
	v_add_f64 v[48:49], v[10:11], v[24:25]
	ds_read_b128 v[10:13], v28 offset:112
	ds_read_b128 v[18:21], v27 offset:3584
	;; [unrolled: 1-line block ×3, first 2 shown]
	s_waitcnt lgkmcnt(1)
	v_mul_f64 v[14:15], v[12:13], v[20:21]
	v_mul_f64 v[16:17], v[10:11], v[20:21]
	v_fma_f64 v[14:15], v[10:11], v[18:19], -v[14:15]
	v_fma_f64 v[16:17], v[12:13], v[18:19], v[16:17]
	v_add_f64 v[22:23], v[3:4], v[14:15]
	s_waitcnt lgkmcnt(0)
	v_mul_f64 v[3:4], v[12:13], v[34:35]
	v_add_f64 v[24:25], v[16:17], v[40:41]
	v_fma_f64 v[3:4], v[10:11], v[32:33], -v[3:4]
	v_mul_f64 v[10:11], v[10:11], v[34:35]
	v_add_f64 v[14:15], v[42:43], v[3:4]
	v_fma_f64 v[10:11], v[12:13], v[32:33], v[10:11]
	v_add_f64 v[16:17], v[10:11], v[44:45]
	ds_read_b128 v[10:13], v28 offset:2160
	s_waitcnt lgkmcnt(0)
	s_barrier
	buffer_gl0_inv
	v_mul_f64 v[3:4], v[12:13], v[20:21]
	v_mul_f64 v[20:21], v[10:11], v[20:21]
	v_fma_f64 v[3:4], v[10:11], v[18:19], -v[3:4]
	v_fma_f64 v[20:21], v[12:13], v[18:19], v[20:21]
	v_add_f64 v[18:19], v[36:37], v[3:4]
	v_mul_f64 v[3:4], v[12:13], v[34:35]
	v_add_f64 v[20:21], v[20:21], v[38:39]
	v_fma_f64 v[3:4], v[10:11], v[32:33], -v[3:4]
	v_mul_f64 v[10:11], v[10:11], v[34:35]
	v_fma_f64 v[10:11], v[12:13], v[32:33], v[10:11]
	v_add_f64 v[12:13], v[46:47], v[3:4]
	v_add_f64 v[10:11], v[10:11], v[48:49]
	s_cbranch_scc0 .LBB138_15
.LBB138_7:                              ; =>This Inner Loop Header: Depth=1
	v_add_nc_u32_e32 v3, s10, v29
	v_cmp_le_i32_e32 vcc_lo, s3, v3
	s_or_b32 s11, s1, vcc_lo
	s_and_saveexec_b32 s12, s11
	s_xor_b32 s11, exec_lo, s12
	s_cbranch_execz .LBB138_9
; %bb.8:                                ;   in Loop: Header=BB138_7 Depth=1
	v_mov_b32_e32 v3, v2
	v_mov_b32_e32 v4, v2
	;; [unrolled: 1-line block ×3, first 2 shown]
	ds_write_b128 v30, v[2:5]
.LBB138_9:                              ;   in Loop: Header=BB138_7 Depth=1
	s_andn2_saveexec_b32 s11, s11
	s_cbranch_execz .LBB138_11
; %bb.10:                               ;   in Loop: Header=BB138_7 Depth=1
	global_load_dwordx4 v[32:35], v[6:7], off
	s_waitcnt vmcnt(0)
	ds_write2_b64 v30, v[32:33], v[34:35] offset1:1
.LBB138_11:                             ;   in Loop: Header=BB138_7 Depth=1
	s_or_b32 exec_lo, exec_lo, s11
	v_add_nc_u32_e32 v3, s10, v26
	v_cmp_le_i32_e32 vcc_lo, s3, v3
	s_or_b32 s11, vcc_lo, s0
	s_and_saveexec_b32 s12, s11
	s_xor_b32 s11, exec_lo, s12
	s_cbranch_execz .LBB138_13
; %bb.12:                               ;   in Loop: Header=BB138_7 Depth=1
	v_mov_b32_e32 v3, v2
	v_mov_b32_e32 v4, v2
	;; [unrolled: 1-line block ×3, first 2 shown]
	ds_write_b128 v31, v[2:5]
.LBB138_13:                             ;   in Loop: Header=BB138_7 Depth=1
	s_andn2_saveexec_b32 s11, s11
	s_cbranch_execz .LBB138_6
; %bb.14:                               ;   in Loop: Header=BB138_7 Depth=1
	global_load_dwordx4 v[32:35], v[8:9], off
	s_waitcnt vmcnt(0)
	ds_write2_b64 v31, v[32:33], v[34:35] offset1:1
	s_branch .LBB138_6
.LBB138_15:
	s_clause 0x1
	s_load_dword s3, s[4:5], 0x60
	s_load_dwordx2 s[0:1], s[4:5], 0x68
	v_add_nc_u32_e32 v27, s7, v1
	v_cmp_neq_f64_e64 s7, s[14:15], 0
	v_add_nc_u32_e32 v4, s6, v0
	v_cmp_le_i32_e32 vcc_lo, v27, v4
	v_ashrrev_i32_e32 v5, 31, v4
	s_waitcnt lgkmcnt(0)
	v_mad_i64_i32 v[0:1], null, v27, s3, 0
	s_mul_i32 s1, s1, s8
	s_mul_hi_u32 s5, s0, s8
	s_mul_i32 s4, s0, s8
	s_add_i32 s5, s5, s1
	v_cmp_gt_i32_e64 s0, s2, v4
	s_lshl_b64 s[4:5], s[4:5], 4
	v_lshlrev_b64 v[0:1], 4, v[0:1]
	s_add_u32 s4, s18, s4
	s_addc_u32 s5, s19, s5
	s_xor_b32 s6, s9, -1
	s_or_b32 s6, s7, s6
	v_add_co_u32 v8, s1, s4, v0
	v_add_co_ci_u32_e64 v9, null, s5, v1, s1
	v_cndmask_b32_e64 v26, 0, 1, s6
	s_and_b32 s7, vcc_lo, s0
	s_and_saveexec_b32 s1, s7
	s_cbranch_execz .LBB138_19
; %bb.16:
	v_mul_f64 v[0:1], s[22:23], v[24:25]
	v_mul_f64 v[2:3], s[20:21], v[24:25]
	v_lshlrev_b64 v[6:7], 4, v[4:5]
	v_add_co_u32 v6, vcc_lo, v8, v6
	v_add_co_ci_u32_e64 v7, null, v9, v7, vcc_lo
	s_andn2_b32 vcc_lo, exec_lo, s6
	v_fma_f64 v[0:1], s[20:21], v[22:23], -v[0:1]
	v_fma_f64 v[2:3], s[22:23], v[22:23], v[2:3]
	s_cbranch_vccnz .LBB138_18
; %bb.17:
	global_load_dwordx4 v[22:25], v[6:7], off
	s_waitcnt vmcnt(0)
	v_mul_f64 v[28:29], s[16:17], v[24:25]
	v_mul_f64 v[24:25], s[14:15], v[24:25]
	v_fma_f64 v[28:29], s[14:15], v[22:23], -v[28:29]
	v_fma_f64 v[22:23], s[16:17], v[22:23], v[24:25]
	v_add_f64 v[0:1], v[0:1], v[28:29]
	v_add_f64 v[2:3], v[2:3], v[22:23]
.LBB138_18:
	global_store_dwordx4 v[6:7], v[0:3], off
.LBB138_19:
	s_or_b32 exec_lo, exec_lo, s1
	v_add_nc_u32_e32 v6, 16, v4
	v_cmp_le_i32_e32 vcc_lo, v27, v6
	v_cmp_gt_i32_e64 s1, s2, v6
	v_ashrrev_i32_e32 v7, 31, v6
	s_and_b32 s2, vcc_lo, s1
	s_and_saveexec_b32 s6, s2
	s_cbranch_execz .LBB138_23
; %bb.20:
	v_mul_f64 v[0:1], s[22:23], v[16:17]
	v_mul_f64 v[2:3], s[20:21], v[16:17]
	v_cmp_ne_u32_e32 vcc_lo, 1, v26
	s_and_b32 vcc_lo, exec_lo, vcc_lo
	v_fma_f64 v[0:1], s[20:21], v[14:15], -v[0:1]
	v_fma_f64 v[2:3], s[22:23], v[14:15], v[2:3]
	v_lshlrev_b64 v[14:15], 4, v[6:7]
	v_add_co_u32 v8, s2, v8, v14
	v_add_co_ci_u32_e64 v9, null, v9, v15, s2
	s_cbranch_vccnz .LBB138_22
; %bb.21:
	global_load_dwordx4 v[14:17], v[8:9], off
	s_waitcnt vmcnt(0)
	v_mul_f64 v[22:23], s[16:17], v[16:17]
	v_mul_f64 v[16:17], s[14:15], v[16:17]
	v_fma_f64 v[22:23], s[14:15], v[14:15], -v[22:23]
	v_fma_f64 v[14:15], s[16:17], v[14:15], v[16:17]
	v_add_f64 v[0:1], v[0:1], v[22:23]
	v_add_f64 v[2:3], v[2:3], v[14:15]
.LBB138_22:
	global_store_dwordx4 v[8:9], v[0:3], off
.LBB138_23:
	s_or_b32 exec_lo, exec_lo, s6
	v_add_nc_u32_e32 v14, 16, v27
	v_mad_i64_i32 v[0:1], null, v14, s3, 0
	v_cmp_le_i32_e32 vcc_lo, v14, v4
	s_and_b32 s0, vcc_lo, s0
	v_lshlrev_b64 v[0:1], 4, v[0:1]
	v_add_co_u32 v8, s2, s4, v0
	v_add_co_ci_u32_e64 v9, null, s5, v1, s2
	s_and_saveexec_b32 s2, s0
	s_cbranch_execz .LBB138_27
; %bb.24:
	v_mul_f64 v[0:1], s[22:23], v[20:21]
	v_mul_f64 v[2:3], s[20:21], v[20:21]
	v_lshlrev_b64 v[4:5], 4, v[4:5]
	v_cmp_ne_u32_e32 vcc_lo, 1, v26
	s_and_b32 vcc_lo, exec_lo, vcc_lo
	v_add_co_u32 v4, s0, v8, v4
	v_add_co_ci_u32_e64 v5, null, v9, v5, s0
	v_fma_f64 v[0:1], s[20:21], v[18:19], -v[0:1]
	v_fma_f64 v[2:3], s[22:23], v[18:19], v[2:3]
	s_cbranch_vccnz .LBB138_26
; %bb.25:
	global_load_dwordx4 v[15:18], v[4:5], off
	s_waitcnt vmcnt(0)
	v_mul_f64 v[19:20], s[16:17], v[17:18]
	v_mul_f64 v[17:18], s[14:15], v[17:18]
	v_fma_f64 v[19:20], s[14:15], v[15:16], -v[19:20]
	v_fma_f64 v[15:16], s[16:17], v[15:16], v[17:18]
	v_add_f64 v[0:1], v[0:1], v[19:20]
	v_add_f64 v[2:3], v[2:3], v[15:16]
.LBB138_26:
	global_store_dwordx4 v[4:5], v[0:3], off
.LBB138_27:
	s_or_b32 exec_lo, exec_lo, s2
	v_cmp_le_i32_e32 vcc_lo, v14, v6
	s_and_b32 s0, vcc_lo, s1
	s_and_saveexec_b32 s1, s0
	s_cbranch_execz .LBB138_32
; %bb.28:
	v_mul_f64 v[0:1], s[22:23], v[10:11]
	v_mul_f64 v[2:3], s[20:21], v[10:11]
	v_lshlrev_b64 v[4:5], 4, v[6:7]
	v_cmp_ne_u32_e32 vcc_lo, 1, v26
	s_and_b32 vcc_lo, exec_lo, vcc_lo
	v_add_co_u32 v4, s0, v8, v4
	v_add_co_ci_u32_e64 v5, null, v9, v5, s0
	v_fma_f64 v[0:1], s[20:21], v[12:13], -v[0:1]
	v_fma_f64 v[2:3], s[22:23], v[12:13], v[2:3]
	s_cbranch_vccnz .LBB138_30
; %bb.29:
	global_load_dwordx4 v[6:9], v[4:5], off
	s_waitcnt vmcnt(0)
	v_mul_f64 v[10:11], s[16:17], v[8:9]
	v_mul_f64 v[8:9], s[14:15], v[8:9]
	v_fma_f64 v[10:11], s[14:15], v[6:7], -v[10:11]
	v_fma_f64 v[6:7], s[16:17], v[6:7], v[8:9]
	v_add_f64 v[0:1], v[0:1], v[10:11]
	v_add_f64 v[2:3], v[2:3], v[6:7]
.LBB138_30:
	global_store_dwordx4 v[4:5], v[0:3], off
	s_endpgm
.LBB138_31:
.LBB138_32:
	s_endpgm
	.section	.rodata,"a",@progbits
	.p2align	6, 0x0
	.amdhsa_kernel _ZL29rocblas_internal_gemmt_kernelIiLi16ELi32ELi8ELc84ELc78ELc76ELb0ELb0E19rocblas_complex_numIdES1_PKS1_PS1_EviT_T9_T10_S5_lS7_S5_lS6_T11_S5_li
		.amdhsa_group_segment_fixed_size 8192
		.amdhsa_private_segment_fixed_size 0
		.amdhsa_kernarg_size 116
		.amdhsa_user_sgpr_count 6
		.amdhsa_user_sgpr_private_segment_buffer 1
		.amdhsa_user_sgpr_dispatch_ptr 0
		.amdhsa_user_sgpr_queue_ptr 0
		.amdhsa_user_sgpr_kernarg_segment_ptr 1
		.amdhsa_user_sgpr_dispatch_id 0
		.amdhsa_user_sgpr_flat_scratch_init 0
		.amdhsa_user_sgpr_private_segment_size 0
		.amdhsa_wavefront_size32 1
		.amdhsa_uses_dynamic_stack 0
		.amdhsa_system_sgpr_private_segment_wavefront_offset 0
		.amdhsa_system_sgpr_workgroup_id_x 1
		.amdhsa_system_sgpr_workgroup_id_y 1
		.amdhsa_system_sgpr_workgroup_id_z 1
		.amdhsa_system_sgpr_workgroup_info 0
		.amdhsa_system_vgpr_workitem_id 1
		.amdhsa_next_free_vgpr 56
		.amdhsa_next_free_sgpr 30
		.amdhsa_reserve_vcc 1
		.amdhsa_reserve_flat_scratch 0
		.amdhsa_float_round_mode_32 0
		.amdhsa_float_round_mode_16_64 0
		.amdhsa_float_denorm_mode_32 3
		.amdhsa_float_denorm_mode_16_64 3
		.amdhsa_dx10_clamp 1
		.amdhsa_ieee_mode 1
		.amdhsa_fp16_overflow 0
		.amdhsa_workgroup_processor_mode 1
		.amdhsa_memory_ordered 1
		.amdhsa_forward_progress 1
		.amdhsa_shared_vgpr_count 0
		.amdhsa_exception_fp_ieee_invalid_op 0
		.amdhsa_exception_fp_denorm_src 0
		.amdhsa_exception_fp_ieee_div_zero 0
		.amdhsa_exception_fp_ieee_overflow 0
		.amdhsa_exception_fp_ieee_underflow 0
		.amdhsa_exception_fp_ieee_inexact 0
		.amdhsa_exception_int_div_zero 0
	.end_amdhsa_kernel
	.section	.text._ZL29rocblas_internal_gemmt_kernelIiLi16ELi32ELi8ELc84ELc78ELc76ELb0ELb0E19rocblas_complex_numIdES1_PKS1_PS1_EviT_T9_T10_S5_lS7_S5_lS6_T11_S5_li,"axG",@progbits,_ZL29rocblas_internal_gemmt_kernelIiLi16ELi32ELi8ELc84ELc78ELc76ELb0ELb0E19rocblas_complex_numIdES1_PKS1_PS1_EviT_T9_T10_S5_lS7_S5_lS6_T11_S5_li,comdat
.Lfunc_end138:
	.size	_ZL29rocblas_internal_gemmt_kernelIiLi16ELi32ELi8ELc84ELc78ELc76ELb0ELb0E19rocblas_complex_numIdES1_PKS1_PS1_EviT_T9_T10_S5_lS7_S5_lS6_T11_S5_li, .Lfunc_end138-_ZL29rocblas_internal_gemmt_kernelIiLi16ELi32ELi8ELc84ELc78ELc76ELb0ELb0E19rocblas_complex_numIdES1_PKS1_PS1_EviT_T9_T10_S5_lS7_S5_lS6_T11_S5_li
                                        ; -- End function
	.set _ZL29rocblas_internal_gemmt_kernelIiLi16ELi32ELi8ELc84ELc78ELc76ELb0ELb0E19rocblas_complex_numIdES1_PKS1_PS1_EviT_T9_T10_S5_lS7_S5_lS6_T11_S5_li.num_vgpr, 56
	.set _ZL29rocblas_internal_gemmt_kernelIiLi16ELi32ELi8ELc84ELc78ELc76ELb0ELb0E19rocblas_complex_numIdES1_PKS1_PS1_EviT_T9_T10_S5_lS7_S5_lS6_T11_S5_li.num_agpr, 0
	.set _ZL29rocblas_internal_gemmt_kernelIiLi16ELi32ELi8ELc84ELc78ELc76ELb0ELb0E19rocblas_complex_numIdES1_PKS1_PS1_EviT_T9_T10_S5_lS7_S5_lS6_T11_S5_li.numbered_sgpr, 30
	.set _ZL29rocblas_internal_gemmt_kernelIiLi16ELi32ELi8ELc84ELc78ELc76ELb0ELb0E19rocblas_complex_numIdES1_PKS1_PS1_EviT_T9_T10_S5_lS7_S5_lS6_T11_S5_li.num_named_barrier, 0
	.set _ZL29rocblas_internal_gemmt_kernelIiLi16ELi32ELi8ELc84ELc78ELc76ELb0ELb0E19rocblas_complex_numIdES1_PKS1_PS1_EviT_T9_T10_S5_lS7_S5_lS6_T11_S5_li.private_seg_size, 0
	.set _ZL29rocblas_internal_gemmt_kernelIiLi16ELi32ELi8ELc84ELc78ELc76ELb0ELb0E19rocblas_complex_numIdES1_PKS1_PS1_EviT_T9_T10_S5_lS7_S5_lS6_T11_S5_li.uses_vcc, 1
	.set _ZL29rocblas_internal_gemmt_kernelIiLi16ELi32ELi8ELc84ELc78ELc76ELb0ELb0E19rocblas_complex_numIdES1_PKS1_PS1_EviT_T9_T10_S5_lS7_S5_lS6_T11_S5_li.uses_flat_scratch, 0
	.set _ZL29rocblas_internal_gemmt_kernelIiLi16ELi32ELi8ELc84ELc78ELc76ELb0ELb0E19rocblas_complex_numIdES1_PKS1_PS1_EviT_T9_T10_S5_lS7_S5_lS6_T11_S5_li.has_dyn_sized_stack, 0
	.set _ZL29rocblas_internal_gemmt_kernelIiLi16ELi32ELi8ELc84ELc78ELc76ELb0ELb0E19rocblas_complex_numIdES1_PKS1_PS1_EviT_T9_T10_S5_lS7_S5_lS6_T11_S5_li.has_recursion, 0
	.set _ZL29rocblas_internal_gemmt_kernelIiLi16ELi32ELi8ELc84ELc78ELc76ELb0ELb0E19rocblas_complex_numIdES1_PKS1_PS1_EviT_T9_T10_S5_lS7_S5_lS6_T11_S5_li.has_indirect_call, 0
	.section	.AMDGPU.csdata,"",@progbits
; Kernel info:
; codeLenInByte = 3536
; TotalNumSgprs: 32
; NumVgprs: 56
; ScratchSize: 0
; MemoryBound: 0
; FloatMode: 240
; IeeeMode: 1
; LDSByteSize: 8192 bytes/workgroup (compile time only)
; SGPRBlocks: 0
; VGPRBlocks: 6
; NumSGPRsForWavesPerEU: 32
; NumVGPRsForWavesPerEU: 56
; Occupancy: 16
; WaveLimiterHint : 0
; COMPUTE_PGM_RSRC2:SCRATCH_EN: 0
; COMPUTE_PGM_RSRC2:USER_SGPR: 6
; COMPUTE_PGM_RSRC2:TRAP_HANDLER: 0
; COMPUTE_PGM_RSRC2:TGID_X_EN: 1
; COMPUTE_PGM_RSRC2:TGID_Y_EN: 1
; COMPUTE_PGM_RSRC2:TGID_Z_EN: 1
; COMPUTE_PGM_RSRC2:TIDIG_COMP_CNT: 1
	.section	.text._ZL29rocblas_internal_gemmt_kernelIiLi16ELi32ELi8ELc84ELc84ELc76ELb0ELb0E19rocblas_complex_numIdES1_PKS1_PS1_EviT_T9_T10_S5_lS7_S5_lS6_T11_S5_li,"axG",@progbits,_ZL29rocblas_internal_gemmt_kernelIiLi16ELi32ELi8ELc84ELc84ELc76ELb0ELb0E19rocblas_complex_numIdES1_PKS1_PS1_EviT_T9_T10_S5_lS7_S5_lS6_T11_S5_li,comdat
	.globl	_ZL29rocblas_internal_gemmt_kernelIiLi16ELi32ELi8ELc84ELc84ELc76ELb0ELb0E19rocblas_complex_numIdES1_PKS1_PS1_EviT_T9_T10_S5_lS7_S5_lS6_T11_S5_li ; -- Begin function _ZL29rocblas_internal_gemmt_kernelIiLi16ELi32ELi8ELc84ELc84ELc76ELb0ELb0E19rocblas_complex_numIdES1_PKS1_PS1_EviT_T9_T10_S5_lS7_S5_lS6_T11_S5_li
	.p2align	8
	.type	_ZL29rocblas_internal_gemmt_kernelIiLi16ELi32ELi8ELc84ELc84ELc76ELb0ELb0E19rocblas_complex_numIdES1_PKS1_PS1_EviT_T9_T10_S5_lS7_S5_lS6_T11_S5_li,@function
_ZL29rocblas_internal_gemmt_kernelIiLi16ELi32ELi8ELc84ELc84ELc76ELb0ELb0E19rocblas_complex_numIdES1_PKS1_PS1_EviT_T9_T10_S5_lS7_S5_lS6_T11_S5_li: ; @_ZL29rocblas_internal_gemmt_kernelIiLi16ELi32ELi8ELc84ELc84ELc76ELb0ELb0E19rocblas_complex_numIdES1_PKS1_PS1_EviT_T9_T10_S5_lS7_S5_lS6_T11_S5_li
; %bb.0:
	s_clause 0x2
	s_load_dwordx8 s[12:19], s[4:5], 0x40
	s_load_dwordx2 s[2:3], s[4:5], 0x0
	s_load_dwordx4 s[20:23], s[4:5], 0x8
	s_waitcnt lgkmcnt(0)
	v_cmp_eq_f64_e64 s0, s[14:15], 1.0
	v_cmp_eq_f64_e64 s9, s[16:17], 0
	s_and_b32 s0, s0, s9
	s_andn2_b32 vcc_lo, exec_lo, s0
	s_mov_b32 s0, -1
	s_cbranch_vccnz .LBB139_3
; %bb.1:
	s_cmp_lg_u32 s3, 0
	s_cbranch_scc0 .LBB139_31
; %bb.2:
	v_cmp_neq_f64_e64 s0, s[20:21], 0
	v_cmp_neq_f64_e64 s1, s[22:23], 0
	s_or_b32 s0, s0, s1
.LBB139_3:
	s_and_b32 vcc_lo, exec_lo, s0
	s_cbranch_vccz .LBB139_32
; %bb.4:
	v_cmp_eq_f64_e64 s0, s[20:21], 0
	v_cmp_eq_f64_e64 s1, s[22:23], 0
	s_lshl_b32 s10, s6, 5
	s_lshl_b32 s11, s7, 5
	v_mov_b32_e32 v22, 0
	v_mov_b32_e32 v24, 0
	;; [unrolled: 1-line block ×16, first 2 shown]
	s_mov_b32 s28, 0
	s_and_b32 s0, s0, s1
	s_cmp_lt_i32 s3, 1
	s_cselect_b32 s1, -1, 0
	s_or_b32 s0, s0, s1
	s_and_b32 vcc_lo, exec_lo, s0
	s_cbranch_vccnz .LBB139_15
; %bb.5:
	s_clause 0x1
	s_load_dword s0, s[4:5], 0x20
	s_load_dwordx2 s[30:31], s[4:5], 0x18
	v_lshl_add_u32 v2, v1, 4, v0
	s_clause 0x1
	s_load_dwordx4 s[24:27], s[4:5], 0x28
	s_load_dword s6, s[4:5], 0x38
	v_and_b32_e32 v26, 7, v0
	v_mov_b32_e32 v10, 0
	v_mov_b32_e32 v12, 0
	v_and_b32_e32 v3, 31, v2
	v_lshrrev_b32_e32 v4, 3, v2
	v_lshlrev_b32_e32 v5, 4, v26
	v_lshrrev_b32_e32 v29, 5, v2
	v_mov_b32_e32 v20, 0
	v_or_b32_e32 v6, s10, v3
	v_lshlrev_b32_e32 v7, 4, v3
	v_add_nc_u32_e32 v3, s10, v3
	v_add_nc_u32_e32 v2, s11, v4
	v_lshl_or_b32 v8, v4, 7, v5
	v_cmp_gt_i32_e32 vcc_lo, s2, v6
	v_lshl_or_b32 v30, v29, 9, v7
	v_mov_b32_e32 v18, 0
	s_waitcnt lgkmcnt(0)
	v_mad_i64_i32 v[4:5], null, s0, v3, 0
	s_mul_i32 s1, s25, s8
	s_mul_hi_u32 s25, s24, s8
	v_mad_i64_i32 v[6:7], null, s6, v26, 0
	s_mul_i32 s24, s24, s8
	s_add_i32 s25, s25, s1
	v_lshlrev_b64 v[4:5], 4, v[4:5]
	s_lshl_b64 s[24:25], s[24:25], 4
	v_add_nc_u32_e32 v31, 0x1000, v8
	v_ashrrev_i32_e32 v3, 31, v2
	v_cmp_gt_i32_e64 s0, s2, v2
	v_mov_b32_e32 v16, 0
	v_add_co_u32 v8, s1, v4, s24
	v_add_co_ci_u32_e64 v9, null, s25, v5, s1
	s_mul_i32 s1, s13, s8
	s_mul_hi_u32 s13, s12, s8
	v_lshlrev_b64 v[4:5], 4, v[6:7]
	s_add_i32 s13, s13, s1
	s_mul_i32 s12, s12, s8
	v_lshlrev_b32_e32 v6, 4, v29
	s_lshl_b64 s[12:13], s[12:13], 4
	v_lshlrev_b64 v[2:3], 4, v[2:3]
	v_add_co_u32 v4, s1, s12, v4
	v_add_co_ci_u32_e64 v5, null, s13, v5, s1
	v_add_co_u32 v6, s1, v8, v6
	v_add_co_ci_u32_e64 v7, null, 0, v9, s1
	;; [unrolled: 2-line block ×4, first 2 shown]
	v_add_co_u32 v8, s1, s26, v2
	v_mov_b32_e32 v14, 0
	v_mov_b32_e32 v24, 0
	;; [unrolled: 1-line block ×3, first 2 shown]
	v_lshlrev_b32_e32 v27, 4, v0
	v_lshl_add_u32 v28, v1, 7, 0x1000
	v_add_co_ci_u32_e64 v9, null, s27, v3, s1
	v_mov_b32_e32 v11, 0
	v_mov_b32_e32 v13, 0
	;; [unrolled: 1-line block ×9, first 2 shown]
	s_ashr_i32 s7, s6, 31
	s_xor_b32 s1, vcc_lo, -1
	s_lshl_b64 s[6:7], s[6:7], 7
	s_xor_b32 s0, s0, -1
	s_branch .LBB139_7
.LBB139_6:                              ;   in Loop: Header=BB139_7 Depth=1
	s_or_b32 exec_lo, exec_lo, s12
	s_waitcnt lgkmcnt(0)
	s_barrier
	buffer_gl0_inv
	ds_read_b128 v[32:35], v28
	ds_read_b128 v[36:39], v28 offset:16
	ds_read_b128 v[40:43], v28 offset:32
	;; [unrolled: 1-line block ×3, first 2 shown]
	ds_read_b128 v[48:51], v27
	v_add_co_u32 v6, vcc_lo, 0x80, v6
	v_add_co_ci_u32_e64 v7, null, 0, v7, vcc_lo
	v_add_co_u32 v8, vcc_lo, v8, s6
	v_add_co_ci_u32_e64 v9, null, s7, v9, vcc_lo
	s_add_i32 s28, s28, 8
	s_cmp_lt_i32 s28, s3
	s_waitcnt lgkmcnt(0)
	v_mul_f64 v[3:4], v[34:35], v[50:51]
	v_mul_f64 v[52:53], v[32:33], v[50:51]
	v_fma_f64 v[3:4], v[32:33], v[48:49], -v[3:4]
	v_fma_f64 v[52:53], v[34:35], v[48:49], v[52:53]
	v_add_f64 v[3:4], v[22:23], v[3:4]
	v_add_f64 v[52:53], v[52:53], v[24:25]
	ds_read_b128 v[22:25], v27 offset:256
	s_waitcnt lgkmcnt(0)
	v_mul_f64 v[54:55], v[34:35], v[24:25]
	v_fma_f64 v[54:55], v[32:33], v[22:23], -v[54:55]
	v_mul_f64 v[32:33], v[32:33], v[24:25]
	v_fma_f64 v[32:33], v[34:35], v[22:23], v[32:33]
	v_add_f64 v[34:35], v[14:15], v[54:55]
	v_add_f64 v[32:33], v[32:33], v[16:17]
	ds_read_b128 v[14:17], v28 offset:2048
	s_waitcnt lgkmcnt(0)
	v_mul_f64 v[54:55], v[16:17], v[50:51]
	v_mul_f64 v[50:51], v[14:15], v[50:51]
	v_fma_f64 v[54:55], v[14:15], v[48:49], -v[54:55]
	v_fma_f64 v[48:49], v[16:17], v[48:49], v[50:51]
	v_add_f64 v[50:51], v[18:19], v[54:55]
	v_mul_f64 v[18:19], v[16:17], v[24:25]
	v_add_f64 v[48:49], v[48:49], v[20:21]
	v_fma_f64 v[18:19], v[14:15], v[22:23], -v[18:19]
	v_mul_f64 v[14:15], v[14:15], v[24:25]
	v_fma_f64 v[14:15], v[16:17], v[22:23], v[14:15]
	v_add_f64 v[22:23], v[12:13], v[18:19]
	v_add_f64 v[24:25], v[14:15], v[10:11]
	ds_read_b128 v[10:13], v27 offset:512
	s_waitcnt lgkmcnt(0)
	v_mul_f64 v[14:15], v[38:39], v[12:13]
	v_mul_f64 v[16:17], v[36:37], v[12:13]
	v_fma_f64 v[14:15], v[36:37], v[10:11], -v[14:15]
	v_fma_f64 v[16:17], v[38:39], v[10:11], v[16:17]
	v_add_f64 v[3:4], v[3:4], v[14:15]
	v_add_f64 v[52:53], v[16:17], v[52:53]
	ds_read_b128 v[14:17], v27 offset:768
	s_waitcnt lgkmcnt(0)
	v_mul_f64 v[18:19], v[38:39], v[16:17]
	v_mul_f64 v[20:21], v[36:37], v[16:17]
	v_fma_f64 v[18:19], v[36:37], v[14:15], -v[18:19]
	v_fma_f64 v[20:21], v[38:39], v[14:15], v[20:21]
	v_add_f64 v[34:35], v[34:35], v[18:19]
	v_add_f64 v[32:33], v[20:21], v[32:33]
	ds_read_b128 v[18:21], v28 offset:2064
	s_waitcnt lgkmcnt(0)
	v_mul_f64 v[36:37], v[20:21], v[12:13]
	v_mul_f64 v[12:13], v[18:19], v[12:13]
	v_fma_f64 v[36:37], v[18:19], v[10:11], -v[36:37]
	v_fma_f64 v[10:11], v[20:21], v[10:11], v[12:13]
	v_mul_f64 v[12:13], v[18:19], v[16:17]
	v_add_f64 v[36:37], v[50:51], v[36:37]
	v_add_f64 v[38:39], v[10:11], v[48:49]
	v_mul_f64 v[10:11], v[20:21], v[16:17]
	v_fma_f64 v[12:13], v[20:21], v[14:15], v[12:13]
	v_fma_f64 v[10:11], v[18:19], v[14:15], -v[10:11]
	v_add_f64 v[24:25], v[12:13], v[24:25]
	v_add_f64 v[22:23], v[22:23], v[10:11]
	ds_read_b128 v[10:13], v27 offset:1024
	s_waitcnt lgkmcnt(0)
	v_mul_f64 v[14:15], v[42:43], v[12:13]
	v_mul_f64 v[16:17], v[40:41], v[12:13]
	v_fma_f64 v[14:15], v[40:41], v[10:11], -v[14:15]
	v_fma_f64 v[16:17], v[42:43], v[10:11], v[16:17]
	v_add_f64 v[3:4], v[3:4], v[14:15]
	v_add_f64 v[48:49], v[16:17], v[52:53]
	ds_read_b128 v[14:17], v27 offset:1280
	s_waitcnt lgkmcnt(0)
	v_mul_f64 v[18:19], v[42:43], v[16:17]
	v_mul_f64 v[20:21], v[40:41], v[16:17]
	v_fma_f64 v[18:19], v[40:41], v[14:15], -v[18:19]
	v_fma_f64 v[20:21], v[42:43], v[14:15], v[20:21]
	;; [unrolled: 8-line block ×3, first 2 shown]
	v_mul_f64 v[12:13], v[18:19], v[16:17]
	v_add_f64 v[36:37], v[36:37], v[40:41]
	v_add_f64 v[38:39], v[10:11], v[38:39]
	v_mul_f64 v[10:11], v[20:21], v[16:17]
	v_fma_f64 v[12:13], v[20:21], v[14:15], v[12:13]
	v_fma_f64 v[10:11], v[18:19], v[14:15], -v[10:11]
	v_add_f64 v[24:25], v[12:13], v[24:25]
	v_add_f64 v[22:23], v[22:23], v[10:11]
	ds_read_b128 v[10:13], v27 offset:1536
	s_waitcnt lgkmcnt(0)
	v_mul_f64 v[14:15], v[46:47], v[12:13]
	v_mul_f64 v[16:17], v[44:45], v[12:13]
	v_fma_f64 v[14:15], v[44:45], v[10:11], -v[14:15]
	v_fma_f64 v[16:17], v[46:47], v[10:11], v[16:17]
	v_add_f64 v[3:4], v[3:4], v[14:15]
	v_add_f64 v[40:41], v[16:17], v[48:49]
	ds_read_b128 v[14:17], v27 offset:1792
	s_waitcnt lgkmcnt(0)
	v_mul_f64 v[18:19], v[46:47], v[16:17]
	v_mul_f64 v[20:21], v[44:45], v[16:17]
	v_fma_f64 v[18:19], v[44:45], v[14:15], -v[18:19]
	v_fma_f64 v[20:21], v[46:47], v[14:15], v[20:21]
	;; [unrolled: 8-line block ×3, first 2 shown]
	v_mul_f64 v[12:13], v[18:19], v[16:17]
	v_add_f64 v[36:37], v[36:37], v[42:43]
	v_add_f64 v[38:39], v[10:11], v[38:39]
	v_mul_f64 v[10:11], v[20:21], v[16:17]
	v_fma_f64 v[12:13], v[20:21], v[14:15], v[12:13]
	v_fma_f64 v[10:11], v[18:19], v[14:15], -v[10:11]
	v_add_f64 v[24:25], v[12:13], v[24:25]
	v_add_f64 v[22:23], v[22:23], v[10:11]
	ds_read_b128 v[10:13], v28 offset:64
	ds_read_b128 v[14:17], v27 offset:2048
	s_waitcnt lgkmcnt(0)
	v_mul_f64 v[18:19], v[12:13], v[16:17]
	v_mul_f64 v[20:21], v[10:11], v[16:17]
	v_fma_f64 v[18:19], v[10:11], v[14:15], -v[18:19]
	v_fma_f64 v[20:21], v[12:13], v[14:15], v[20:21]
	v_add_f64 v[3:4], v[3:4], v[18:19]
	v_add_f64 v[40:41], v[20:21], v[40:41]
	ds_read_b128 v[18:21], v27 offset:2304
	s_waitcnt lgkmcnt(0)
	v_mul_f64 v[42:43], v[12:13], v[20:21]
	v_fma_f64 v[42:43], v[10:11], v[18:19], -v[42:43]
	v_mul_f64 v[10:11], v[10:11], v[20:21]
	v_add_f64 v[34:35], v[34:35], v[42:43]
	v_fma_f64 v[10:11], v[12:13], v[18:19], v[10:11]
	v_add_f64 v[32:33], v[10:11], v[32:33]
	ds_read_b128 v[10:13], v28 offset:2112
	s_waitcnt lgkmcnt(0)
	v_mul_f64 v[42:43], v[12:13], v[16:17]
	v_mul_f64 v[16:17], v[10:11], v[16:17]
	v_fma_f64 v[42:43], v[10:11], v[14:15], -v[42:43]
	v_fma_f64 v[14:15], v[12:13], v[14:15], v[16:17]
	v_add_f64 v[36:37], v[36:37], v[42:43]
	v_add_f64 v[38:39], v[14:15], v[38:39]
	v_mul_f64 v[14:15], v[12:13], v[20:21]
	v_fma_f64 v[14:15], v[10:11], v[18:19], -v[14:15]
	v_mul_f64 v[10:11], v[10:11], v[20:21]
	v_add_f64 v[22:23], v[22:23], v[14:15]
	v_fma_f64 v[10:11], v[12:13], v[18:19], v[10:11]
	v_add_f64 v[24:25], v[10:11], v[24:25]
	ds_read_b128 v[10:13], v28 offset:80
	ds_read_b128 v[14:17], v27 offset:2560
	s_waitcnt lgkmcnt(0)
	v_mul_f64 v[18:19], v[12:13], v[16:17]
	v_mul_f64 v[20:21], v[10:11], v[16:17]
	v_fma_f64 v[18:19], v[10:11], v[14:15], -v[18:19]
	v_fma_f64 v[20:21], v[12:13], v[14:15], v[20:21]
	v_add_f64 v[3:4], v[3:4], v[18:19]
	v_add_f64 v[40:41], v[20:21], v[40:41]
	ds_read_b128 v[18:21], v27 offset:2816
	s_waitcnt lgkmcnt(0)
	v_mul_f64 v[42:43], v[12:13], v[20:21]
	v_fma_f64 v[42:43], v[10:11], v[18:19], -v[42:43]
	v_mul_f64 v[10:11], v[10:11], v[20:21]
	v_add_f64 v[34:35], v[34:35], v[42:43]
	v_fma_f64 v[10:11], v[12:13], v[18:19], v[10:11]
	v_add_f64 v[32:33], v[10:11], v[32:33]
	ds_read_b128 v[10:13], v28 offset:2128
	s_waitcnt lgkmcnt(0)
	v_mul_f64 v[42:43], v[12:13], v[16:17]
	v_mul_f64 v[16:17], v[10:11], v[16:17]
	v_fma_f64 v[42:43], v[10:11], v[14:15], -v[42:43]
	v_fma_f64 v[14:15], v[12:13], v[14:15], v[16:17]
	v_add_f64 v[36:37], v[36:37], v[42:43]
	v_add_f64 v[38:39], v[14:15], v[38:39]
	v_mul_f64 v[14:15], v[12:13], v[20:21]
	v_fma_f64 v[14:15], v[10:11], v[18:19], -v[14:15]
	v_mul_f64 v[10:11], v[10:11], v[20:21]
	v_add_f64 v[22:23], v[22:23], v[14:15]
	v_fma_f64 v[10:11], v[12:13], v[18:19], v[10:11]
	;; [unrolled: 31-line block ×3, first 2 shown]
	v_add_f64 v[48:49], v[10:11], v[24:25]
	ds_read_b128 v[10:13], v28 offset:112
	ds_read_b128 v[18:21], v27 offset:3584
	;; [unrolled: 1-line block ×3, first 2 shown]
	s_waitcnt lgkmcnt(1)
	v_mul_f64 v[14:15], v[12:13], v[20:21]
	v_mul_f64 v[16:17], v[10:11], v[20:21]
	v_fma_f64 v[14:15], v[10:11], v[18:19], -v[14:15]
	v_fma_f64 v[16:17], v[12:13], v[18:19], v[16:17]
	v_add_f64 v[22:23], v[3:4], v[14:15]
	s_waitcnt lgkmcnt(0)
	v_mul_f64 v[3:4], v[12:13], v[34:35]
	v_add_f64 v[24:25], v[16:17], v[40:41]
	v_fma_f64 v[3:4], v[10:11], v[32:33], -v[3:4]
	v_mul_f64 v[10:11], v[10:11], v[34:35]
	v_add_f64 v[14:15], v[42:43], v[3:4]
	v_fma_f64 v[10:11], v[12:13], v[32:33], v[10:11]
	v_add_f64 v[16:17], v[10:11], v[44:45]
	ds_read_b128 v[10:13], v28 offset:2160
	s_waitcnt lgkmcnt(0)
	s_barrier
	buffer_gl0_inv
	v_mul_f64 v[3:4], v[12:13], v[20:21]
	v_mul_f64 v[20:21], v[10:11], v[20:21]
	v_fma_f64 v[3:4], v[10:11], v[18:19], -v[3:4]
	v_fma_f64 v[20:21], v[12:13], v[18:19], v[20:21]
	v_add_f64 v[18:19], v[36:37], v[3:4]
	v_mul_f64 v[3:4], v[12:13], v[34:35]
	v_add_f64 v[20:21], v[20:21], v[38:39]
	v_fma_f64 v[3:4], v[10:11], v[32:33], -v[3:4]
	v_mul_f64 v[10:11], v[10:11], v[34:35]
	v_fma_f64 v[10:11], v[12:13], v[32:33], v[10:11]
	v_add_f64 v[12:13], v[46:47], v[3:4]
	v_add_f64 v[10:11], v[10:11], v[48:49]
	s_cbranch_scc0 .LBB139_15
.LBB139_7:                              ; =>This Inner Loop Header: Depth=1
	v_add_nc_u32_e32 v3, s28, v29
	v_cmp_le_i32_e32 vcc_lo, s3, v3
	s_or_b32 s12, s1, vcc_lo
	s_and_saveexec_b32 s13, s12
	s_xor_b32 s12, exec_lo, s13
	s_cbranch_execz .LBB139_9
; %bb.8:                                ;   in Loop: Header=BB139_7 Depth=1
	v_mov_b32_e32 v3, v2
	v_mov_b32_e32 v4, v2
	;; [unrolled: 1-line block ×3, first 2 shown]
	ds_write_b128 v30, v[2:5]
.LBB139_9:                              ;   in Loop: Header=BB139_7 Depth=1
	s_andn2_saveexec_b32 s12, s12
	s_cbranch_execz .LBB139_11
; %bb.10:                               ;   in Loop: Header=BB139_7 Depth=1
	global_load_dwordx4 v[32:35], v[6:7], off
	s_waitcnt vmcnt(0)
	ds_write2_b64 v30, v[32:33], v[34:35] offset1:1
.LBB139_11:                             ;   in Loop: Header=BB139_7 Depth=1
	s_or_b32 exec_lo, exec_lo, s12
	v_add_nc_u32_e32 v3, s28, v26
	v_cmp_le_i32_e32 vcc_lo, s3, v3
	s_or_b32 s12, vcc_lo, s0
	s_and_saveexec_b32 s13, s12
	s_xor_b32 s12, exec_lo, s13
	s_cbranch_execz .LBB139_13
; %bb.12:                               ;   in Loop: Header=BB139_7 Depth=1
	v_mov_b32_e32 v3, v2
	v_mov_b32_e32 v4, v2
	;; [unrolled: 1-line block ×3, first 2 shown]
	ds_write_b128 v31, v[2:5]
.LBB139_13:                             ;   in Loop: Header=BB139_7 Depth=1
	s_andn2_saveexec_b32 s12, s12
	s_cbranch_execz .LBB139_6
; %bb.14:                               ;   in Loop: Header=BB139_7 Depth=1
	global_load_dwordx4 v[32:35], v[8:9], off
	s_waitcnt vmcnt(0)
	ds_write2_b64 v31, v[32:33], v[34:35] offset1:1
	s_branch .LBB139_6
.LBB139_15:
	s_clause 0x1
	s_load_dword s3, s[4:5], 0x60
	s_load_dwordx2 s[0:1], s[4:5], 0x68
	v_cmp_neq_f64_e64 s6, s[14:15], 0
	v_add_nc_u32_e32 v27, s11, v1
	v_add_nc_u32_e32 v4, s10, v0
	v_cmp_le_i32_e32 vcc_lo, v27, v4
	v_ashrrev_i32_e32 v5, 31, v4
	s_waitcnt lgkmcnt(0)
	v_mad_i64_i32 v[0:1], null, v27, s3, 0
	s_mul_i32 s1, s1, s8
	s_mul_hi_u32 s5, s0, s8
	s_mul_i32 s4, s0, s8
	s_add_i32 s5, s5, s1
	v_cmp_gt_i32_e64 s0, s2, v4
	s_lshl_b64 s[4:5], s[4:5], 4
	v_lshlrev_b64 v[0:1], 4, v[0:1]
	s_add_u32 s4, s18, s4
	s_addc_u32 s5, s19, s5
	s_xor_b32 s7, s9, -1
	s_or_b32 s6, s6, s7
	v_add_co_u32 v8, s1, s4, v0
	v_add_co_ci_u32_e64 v9, null, s5, v1, s1
	v_cndmask_b32_e64 v26, 0, 1, s6
	s_and_b32 s7, vcc_lo, s0
	s_and_saveexec_b32 s1, s7
	s_cbranch_execz .LBB139_19
; %bb.16:
	v_mul_f64 v[0:1], s[22:23], v[24:25]
	v_mul_f64 v[2:3], s[20:21], v[24:25]
	v_lshlrev_b64 v[6:7], 4, v[4:5]
	v_add_co_u32 v6, vcc_lo, v8, v6
	v_add_co_ci_u32_e64 v7, null, v9, v7, vcc_lo
	s_andn2_b32 vcc_lo, exec_lo, s6
	v_fma_f64 v[0:1], s[20:21], v[22:23], -v[0:1]
	v_fma_f64 v[2:3], s[22:23], v[22:23], v[2:3]
	s_cbranch_vccnz .LBB139_18
; %bb.17:
	global_load_dwordx4 v[22:25], v[6:7], off
	s_waitcnt vmcnt(0)
	v_mul_f64 v[28:29], s[16:17], v[24:25]
	v_mul_f64 v[24:25], s[14:15], v[24:25]
	v_fma_f64 v[28:29], s[14:15], v[22:23], -v[28:29]
	v_fma_f64 v[22:23], s[16:17], v[22:23], v[24:25]
	v_add_f64 v[0:1], v[0:1], v[28:29]
	v_add_f64 v[2:3], v[2:3], v[22:23]
.LBB139_18:
	global_store_dwordx4 v[6:7], v[0:3], off
.LBB139_19:
	s_or_b32 exec_lo, exec_lo, s1
	v_add_nc_u32_e32 v6, 16, v4
	v_cmp_le_i32_e32 vcc_lo, v27, v6
	v_cmp_gt_i32_e64 s1, s2, v6
	v_ashrrev_i32_e32 v7, 31, v6
	s_and_b32 s2, vcc_lo, s1
	s_and_saveexec_b32 s6, s2
	s_cbranch_execz .LBB139_23
; %bb.20:
	v_mul_f64 v[0:1], s[22:23], v[16:17]
	v_mul_f64 v[2:3], s[20:21], v[16:17]
	v_cmp_ne_u32_e32 vcc_lo, 1, v26
	s_and_b32 vcc_lo, exec_lo, vcc_lo
	v_fma_f64 v[0:1], s[20:21], v[14:15], -v[0:1]
	v_fma_f64 v[2:3], s[22:23], v[14:15], v[2:3]
	v_lshlrev_b64 v[14:15], 4, v[6:7]
	v_add_co_u32 v8, s2, v8, v14
	v_add_co_ci_u32_e64 v9, null, v9, v15, s2
	s_cbranch_vccnz .LBB139_22
; %bb.21:
	global_load_dwordx4 v[14:17], v[8:9], off
	s_waitcnt vmcnt(0)
	v_mul_f64 v[22:23], s[16:17], v[16:17]
	v_mul_f64 v[16:17], s[14:15], v[16:17]
	v_fma_f64 v[22:23], s[14:15], v[14:15], -v[22:23]
	v_fma_f64 v[14:15], s[16:17], v[14:15], v[16:17]
	v_add_f64 v[0:1], v[0:1], v[22:23]
	v_add_f64 v[2:3], v[2:3], v[14:15]
.LBB139_22:
	global_store_dwordx4 v[8:9], v[0:3], off
.LBB139_23:
	s_or_b32 exec_lo, exec_lo, s6
	v_add_nc_u32_e32 v14, 16, v27
	v_mad_i64_i32 v[0:1], null, v14, s3, 0
	v_cmp_le_i32_e32 vcc_lo, v14, v4
	s_and_b32 s0, vcc_lo, s0
	v_lshlrev_b64 v[0:1], 4, v[0:1]
	v_add_co_u32 v8, s2, s4, v0
	v_add_co_ci_u32_e64 v9, null, s5, v1, s2
	s_and_saveexec_b32 s2, s0
	s_cbranch_execz .LBB139_27
; %bb.24:
	v_mul_f64 v[0:1], s[22:23], v[20:21]
	v_mul_f64 v[2:3], s[20:21], v[20:21]
	v_lshlrev_b64 v[4:5], 4, v[4:5]
	v_cmp_ne_u32_e32 vcc_lo, 1, v26
	s_and_b32 vcc_lo, exec_lo, vcc_lo
	v_add_co_u32 v4, s0, v8, v4
	v_add_co_ci_u32_e64 v5, null, v9, v5, s0
	v_fma_f64 v[0:1], s[20:21], v[18:19], -v[0:1]
	v_fma_f64 v[2:3], s[22:23], v[18:19], v[2:3]
	s_cbranch_vccnz .LBB139_26
; %bb.25:
	global_load_dwordx4 v[15:18], v[4:5], off
	s_waitcnt vmcnt(0)
	v_mul_f64 v[19:20], s[16:17], v[17:18]
	v_mul_f64 v[17:18], s[14:15], v[17:18]
	v_fma_f64 v[19:20], s[14:15], v[15:16], -v[19:20]
	v_fma_f64 v[15:16], s[16:17], v[15:16], v[17:18]
	v_add_f64 v[0:1], v[0:1], v[19:20]
	v_add_f64 v[2:3], v[2:3], v[15:16]
.LBB139_26:
	global_store_dwordx4 v[4:5], v[0:3], off
.LBB139_27:
	s_or_b32 exec_lo, exec_lo, s2
	v_cmp_le_i32_e32 vcc_lo, v14, v6
	s_and_b32 s0, vcc_lo, s1
	s_and_saveexec_b32 s1, s0
	s_cbranch_execz .LBB139_32
; %bb.28:
	v_mul_f64 v[0:1], s[22:23], v[10:11]
	v_mul_f64 v[2:3], s[20:21], v[10:11]
	v_lshlrev_b64 v[4:5], 4, v[6:7]
	v_cmp_ne_u32_e32 vcc_lo, 1, v26
	s_and_b32 vcc_lo, exec_lo, vcc_lo
	v_add_co_u32 v4, s0, v8, v4
	v_add_co_ci_u32_e64 v5, null, v9, v5, s0
	v_fma_f64 v[0:1], s[20:21], v[12:13], -v[0:1]
	v_fma_f64 v[2:3], s[22:23], v[12:13], v[2:3]
	s_cbranch_vccnz .LBB139_30
; %bb.29:
	global_load_dwordx4 v[6:9], v[4:5], off
	s_waitcnt vmcnt(0)
	v_mul_f64 v[10:11], s[16:17], v[8:9]
	v_mul_f64 v[8:9], s[14:15], v[8:9]
	v_fma_f64 v[10:11], s[14:15], v[6:7], -v[10:11]
	v_fma_f64 v[6:7], s[16:17], v[6:7], v[8:9]
	v_add_f64 v[0:1], v[0:1], v[10:11]
	v_add_f64 v[2:3], v[2:3], v[6:7]
.LBB139_30:
	global_store_dwordx4 v[4:5], v[0:3], off
	s_endpgm
.LBB139_31:
.LBB139_32:
	s_endpgm
	.section	.rodata,"a",@progbits
	.p2align	6, 0x0
	.amdhsa_kernel _ZL29rocblas_internal_gemmt_kernelIiLi16ELi32ELi8ELc84ELc84ELc76ELb0ELb0E19rocblas_complex_numIdES1_PKS1_PS1_EviT_T9_T10_S5_lS7_S5_lS6_T11_S5_li
		.amdhsa_group_segment_fixed_size 8192
		.amdhsa_private_segment_fixed_size 0
		.amdhsa_kernarg_size 116
		.amdhsa_user_sgpr_count 6
		.amdhsa_user_sgpr_private_segment_buffer 1
		.amdhsa_user_sgpr_dispatch_ptr 0
		.amdhsa_user_sgpr_queue_ptr 0
		.amdhsa_user_sgpr_kernarg_segment_ptr 1
		.amdhsa_user_sgpr_dispatch_id 0
		.amdhsa_user_sgpr_flat_scratch_init 0
		.amdhsa_user_sgpr_private_segment_size 0
		.amdhsa_wavefront_size32 1
		.amdhsa_uses_dynamic_stack 0
		.amdhsa_system_sgpr_private_segment_wavefront_offset 0
		.amdhsa_system_sgpr_workgroup_id_x 1
		.amdhsa_system_sgpr_workgroup_id_y 1
		.amdhsa_system_sgpr_workgroup_id_z 1
		.amdhsa_system_sgpr_workgroup_info 0
		.amdhsa_system_vgpr_workitem_id 1
		.amdhsa_next_free_vgpr 56
		.amdhsa_next_free_sgpr 32
		.amdhsa_reserve_vcc 1
		.amdhsa_reserve_flat_scratch 0
		.amdhsa_float_round_mode_32 0
		.amdhsa_float_round_mode_16_64 0
		.amdhsa_float_denorm_mode_32 3
		.amdhsa_float_denorm_mode_16_64 3
		.amdhsa_dx10_clamp 1
		.amdhsa_ieee_mode 1
		.amdhsa_fp16_overflow 0
		.amdhsa_workgroup_processor_mode 1
		.amdhsa_memory_ordered 1
		.amdhsa_forward_progress 1
		.amdhsa_shared_vgpr_count 0
		.amdhsa_exception_fp_ieee_invalid_op 0
		.amdhsa_exception_fp_denorm_src 0
		.amdhsa_exception_fp_ieee_div_zero 0
		.amdhsa_exception_fp_ieee_overflow 0
		.amdhsa_exception_fp_ieee_underflow 0
		.amdhsa_exception_fp_ieee_inexact 0
		.amdhsa_exception_int_div_zero 0
	.end_amdhsa_kernel
	.section	.text._ZL29rocblas_internal_gemmt_kernelIiLi16ELi32ELi8ELc84ELc84ELc76ELb0ELb0E19rocblas_complex_numIdES1_PKS1_PS1_EviT_T9_T10_S5_lS7_S5_lS6_T11_S5_li,"axG",@progbits,_ZL29rocblas_internal_gemmt_kernelIiLi16ELi32ELi8ELc84ELc84ELc76ELb0ELb0E19rocblas_complex_numIdES1_PKS1_PS1_EviT_T9_T10_S5_lS7_S5_lS6_T11_S5_li,comdat
.Lfunc_end139:
	.size	_ZL29rocblas_internal_gemmt_kernelIiLi16ELi32ELi8ELc84ELc84ELc76ELb0ELb0E19rocblas_complex_numIdES1_PKS1_PS1_EviT_T9_T10_S5_lS7_S5_lS6_T11_S5_li, .Lfunc_end139-_ZL29rocblas_internal_gemmt_kernelIiLi16ELi32ELi8ELc84ELc84ELc76ELb0ELb0E19rocblas_complex_numIdES1_PKS1_PS1_EviT_T9_T10_S5_lS7_S5_lS6_T11_S5_li
                                        ; -- End function
	.set _ZL29rocblas_internal_gemmt_kernelIiLi16ELi32ELi8ELc84ELc84ELc76ELb0ELb0E19rocblas_complex_numIdES1_PKS1_PS1_EviT_T9_T10_S5_lS7_S5_lS6_T11_S5_li.num_vgpr, 56
	.set _ZL29rocblas_internal_gemmt_kernelIiLi16ELi32ELi8ELc84ELc84ELc76ELb0ELb0E19rocblas_complex_numIdES1_PKS1_PS1_EviT_T9_T10_S5_lS7_S5_lS6_T11_S5_li.num_agpr, 0
	.set _ZL29rocblas_internal_gemmt_kernelIiLi16ELi32ELi8ELc84ELc84ELc76ELb0ELb0E19rocblas_complex_numIdES1_PKS1_PS1_EviT_T9_T10_S5_lS7_S5_lS6_T11_S5_li.numbered_sgpr, 32
	.set _ZL29rocblas_internal_gemmt_kernelIiLi16ELi32ELi8ELc84ELc84ELc76ELb0ELb0E19rocblas_complex_numIdES1_PKS1_PS1_EviT_T9_T10_S5_lS7_S5_lS6_T11_S5_li.num_named_barrier, 0
	.set _ZL29rocblas_internal_gemmt_kernelIiLi16ELi32ELi8ELc84ELc84ELc76ELb0ELb0E19rocblas_complex_numIdES1_PKS1_PS1_EviT_T9_T10_S5_lS7_S5_lS6_T11_S5_li.private_seg_size, 0
	.set _ZL29rocblas_internal_gemmt_kernelIiLi16ELi32ELi8ELc84ELc84ELc76ELb0ELb0E19rocblas_complex_numIdES1_PKS1_PS1_EviT_T9_T10_S5_lS7_S5_lS6_T11_S5_li.uses_vcc, 1
	.set _ZL29rocblas_internal_gemmt_kernelIiLi16ELi32ELi8ELc84ELc84ELc76ELb0ELb0E19rocblas_complex_numIdES1_PKS1_PS1_EviT_T9_T10_S5_lS7_S5_lS6_T11_S5_li.uses_flat_scratch, 0
	.set _ZL29rocblas_internal_gemmt_kernelIiLi16ELi32ELi8ELc84ELc84ELc76ELb0ELb0E19rocblas_complex_numIdES1_PKS1_PS1_EviT_T9_T10_S5_lS7_S5_lS6_T11_S5_li.has_dyn_sized_stack, 0
	.set _ZL29rocblas_internal_gemmt_kernelIiLi16ELi32ELi8ELc84ELc84ELc76ELb0ELb0E19rocblas_complex_numIdES1_PKS1_PS1_EviT_T9_T10_S5_lS7_S5_lS6_T11_S5_li.has_recursion, 0
	.set _ZL29rocblas_internal_gemmt_kernelIiLi16ELi32ELi8ELc84ELc84ELc76ELb0ELb0E19rocblas_complex_numIdES1_PKS1_PS1_EviT_T9_T10_S5_lS7_S5_lS6_T11_S5_li.has_indirect_call, 0
	.section	.AMDGPU.csdata,"",@progbits
; Kernel info:
; codeLenInByte = 3552
; TotalNumSgprs: 34
; NumVgprs: 56
; ScratchSize: 0
; MemoryBound: 0
; FloatMode: 240
; IeeeMode: 1
; LDSByteSize: 8192 bytes/workgroup (compile time only)
; SGPRBlocks: 0
; VGPRBlocks: 6
; NumSGPRsForWavesPerEU: 34
; NumVGPRsForWavesPerEU: 56
; Occupancy: 16
; WaveLimiterHint : 0
; COMPUTE_PGM_RSRC2:SCRATCH_EN: 0
; COMPUTE_PGM_RSRC2:USER_SGPR: 6
; COMPUTE_PGM_RSRC2:TRAP_HANDLER: 0
; COMPUTE_PGM_RSRC2:TGID_X_EN: 1
; COMPUTE_PGM_RSRC2:TGID_Y_EN: 1
; COMPUTE_PGM_RSRC2:TGID_Z_EN: 1
; COMPUTE_PGM_RSRC2:TIDIG_COMP_CNT: 1
	.section	.text._ZL29rocblas_internal_gemmt_kernelIiLi16ELi32ELi8ELc84ELc67ELc76ELb0ELb1E19rocblas_complex_numIdES1_PKS1_PS1_EviT_T9_T10_S5_lS7_S5_lS6_T11_S5_li,"axG",@progbits,_ZL29rocblas_internal_gemmt_kernelIiLi16ELi32ELi8ELc84ELc67ELc76ELb0ELb1E19rocblas_complex_numIdES1_PKS1_PS1_EviT_T9_T10_S5_lS7_S5_lS6_T11_S5_li,comdat
	.globl	_ZL29rocblas_internal_gemmt_kernelIiLi16ELi32ELi8ELc84ELc67ELc76ELb0ELb1E19rocblas_complex_numIdES1_PKS1_PS1_EviT_T9_T10_S5_lS7_S5_lS6_T11_S5_li ; -- Begin function _ZL29rocblas_internal_gemmt_kernelIiLi16ELi32ELi8ELc84ELc67ELc76ELb0ELb1E19rocblas_complex_numIdES1_PKS1_PS1_EviT_T9_T10_S5_lS7_S5_lS6_T11_S5_li
	.p2align	8
	.type	_ZL29rocblas_internal_gemmt_kernelIiLi16ELi32ELi8ELc84ELc67ELc76ELb0ELb1E19rocblas_complex_numIdES1_PKS1_PS1_EviT_T9_T10_S5_lS7_S5_lS6_T11_S5_li,@function
_ZL29rocblas_internal_gemmt_kernelIiLi16ELi32ELi8ELc84ELc67ELc76ELb0ELb1E19rocblas_complex_numIdES1_PKS1_PS1_EviT_T9_T10_S5_lS7_S5_lS6_T11_S5_li: ; @_ZL29rocblas_internal_gemmt_kernelIiLi16ELi32ELi8ELc84ELc67ELc76ELb0ELb1E19rocblas_complex_numIdES1_PKS1_PS1_EviT_T9_T10_S5_lS7_S5_lS6_T11_S5_li
; %bb.0:
	s_clause 0x2
	s_load_dwordx8 s[12:19], s[4:5], 0x40
	s_load_dwordx2 s[2:3], s[4:5], 0x0
	s_load_dwordx4 s[20:23], s[4:5], 0x8
	s_waitcnt lgkmcnt(0)
	v_cmp_eq_f64_e64 s0, s[14:15], 1.0
	v_cmp_eq_f64_e64 s9, s[16:17], 0
	s_and_b32 s0, s0, s9
	s_andn2_b32 vcc_lo, exec_lo, s0
	s_mov_b32 s0, -1
	s_cbranch_vccnz .LBB140_3
; %bb.1:
	s_cmp_lg_u32 s3, 0
	s_cbranch_scc0 .LBB140_29
; %bb.2:
	v_cmp_neq_f64_e64 s0, s[20:21], 0
	v_cmp_neq_f64_e64 s1, s[22:23], 0
	s_or_b32 s0, s0, s1
.LBB140_3:
	s_and_b32 vcc_lo, exec_lo, s0
	s_cbranch_vccz .LBB140_30
; %bb.4:
	v_cmp_eq_f64_e64 s0, s[20:21], 0
	v_cmp_eq_f64_e64 s1, s[22:23], 0
	s_lshl_b32 s10, s6, 5
	s_lshl_b32 s11, s7, 5
	v_mov_b32_e32 v23, 0
	v_mov_b32_e32 v25, 0
	;; [unrolled: 1-line block ×16, first 2 shown]
	s_mov_b32 s28, 0
	s_and_b32 s0, s0, s1
	s_cmp_lt_i32 s3, 1
	s_cselect_b32 s1, -1, 0
	s_or_b32 s0, s0, s1
	s_and_b32 vcc_lo, exec_lo, s0
	s_cbranch_vccnz .LBB140_13
; %bb.5:
	s_clause 0x3
	s_load_dword s1, s[4:5], 0x20
	s_load_dwordx2 s[30:31], s[4:5], 0x18
	s_load_dwordx4 s[24:27], s[4:5], 0x28
	s_load_dword s6, s[4:5], 0x38
	v_lshl_add_u32 v2, v1, 4, v0
	v_and_b32_e32 v27, 7, v0
	v_mov_b32_e32 v9, 0
	v_mov_b32_e32 v17, 0
	;; [unrolled: 1-line block ×3, first 2 shown]
	v_and_b32_e32 v3, 31, v2
	v_lshrrev_b32_e32 v4, 3, v2
	v_lshlrev_b32_e32 v5, 4, v27
	v_lshrrev_b32_e32 v30, 5, v2
	v_mov_b32_e32 v21, 0
	v_add_nc_u32_e32 v7, s10, v3
	v_or_b32_e32 v6, s10, v3
	v_add_nc_u32_e32 v2, s11, v4
	v_lshl_or_b32 v8, v4, 7, v5
	v_lshlrev_b32_e32 v3, 4, v3
	v_mov_b32_e32 v19, 0
	v_cmp_gt_i32_e64 s0, s2, v6
	s_waitcnt lgkmcnt(0)
	v_mad_i64_i32 v[4:5], null, s1, v7, 0
	v_mad_i64_i32 v[6:7], null, s6, v27, 0
	s_mul_i32 s1, s25, s8
	s_mul_hi_u32 s25, s24, s8
	v_lshl_or_b32 v31, v30, 9, v3
	v_ashrrev_i32_e32 v3, 31, v2
	v_lshlrev_b64 v[4:5], 4, v[4:5]
	s_add_i32 s25, s25, s1
	s_mul_i32 s24, s24, s8
	s_mul_i32 s1, s13, s8
	s_mul_hi_u32 s13, s12, s8
	v_lshlrev_b64 v[6:7], 4, v[6:7]
	s_lshl_b64 s[24:25], s[24:25], 4
	s_add_i32 s13, s13, s1
	s_mul_i32 s12, s12, s8
	v_add_co_u32 v4, s1, v4, s24
	s_lshl_b64 s[12:13], s[12:13], 4
	v_cmp_gt_i32_e32 vcc_lo, s2, v2
	v_lshlrev_b64 v[2:3], 4, v[2:3]
	v_add_co_ci_u32_e64 v5, null, s25, v5, s1
	v_add_co_u32 v6, s1, s12, v6
	v_add_co_ci_u32_e64 v7, null, s13, v7, s1
	v_add_nc_u32_e32 v32, 0x1000, v8
	v_lshlrev_b32_e32 v8, 4, v30
	v_add_co_u32 v2, s1, v6, v2
	v_add_co_ci_u32_e64 v3, null, v7, v3, s1
	v_add_co_u32 v4, s1, v4, v8
	v_add_co_ci_u32_e64 v5, null, 0, v5, s1
	v_add_co_u32 v2, s1, s26, v2
	v_add_co_ci_u32_e64 v3, null, s27, v3, s1
	v_add_co_u32 v11, s1, s30, v4
	v_add_co_ci_u32_e64 v12, null, s31, v5, s1
	v_add_co_u32 v13, s1, v2, 8
	v_mov_b32_e32 v7, 0
	v_mov_b32_e32 v25, 0
	;; [unrolled: 1-line block ×3, first 2 shown]
	v_lshlrev_b32_e32 v28, 4, v0
	v_lshl_add_u32 v29, v1, 7, 0x1000
	v_add_co_ci_u32_e64 v14, null, 0, v3, s1
	v_mov_b32_e32 v8, 0
	v_mov_b32_e32 v10, 0
	v_mov_b32_e32 v18, 0
	v_mov_b32_e32 v16, 0
	v_mov_b32_e32 v22, 0
	v_mov_b32_e32 v20, 0
	v_mov_b32_e32 v26, 0
	v_mov_b32_e32 v24, 0
	v_mov_b32_e32 v2, 0
	s_ashr_i32 s7, s6, 31
	s_xor_b32 s1, s0, -1
	s_lshl_b64 s[6:7], s[6:7], 7
	s_branch .LBB140_7
.LBB140_6:                              ;   in Loop: Header=BB140_7 Depth=1
	s_or_b32 exec_lo, exec_lo, s0
	ds_write_b128 v32, v[3:6]
	s_waitcnt lgkmcnt(0)
	s_barrier
	buffer_gl0_inv
	ds_read_b128 v[3:6], v29
	ds_read_b128 v[33:36], v28
	ds_read_b128 v[37:40], v28 offset:256
	ds_read_b128 v[41:44], v29 offset:2048
	;; [unrolled: 1-line block ×12, first 2 shown]
	v_add_co_u32 v11, s0, 0x80, v11
	v_add_co_ci_u32_e64 v12, null, 0, v12, s0
	v_add_co_u32 v13, s0, v13, s6
	v_add_co_ci_u32_e64 v14, null, s7, v14, s0
	s_waitcnt lgkmcnt(12)
	v_mul_f64 v[85:86], v[5:6], v[35:36]
	v_mul_f64 v[87:88], v[3:4], v[35:36]
	s_waitcnt lgkmcnt(11)
	v_mul_f64 v[89:90], v[5:6], v[39:40]
	v_mul_f64 v[91:92], v[3:4], v[39:40]
	;; [unrolled: 3-line block ×3, first 2 shown]
	v_mul_f64 v[95:96], v[43:44], v[39:40]
	v_mul_f64 v[39:40], v[41:42], v[39:40]
	s_waitcnt lgkmcnt(8)
	v_mul_f64 v[97:98], v[47:48], v[51:52]
	v_mul_f64 v[99:100], v[45:46], v[51:52]
	s_waitcnt lgkmcnt(7)
	;; [unrolled: 3-line block ×3, first 2 shown]
	v_mul_f64 v[105:106], v[59:60], v[51:52]
	v_mul_f64 v[51:52], v[57:58], v[51:52]
	;; [unrolled: 1-line block ×4, first 2 shown]
	s_waitcnt lgkmcnt(4)
	v_mul_f64 v[109:110], v[63:64], v[67:68]
	v_mul_f64 v[111:112], v[61:62], v[67:68]
	s_waitcnt lgkmcnt(3)
	v_mul_f64 v[113:114], v[63:64], v[71:72]
	v_mul_f64 v[115:116], v[61:62], v[71:72]
	;; [unrolled: 3-line block ×3, first 2 shown]
	v_fma_f64 v[85:86], v[3:4], v[33:34], -v[85:86]
	v_fma_f64 v[87:88], v[5:6], v[33:34], v[87:88]
	v_fma_f64 v[89:90], v[3:4], v[37:38], -v[89:90]
	v_fma_f64 v[91:92], v[5:6], v[37:38], v[91:92]
	;; [unrolled: 2-line block ×4, first 2 shown]
	v_mul_f64 v[123:124], v[75:76], v[71:72]
	v_mul_f64 v[71:72], v[73:74], v[71:72]
	v_fma_f64 v[97:98], v[45:46], v[49:50], -v[97:98]
	v_fma_f64 v[99:100], v[47:48], v[49:50], v[99:100]
	v_fma_f64 v[101:102], v[45:46], v[53:54], -v[101:102]
	v_fma_f64 v[103:104], v[47:48], v[53:54], v[103:104]
	;; [unrolled: 2-line block ×7, first 2 shown]
	v_add_f64 v[23:24], v[23:24], v[85:86]
	v_add_f64 v[25:26], v[87:88], v[25:26]
	;; [unrolled: 1-line block ×6, first 2 shown]
	v_fma_f64 v[73:74], v[73:74], v[69:70], -v[123:124]
	v_fma_f64 v[69:70], v[75:76], v[69:70], v[71:72]
	v_add_f64 v[71:72], v[15:16], v[93:94]
	v_add_f64 v[75:76], v[119:120], v[17:18]
	ds_read_b128 v[3:6], v28 offset:1536
	ds_read_b128 v[33:36], v28 offset:1792
	;; [unrolled: 1-line block ×7, first 2 shown]
	s_add_i32 s28, s28, 8
	s_cmp_lt_i32 s28, s3
	v_add_f64 v[97:98], v[23:24], v[97:98]
	v_add_f64 v[99:100], v[99:100], v[25:26]
	;; [unrolled: 1-line block ×6, first 2 shown]
	ds_read_b128 v[19:22], v28 offset:2560
	ds_read_b128 v[23:26], v28 offset:2816
	s_waitcnt lgkmcnt(8)
	v_mul_f64 v[109:110], v[79:80], v[5:6]
	v_mul_f64 v[111:112], v[77:78], v[5:6]
	s_waitcnt lgkmcnt(7)
	v_mul_f64 v[67:68], v[79:80], v[35:36]
	v_mul_f64 v[113:114], v[77:78], v[35:36]
	;; [unrolled: 1-line block ×6, first 2 shown]
	s_waitcnt lgkmcnt(4)
	v_mul_f64 v[95:96], v[39:40], v[47:48]
	v_add_f64 v[71:72], v[71:72], v[105:106]
	v_add_f64 v[75:76], v[125:126], v[75:76]
	v_mul_f64 v[93:94], v[37:38], v[43:44]
	ds_read_b128 v[5:8], v29 offset:80
	v_add_f64 v[55:56], v[97:98], v[55:56]
	v_add_f64 v[59:60], v[59:60], v[99:100]
	;; [unrolled: 1-line block ×6, first 2 shown]
	s_waitcnt lgkmcnt(2)
	v_mul_f64 v[99:100], v[17:18], v[21:22]
	s_waitcnt lgkmcnt(1)
	v_mul_f64 v[101:102], v[17:18], v[25:26]
	v_fma_f64 v[89:90], v[77:78], v[3:4], -v[109:110]
	v_fma_f64 v[91:92], v[79:80], v[3:4], v[111:112]
	v_fma_f64 v[67:68], v[77:78], v[33:34], -v[67:68]
	v_mul_f64 v[77:78], v[39:40], v[43:44]
	v_mul_f64 v[109:110], v[37:38], v[47:48]
	v_fma_f64 v[79:80], v[79:80], v[33:34], v[113:114]
	v_mul_f64 v[111:112], v[51:52], v[43:44]
	v_mul_f64 v[43:44], v[49:50], v[43:44]
	v_fma_f64 v[57:58], v[81:82], v[3:4], -v[115:116]
	v_fma_f64 v[3:4], v[83:84], v[3:4], v[117:118]
	v_fma_f64 v[81:82], v[81:82], v[33:34], -v[87:88]
	v_fma_f64 v[83:84], v[83:84], v[33:34], v[35:36]
	v_fma_f64 v[87:88], v[37:38], v[45:46], -v[95:96]
	v_mul_f64 v[95:96], v[51:52], v[47:48]
	v_mul_f64 v[47:48], v[49:50], v[47:48]
	v_add_f64 v[71:72], v[71:72], v[107:108]
	v_add_f64 v[65:66], v[65:66], v[75:76]
	v_fma_f64 v[85:86], v[39:40], v[41:42], v[93:94]
	s_waitcnt lgkmcnt(0)
	v_mul_f64 v[69:70], v[7:8], v[21:22]
	v_mul_f64 v[73:74], v[5:6], v[21:22]
	;; [unrolled: 1-line block ×6, first 2 shown]
	v_add_f64 v[55:56], v[55:56], v[89:90]
	v_fma_f64 v[77:78], v[37:38], v[41:42], -v[77:78]
	v_fma_f64 v[93:94], v[39:40], v[45:46], v[109:110]
	v_add_f64 v[59:60], v[91:92], v[59:60]
	v_fma_f64 v[105:106], v[49:50], v[41:42], -v[111:112]
	v_fma_f64 v[109:110], v[51:52], v[41:42], v[43:44]
	v_add_f64 v[61:62], v[61:62], v[67:68]
	v_add_f64 v[63:64], v[79:80], v[63:64]
	;; [unrolled: 1-line block ×4, first 2 shown]
	ds_read_b128 v[33:36], v29 offset:96
	ds_read_b128 v[37:40], v28 offset:3072
	v_fma_f64 v[49:50], v[49:50], v[45:46], -v[95:96]
	v_fma_f64 v[51:52], v[51:52], v[45:46], v[47:48]
	v_add_f64 v[57:58], v[71:72], v[57:58]
	v_add_f64 v[65:66], v[3:4], v[65:66]
	ds_read_b128 v[41:44], v28 offset:3328
	ds_read_b128 v[45:48], v29 offset:2144
	v_fma_f64 v[69:70], v[5:6], v[19:20], -v[69:70]
	v_fma_f64 v[71:72], v[7:8], v[19:20], v[73:74]
	v_fma_f64 v[73:74], v[5:6], v[23:24], -v[75:76]
	v_fma_f64 v[75:76], v[7:8], v[23:24], v[97:98]
	v_fma_f64 v[79:80], v[15:16], v[19:20], -v[99:100]
	v_fma_f64 v[81:82], v[17:18], v[19:20], v[21:22]
	v_fma_f64 v[83:84], v[15:16], v[23:24], -v[101:102]
	v_fma_f64 v[23:24], v[17:18], v[23:24], v[25:26]
	v_add_f64 v[55:56], v[55:56], v[77:78]
	v_add_f64 v[59:60], v[85:86], v[59:60]
	ds_read_b128 v[3:6], v29 offset:112
	ds_read_b128 v[7:10], v29 offset:2160
	v_add_f64 v[61:62], v[61:62], v[87:88]
	v_add_f64 v[63:64], v[93:94], v[63:64]
	s_waitcnt lgkmcnt(4)
	v_mul_f64 v[89:90], v[35:36], v[39:40]
	v_mul_f64 v[25:26], v[33:34], v[39:40]
	ds_read_b128 v[15:18], v28 offset:3584
	ds_read_b128 v[19:22], v28 offset:3840
	v_add_f64 v[49:50], v[67:68], v[49:50]
	s_waitcnt lgkmcnt(5)
	v_mul_f64 v[91:92], v[35:36], v[43:44]
	v_mul_f64 v[95:96], v[33:34], v[43:44]
	s_waitcnt lgkmcnt(4)
	v_mul_f64 v[97:98], v[47:48], v[39:40]
	v_mul_f64 v[39:40], v[45:46], v[39:40]
	v_add_f64 v[57:58], v[57:58], v[105:106]
	v_add_f64 v[65:66], v[109:110], v[65:66]
	;; [unrolled: 1-line block ×3, first 2 shown]
	v_mul_f64 v[53:54], v[47:48], v[43:44]
	v_mul_f64 v[43:44], v[45:46], v[43:44]
	s_waitcnt lgkmcnt(0)
	s_barrier
	buffer_gl0_inv
	v_fma_f64 v[67:68], v[33:34], v[37:38], -v[89:90]
	v_fma_f64 v[25:26], v[35:36], v[37:38], v[25:26]
	v_add_f64 v[49:50], v[49:50], v[83:84]
	v_fma_f64 v[33:34], v[33:34], v[41:42], -v[91:92]
	v_fma_f64 v[35:36], v[35:36], v[41:42], v[95:96]
	v_fma_f64 v[77:78], v[45:46], v[37:38], -v[97:98]
	v_fma_f64 v[37:38], v[47:48], v[37:38], v[39:40]
	v_add_f64 v[39:40], v[55:56], v[69:70]
	v_add_f64 v[55:56], v[71:72], v[59:60]
	;; [unrolled: 1-line block ×7, first 2 shown]
	v_fma_f64 v[45:46], v[45:46], v[41:42], -v[53:54]
	v_fma_f64 v[41:42], v[47:48], v[41:42], v[43:44]
	v_mul_f64 v[43:44], v[5:6], v[17:18]
	v_mul_f64 v[47:48], v[3:4], v[17:18]
	;; [unrolled: 1-line block ×8, first 2 shown]
	v_add_f64 v[39:40], v[39:40], v[67:68]
	v_add_f64 v[25:26], v[25:26], v[55:56]
	;; [unrolled: 1-line block ×8, first 2 shown]
	v_fma_f64 v[23:24], v[3:4], v[15:16], -v[43:44]
	v_fma_f64 v[43:44], v[5:6], v[15:16], v[47:48]
	v_fma_f64 v[3:4], v[3:4], v[19:20], -v[51:52]
	v_fma_f64 v[5:6], v[5:6], v[19:20], v[53:54]
	;; [unrolled: 2-line block ×4, first 2 shown]
	v_add_f64 v[23:24], v[39:40], v[23:24]
	v_add_f64 v[25:26], v[43:44], v[25:26]
	;; [unrolled: 1-line block ×8, first 2 shown]
	s_cbranch_scc0 .LBB140_13
.LBB140_7:                              ; =>This Inner Loop Header: Depth=1
	v_add_nc_u32_e32 v3, s28, v30
	v_cmp_le_i32_e64 s0, s3, v3
	s_or_b32 s0, s1, s0
	s_and_saveexec_b32 s12, s0
	s_xor_b32 s0, exec_lo, s12
	s_cbranch_execz .LBB140_9
; %bb.8:                                ;   in Loop: Header=BB140_7 Depth=1
	v_mov_b32_e32 v3, v2
	v_mov_b32_e32 v4, v2
	;; [unrolled: 1-line block ×3, first 2 shown]
	ds_write_b128 v31, v[2:5]
.LBB140_9:                              ;   in Loop: Header=BB140_7 Depth=1
	s_andn2_saveexec_b32 s0, s0
	s_cbranch_execz .LBB140_11
; %bb.10:                               ;   in Loop: Header=BB140_7 Depth=1
	global_load_dwordx4 v[3:6], v[11:12], off
	s_waitcnt vmcnt(0)
	ds_write2_b64 v31, v[3:4], v[5:6] offset1:1
.LBB140_11:                             ;   in Loop: Header=BB140_7 Depth=1
	s_or_b32 exec_lo, exec_lo, s0
	v_add_nc_u32_e32 v3, s28, v27
	v_mov_b32_e32 v5, 0
	v_mov_b32_e32 v6, 0
	v_cmp_gt_i32_e64 s0, s3, v3
	v_mov_b32_e32 v3, 0
	v_mov_b32_e32 v4, 0
	s_and_b32 s12, s0, vcc_lo
	s_and_saveexec_b32 s0, s12
	s_cbranch_execz .LBB140_6
; %bb.12:                               ;   in Loop: Header=BB140_7 Depth=1
	global_load_dwordx4 v[3:6], v[13:14], off offset:-8
	s_waitcnt vmcnt(0)
	v_xor_b32_e32 v6, 0x80000000, v6
	s_branch .LBB140_6
.LBB140_13:
	s_clause 0x1
	s_load_dword s3, s[4:5], 0x60
	s_load_dwordx2 s[0:1], s[4:5], 0x68
	v_cmp_neq_f64_e64 s6, s[14:15], 0
	v_add_nc_u32_e32 v27, s11, v1
	v_add_nc_u32_e32 v4, s10, v0
	v_cmp_le_i32_e32 vcc_lo, v27, v4
	v_ashrrev_i32_e32 v5, 31, v4
	s_waitcnt lgkmcnt(0)
	v_mad_i64_i32 v[0:1], null, v27, s3, 0
	s_mul_i32 s1, s1, s8
	s_mul_hi_u32 s5, s0, s8
	s_mul_i32 s4, s0, s8
	s_add_i32 s5, s5, s1
	v_cmp_gt_i32_e64 s0, s2, v4
	s_lshl_b64 s[4:5], s[4:5], 4
	v_lshlrev_b64 v[0:1], 4, v[0:1]
	s_add_u32 s4, s18, s4
	s_addc_u32 s5, s19, s5
	s_xor_b32 s7, s9, -1
	s_or_b32 s6, s6, s7
	v_add_co_u32 v13, s1, s4, v0
	v_add_co_ci_u32_e64 v14, null, s5, v1, s1
	v_cndmask_b32_e64 v6, 0, 1, s6
	s_and_b32 s7, vcc_lo, s0
	s_and_saveexec_b32 s1, s7
	s_cbranch_execz .LBB140_17
; %bb.14:
	v_mul_f64 v[0:1], s[22:23], v[25:26]
	v_mul_f64 v[2:3], s[20:21], v[25:26]
	v_lshlrev_b64 v[11:12], 4, v[4:5]
	v_add_co_u32 v11, vcc_lo, v13, v11
	v_add_co_ci_u32_e64 v12, null, v14, v12, vcc_lo
	s_andn2_b32 vcc_lo, exec_lo, s6
	v_fma_f64 v[0:1], s[20:21], v[23:24], -v[0:1]
	v_fma_f64 v[2:3], s[22:23], v[23:24], v[2:3]
	s_cbranch_vccnz .LBB140_16
; %bb.15:
	global_load_dwordx4 v[23:26], v[11:12], off
	s_waitcnt vmcnt(0)
	v_mul_f64 v[28:29], s[16:17], v[25:26]
	v_mul_f64 v[25:26], s[14:15], v[25:26]
	v_fma_f64 v[28:29], s[14:15], v[23:24], -v[28:29]
	v_fma_f64 v[23:24], s[16:17], v[23:24], v[25:26]
	v_add_f64 v[0:1], v[0:1], v[28:29]
	v_add_f64 v[2:3], v[2:3], v[23:24]
.LBB140_16:
	global_store_dwordx4 v[11:12], v[0:3], off
.LBB140_17:
	s_or_b32 exec_lo, exec_lo, s1
	v_add_nc_u32_e32 v11, 16, v4
	v_cmp_le_i32_e32 vcc_lo, v27, v11
	v_cmp_gt_i32_e64 s1, s2, v11
	v_ashrrev_i32_e32 v12, 31, v11
	s_and_b32 s2, vcc_lo, s1
	s_and_saveexec_b32 s6, s2
	s_cbranch_execz .LBB140_21
; %bb.18:
	v_mul_f64 v[0:1], s[22:23], v[21:22]
	v_mul_f64 v[2:3], s[20:21], v[21:22]
	v_cmp_ne_u32_e32 vcc_lo, 1, v6
	s_and_b32 vcc_lo, exec_lo, vcc_lo
	v_fma_f64 v[0:1], s[20:21], v[19:20], -v[0:1]
	v_fma_f64 v[2:3], s[22:23], v[19:20], v[2:3]
	v_lshlrev_b64 v[19:20], 4, v[11:12]
	v_add_co_u32 v13, s2, v13, v19
	v_add_co_ci_u32_e64 v14, null, v14, v20, s2
	s_cbranch_vccnz .LBB140_20
; %bb.19:
	global_load_dwordx4 v[19:22], v[13:14], off
	s_waitcnt vmcnt(0)
	v_mul_f64 v[23:24], s[16:17], v[21:22]
	v_mul_f64 v[21:22], s[14:15], v[21:22]
	v_fma_f64 v[23:24], s[14:15], v[19:20], -v[23:24]
	v_fma_f64 v[19:20], s[16:17], v[19:20], v[21:22]
	v_add_f64 v[0:1], v[0:1], v[23:24]
	v_add_f64 v[2:3], v[2:3], v[19:20]
.LBB140_20:
	global_store_dwordx4 v[13:14], v[0:3], off
.LBB140_21:
	s_or_b32 exec_lo, exec_lo, s6
	v_add_nc_u32_e32 v19, 16, v27
	v_mad_i64_i32 v[0:1], null, v19, s3, 0
	v_cmp_le_i32_e32 vcc_lo, v19, v4
	s_and_b32 s0, vcc_lo, s0
	v_lshlrev_b64 v[0:1], 4, v[0:1]
	v_add_co_u32 v13, s2, s4, v0
	v_add_co_ci_u32_e64 v14, null, s5, v1, s2
	s_and_saveexec_b32 s2, s0
	s_cbranch_execz .LBB140_25
; %bb.22:
	v_mul_f64 v[0:1], s[22:23], v[17:18]
	v_mul_f64 v[2:3], s[20:21], v[17:18]
	v_lshlrev_b64 v[4:5], 4, v[4:5]
	v_cmp_ne_u32_e32 vcc_lo, 1, v6
	s_and_b32 vcc_lo, exec_lo, vcc_lo
	v_add_co_u32 v4, s0, v13, v4
	v_add_co_ci_u32_e64 v5, null, v14, v5, s0
	v_fma_f64 v[0:1], s[20:21], v[15:16], -v[0:1]
	v_fma_f64 v[2:3], s[22:23], v[15:16], v[2:3]
	s_cbranch_vccnz .LBB140_24
; %bb.23:
	global_load_dwordx4 v[15:18], v[4:5], off
	s_waitcnt vmcnt(0)
	v_mul_f64 v[20:21], s[16:17], v[17:18]
	v_mul_f64 v[17:18], s[14:15], v[17:18]
	v_fma_f64 v[20:21], s[14:15], v[15:16], -v[20:21]
	v_fma_f64 v[15:16], s[16:17], v[15:16], v[17:18]
	v_add_f64 v[0:1], v[0:1], v[20:21]
	v_add_f64 v[2:3], v[2:3], v[15:16]
.LBB140_24:
	global_store_dwordx4 v[4:5], v[0:3], off
.LBB140_25:
	s_or_b32 exec_lo, exec_lo, s2
	v_cmp_le_i32_e32 vcc_lo, v19, v11
	s_and_b32 s0, vcc_lo, s1
	s_and_saveexec_b32 s1, s0
	s_cbranch_execz .LBB140_30
; %bb.26:
	v_mul_f64 v[0:1], s[22:23], v[7:8]
	v_mul_f64 v[2:3], s[20:21], v[7:8]
	v_lshlrev_b64 v[4:5], 4, v[11:12]
	v_cmp_ne_u32_e32 vcc_lo, 1, v6
	s_and_b32 vcc_lo, exec_lo, vcc_lo
	v_add_co_u32 v4, s0, v13, v4
	v_add_co_ci_u32_e64 v5, null, v14, v5, s0
	v_fma_f64 v[0:1], s[20:21], v[9:10], -v[0:1]
	v_fma_f64 v[2:3], s[22:23], v[9:10], v[2:3]
	s_cbranch_vccnz .LBB140_28
; %bb.27:
	global_load_dwordx4 v[6:9], v[4:5], off
	s_waitcnt vmcnt(0)
	v_mul_f64 v[10:11], s[16:17], v[8:9]
	v_mul_f64 v[8:9], s[14:15], v[8:9]
	v_fma_f64 v[10:11], s[14:15], v[6:7], -v[10:11]
	v_fma_f64 v[6:7], s[16:17], v[6:7], v[8:9]
	v_add_f64 v[0:1], v[0:1], v[10:11]
	v_add_f64 v[2:3], v[2:3], v[6:7]
.LBB140_28:
	global_store_dwordx4 v[4:5], v[0:3], off
	s_endpgm
.LBB140_29:
.LBB140_30:
	s_endpgm
	.section	.rodata,"a",@progbits
	.p2align	6, 0x0
	.amdhsa_kernel _ZL29rocblas_internal_gemmt_kernelIiLi16ELi32ELi8ELc84ELc67ELc76ELb0ELb1E19rocblas_complex_numIdES1_PKS1_PS1_EviT_T9_T10_S5_lS7_S5_lS6_T11_S5_li
		.amdhsa_group_segment_fixed_size 8192
		.amdhsa_private_segment_fixed_size 0
		.amdhsa_kernarg_size 116
		.amdhsa_user_sgpr_count 6
		.amdhsa_user_sgpr_private_segment_buffer 1
		.amdhsa_user_sgpr_dispatch_ptr 0
		.amdhsa_user_sgpr_queue_ptr 0
		.amdhsa_user_sgpr_kernarg_segment_ptr 1
		.amdhsa_user_sgpr_dispatch_id 0
		.amdhsa_user_sgpr_flat_scratch_init 0
		.amdhsa_user_sgpr_private_segment_size 0
		.amdhsa_wavefront_size32 1
		.amdhsa_uses_dynamic_stack 0
		.amdhsa_system_sgpr_private_segment_wavefront_offset 0
		.amdhsa_system_sgpr_workgroup_id_x 1
		.amdhsa_system_sgpr_workgroup_id_y 1
		.amdhsa_system_sgpr_workgroup_id_z 1
		.amdhsa_system_sgpr_workgroup_info 0
		.amdhsa_system_vgpr_workitem_id 1
		.amdhsa_next_free_vgpr 127
		.amdhsa_next_free_sgpr 32
		.amdhsa_reserve_vcc 1
		.amdhsa_reserve_flat_scratch 0
		.amdhsa_float_round_mode_32 0
		.amdhsa_float_round_mode_16_64 0
		.amdhsa_float_denorm_mode_32 3
		.amdhsa_float_denorm_mode_16_64 3
		.amdhsa_dx10_clamp 1
		.amdhsa_ieee_mode 1
		.amdhsa_fp16_overflow 0
		.amdhsa_workgroup_processor_mode 1
		.amdhsa_memory_ordered 1
		.amdhsa_forward_progress 1
		.amdhsa_shared_vgpr_count 0
		.amdhsa_exception_fp_ieee_invalid_op 0
		.amdhsa_exception_fp_denorm_src 0
		.amdhsa_exception_fp_ieee_div_zero 0
		.amdhsa_exception_fp_ieee_overflow 0
		.amdhsa_exception_fp_ieee_underflow 0
		.amdhsa_exception_fp_ieee_inexact 0
		.amdhsa_exception_int_div_zero 0
	.end_amdhsa_kernel
	.section	.text._ZL29rocblas_internal_gemmt_kernelIiLi16ELi32ELi8ELc84ELc67ELc76ELb0ELb1E19rocblas_complex_numIdES1_PKS1_PS1_EviT_T9_T10_S5_lS7_S5_lS6_T11_S5_li,"axG",@progbits,_ZL29rocblas_internal_gemmt_kernelIiLi16ELi32ELi8ELc84ELc67ELc76ELb0ELb1E19rocblas_complex_numIdES1_PKS1_PS1_EviT_T9_T10_S5_lS7_S5_lS6_T11_S5_li,comdat
.Lfunc_end140:
	.size	_ZL29rocblas_internal_gemmt_kernelIiLi16ELi32ELi8ELc84ELc67ELc76ELb0ELb1E19rocblas_complex_numIdES1_PKS1_PS1_EviT_T9_T10_S5_lS7_S5_lS6_T11_S5_li, .Lfunc_end140-_ZL29rocblas_internal_gemmt_kernelIiLi16ELi32ELi8ELc84ELc67ELc76ELb0ELb1E19rocblas_complex_numIdES1_PKS1_PS1_EviT_T9_T10_S5_lS7_S5_lS6_T11_S5_li
                                        ; -- End function
	.set _ZL29rocblas_internal_gemmt_kernelIiLi16ELi32ELi8ELc84ELc67ELc76ELb0ELb1E19rocblas_complex_numIdES1_PKS1_PS1_EviT_T9_T10_S5_lS7_S5_lS6_T11_S5_li.num_vgpr, 127
	.set _ZL29rocblas_internal_gemmt_kernelIiLi16ELi32ELi8ELc84ELc67ELc76ELb0ELb1E19rocblas_complex_numIdES1_PKS1_PS1_EviT_T9_T10_S5_lS7_S5_lS6_T11_S5_li.num_agpr, 0
	.set _ZL29rocblas_internal_gemmt_kernelIiLi16ELi32ELi8ELc84ELc67ELc76ELb0ELb1E19rocblas_complex_numIdES1_PKS1_PS1_EviT_T9_T10_S5_lS7_S5_lS6_T11_S5_li.numbered_sgpr, 32
	.set _ZL29rocblas_internal_gemmt_kernelIiLi16ELi32ELi8ELc84ELc67ELc76ELb0ELb1E19rocblas_complex_numIdES1_PKS1_PS1_EviT_T9_T10_S5_lS7_S5_lS6_T11_S5_li.num_named_barrier, 0
	.set _ZL29rocblas_internal_gemmt_kernelIiLi16ELi32ELi8ELc84ELc67ELc76ELb0ELb1E19rocblas_complex_numIdES1_PKS1_PS1_EviT_T9_T10_S5_lS7_S5_lS6_T11_S5_li.private_seg_size, 0
	.set _ZL29rocblas_internal_gemmt_kernelIiLi16ELi32ELi8ELc84ELc67ELc76ELb0ELb1E19rocblas_complex_numIdES1_PKS1_PS1_EviT_T9_T10_S5_lS7_S5_lS6_T11_S5_li.uses_vcc, 1
	.set _ZL29rocblas_internal_gemmt_kernelIiLi16ELi32ELi8ELc84ELc67ELc76ELb0ELb1E19rocblas_complex_numIdES1_PKS1_PS1_EviT_T9_T10_S5_lS7_S5_lS6_T11_S5_li.uses_flat_scratch, 0
	.set _ZL29rocblas_internal_gemmt_kernelIiLi16ELi32ELi8ELc84ELc67ELc76ELb0ELb1E19rocblas_complex_numIdES1_PKS1_PS1_EviT_T9_T10_S5_lS7_S5_lS6_T11_S5_li.has_dyn_sized_stack, 0
	.set _ZL29rocblas_internal_gemmt_kernelIiLi16ELi32ELi8ELc84ELc67ELc76ELb0ELb1E19rocblas_complex_numIdES1_PKS1_PS1_EviT_T9_T10_S5_lS7_S5_lS6_T11_S5_li.has_recursion, 0
	.set _ZL29rocblas_internal_gemmt_kernelIiLi16ELi32ELi8ELc84ELc67ELc76ELb0ELb1E19rocblas_complex_numIdES1_PKS1_PS1_EviT_T9_T10_S5_lS7_S5_lS6_T11_S5_li.has_indirect_call, 0
	.section	.AMDGPU.csdata,"",@progbits
; Kernel info:
; codeLenInByte = 3540
; TotalNumSgprs: 34
; NumVgprs: 127
; ScratchSize: 0
; MemoryBound: 1
; FloatMode: 240
; IeeeMode: 1
; LDSByteSize: 8192 bytes/workgroup (compile time only)
; SGPRBlocks: 0
; VGPRBlocks: 15
; NumSGPRsForWavesPerEU: 34
; NumVGPRsForWavesPerEU: 127
; Occupancy: 8
; WaveLimiterHint : 0
; COMPUTE_PGM_RSRC2:SCRATCH_EN: 0
; COMPUTE_PGM_RSRC2:USER_SGPR: 6
; COMPUTE_PGM_RSRC2:TRAP_HANDLER: 0
; COMPUTE_PGM_RSRC2:TGID_X_EN: 1
; COMPUTE_PGM_RSRC2:TGID_Y_EN: 1
; COMPUTE_PGM_RSRC2:TGID_Z_EN: 1
; COMPUTE_PGM_RSRC2:TIDIG_COMP_CNT: 1
	.section	.text._ZL29rocblas_internal_gemmt_kernelIiLi16ELi32ELi8ELc67ELc78ELc76ELb1ELb0E19rocblas_complex_numIdES1_PKS1_PS1_EviT_T9_T10_S5_lS7_S5_lS6_T11_S5_li,"axG",@progbits,_ZL29rocblas_internal_gemmt_kernelIiLi16ELi32ELi8ELc67ELc78ELc76ELb1ELb0E19rocblas_complex_numIdES1_PKS1_PS1_EviT_T9_T10_S5_lS7_S5_lS6_T11_S5_li,comdat
	.globl	_ZL29rocblas_internal_gemmt_kernelIiLi16ELi32ELi8ELc67ELc78ELc76ELb1ELb0E19rocblas_complex_numIdES1_PKS1_PS1_EviT_T9_T10_S5_lS7_S5_lS6_T11_S5_li ; -- Begin function _ZL29rocblas_internal_gemmt_kernelIiLi16ELi32ELi8ELc67ELc78ELc76ELb1ELb0E19rocblas_complex_numIdES1_PKS1_PS1_EviT_T9_T10_S5_lS7_S5_lS6_T11_S5_li
	.p2align	8
	.type	_ZL29rocblas_internal_gemmt_kernelIiLi16ELi32ELi8ELc67ELc78ELc76ELb1ELb0E19rocblas_complex_numIdES1_PKS1_PS1_EviT_T9_T10_S5_lS7_S5_lS6_T11_S5_li,@function
_ZL29rocblas_internal_gemmt_kernelIiLi16ELi32ELi8ELc67ELc78ELc76ELb1ELb0E19rocblas_complex_numIdES1_PKS1_PS1_EviT_T9_T10_S5_lS7_S5_lS6_T11_S5_li: ; @_ZL29rocblas_internal_gemmt_kernelIiLi16ELi32ELi8ELc67ELc78ELc76ELb1ELb0E19rocblas_complex_numIdES1_PKS1_PS1_EviT_T9_T10_S5_lS7_S5_lS6_T11_S5_li
; %bb.0:
	s_clause 0x2
	s_load_dwordx8 s[12:19], s[4:5], 0x40
	s_load_dwordx2 s[2:3], s[4:5], 0x0
	s_load_dwordx4 s[20:23], s[4:5], 0x8
	s_waitcnt lgkmcnt(0)
	v_cmp_eq_f64_e64 s0, s[14:15], 1.0
	v_cmp_eq_f64_e64 s9, s[16:17], 0
	s_and_b32 s0, s0, s9
	s_andn2_b32 vcc_lo, exec_lo, s0
	s_mov_b32 s0, -1
	s_cbranch_vccnz .LBB141_3
; %bb.1:
	s_cmp_lg_u32 s3, 0
	s_cbranch_scc0 .LBB141_29
; %bb.2:
	v_cmp_neq_f64_e64 s0, s[20:21], 0
	v_cmp_neq_f64_e64 s1, s[22:23], 0
	s_or_b32 s0, s0, s1
.LBB141_3:
	s_and_b32 vcc_lo, exec_lo, s0
	s_cbranch_vccz .LBB141_30
; %bb.4:
	v_cmp_eq_f64_e64 s0, s[20:21], 0
	v_cmp_eq_f64_e64 s1, s[22:23], 0
	s_lshl_b32 s6, s6, 5
	s_lshl_b32 s7, s7, 5
	v_mov_b32_e32 v23, 0
	v_mov_b32_e32 v25, 0
	;; [unrolled: 1-line block ×16, first 2 shown]
	s_mov_b32 s10, 0
	s_and_b32 s0, s0, s1
	s_cmp_lt_i32 s3, 1
	s_cselect_b32 s1, -1, 0
	s_or_b32 s0, s0, s1
	s_and_b32 vcc_lo, exec_lo, s0
	s_cbranch_vccnz .LBB141_13
; %bb.5:
	s_clause 0x1
	s_load_dword s0, s[4:5], 0x20
	s_load_dwordx2 s[28:29], s[4:5], 0x18
	v_lshl_add_u32 v2, v1, 4, v0
	s_clause 0x1
	s_load_dwordx4 s[24:27], s[4:5], 0x28
	s_load_dword s1, s[4:5], 0x38
	v_and_b32_e32 v27, 7, v0
	v_mov_b32_e32 v17, 0
	v_and_b32_e32 v4, 31, v2
	v_lshrrev_b32_e32 v3, 3, v2
	v_lshrrev_b32_e32 v30, 5, v2
	v_lshlrev_b32_e32 v6, 4, v27
	v_mov_b32_e32 v15, 0
	v_add_nc_u32_e32 v2, s6, v4
	v_add_nc_u32_e32 v5, s7, v3
	v_or_b32_e32 v7, s6, v4
	v_lshl_or_b32 v8, v3, 7, v6
	v_lshlrev_b32_e32 v4, 4, v4
	v_lshlrev_b32_e32 v9, 4, v30
	v_mov_b32_e32 v21, 0
	v_cmp_gt_i32_e32 vcc_lo, s2, v7
	s_waitcnt lgkmcnt(0)
	v_mad_i64_i32 v[2:3], null, s0, v2, 0
	v_lshl_or_b32 v31, v30, 9, v4
	v_cmp_gt_i32_e64 s0, s2, v5
	s_mul_i32 s11, s25, s8
	s_mul_hi_u32 s25, s24, s8
	v_mad_i64_i32 v[4:5], null, s1, v5, 0
	v_lshlrev_b64 v[2:3], 4, v[2:3]
	s_mul_i32 s24, s24, s8
	s_add_i32 s25, s25, s11
	v_add_nc_u32_e32 v32, 0x1000, v8
	s_lshl_b64 s[24:25], s[24:25], 4
	s_mul_hi_u32 s11, s12, s8
	v_add_co_u32 v7, s1, v2, s24
	v_add_co_ci_u32_e64 v8, null, s25, v3, s1
	s_mul_i32 s1, s13, s8
	v_lshlrev_b64 v[2:3], 4, v[4:5]
	s_add_i32 s13, s11, s1
	s_mul_i32 s12, s12, s8
	v_add_co_u32 v4, s1, v7, v9
	s_lshl_b64 s[12:13], s[12:13], 4
	v_add_co_ci_u32_e64 v5, null, 0, v8, s1
	v_add_co_u32 v2, s1, v2, s12
	v_add_co_ci_u32_e64 v3, null, s13, v3, s1
	v_add_co_u32 v4, s1, s28, v4
	;; [unrolled: 2-line block ×5, first 2 shown]
	v_mov_b32_e32 v7, 0
	v_mov_b32_e32 v9, 0
	;; [unrolled: 1-line block ×5, first 2 shown]
	v_lshlrev_b32_e32 v28, 4, v0
	v_lshl_add_u32 v29, v1, 7, 0x1000
	v_add_co_ci_u32_e64 v14, null, s27, v3, s1
	v_mov_b32_e32 v8, 0
	v_mov_b32_e32 v10, 0
	;; [unrolled: 1-line block ×9, first 2 shown]
	s_xor_b32 s1, s0, -1
	s_branch .LBB141_7
.LBB141_6:                              ;   in Loop: Header=BB141_7 Depth=1
	s_or_b32 exec_lo, exec_lo, s0
	s_waitcnt lgkmcnt(0)
	s_barrier
	buffer_gl0_inv
	ds_read_b128 v[3:6], v29
	ds_read_b128 v[33:36], v28
	ds_read_b128 v[37:40], v28 offset:256
	ds_read_b128 v[41:44], v29 offset:2048
	;; [unrolled: 1-line block ×12, first 2 shown]
	v_add_co_u32 v11, s0, 0x80, v11
	v_add_co_ci_u32_e64 v12, null, 0, v12, s0
	v_add_co_u32 v13, s0, 0x80, v13
	v_add_co_ci_u32_e64 v14, null, 0, v14, s0
	s_waitcnt lgkmcnt(12)
	v_mul_f64 v[85:86], v[5:6], v[35:36]
	v_mul_f64 v[87:88], v[3:4], v[35:36]
	s_waitcnt lgkmcnt(11)
	v_mul_f64 v[89:90], v[5:6], v[39:40]
	v_mul_f64 v[91:92], v[3:4], v[39:40]
	;; [unrolled: 3-line block ×3, first 2 shown]
	v_mul_f64 v[95:96], v[43:44], v[39:40]
	v_mul_f64 v[39:40], v[41:42], v[39:40]
	s_waitcnt lgkmcnt(8)
	v_mul_f64 v[97:98], v[47:48], v[51:52]
	v_mul_f64 v[99:100], v[45:46], v[51:52]
	s_waitcnt lgkmcnt(7)
	;; [unrolled: 3-line block ×3, first 2 shown]
	v_mul_f64 v[105:106], v[59:60], v[51:52]
	v_mul_f64 v[51:52], v[57:58], v[51:52]
	;; [unrolled: 1-line block ×4, first 2 shown]
	s_waitcnt lgkmcnt(4)
	v_mul_f64 v[109:110], v[63:64], v[67:68]
	v_mul_f64 v[111:112], v[61:62], v[67:68]
	s_waitcnt lgkmcnt(3)
	v_mul_f64 v[113:114], v[63:64], v[71:72]
	v_mul_f64 v[115:116], v[61:62], v[71:72]
	;; [unrolled: 3-line block ×3, first 2 shown]
	v_fma_f64 v[85:86], v[3:4], v[33:34], -v[85:86]
	v_fma_f64 v[87:88], v[5:6], v[33:34], v[87:88]
	v_fma_f64 v[89:90], v[3:4], v[37:38], -v[89:90]
	v_fma_f64 v[91:92], v[5:6], v[37:38], v[91:92]
	;; [unrolled: 2-line block ×4, first 2 shown]
	v_mul_f64 v[123:124], v[75:76], v[71:72]
	v_mul_f64 v[71:72], v[73:74], v[71:72]
	v_fma_f64 v[97:98], v[45:46], v[49:50], -v[97:98]
	v_fma_f64 v[99:100], v[47:48], v[49:50], v[99:100]
	v_fma_f64 v[101:102], v[45:46], v[53:54], -v[101:102]
	v_fma_f64 v[103:104], v[47:48], v[53:54], v[103:104]
	v_fma_f64 v[105:106], v[57:58], v[49:50], -v[105:106]
	v_fma_f64 v[125:126], v[59:60], v[49:50], v[51:52]
	v_fma_f64 v[57:58], v[57:58], v[53:54], -v[107:108]
	v_fma_f64 v[53:54], v[59:60], v[53:54], v[55:56]
	v_fma_f64 v[55:56], v[61:62], v[65:66], -v[109:110]
	v_fma_f64 v[59:60], v[63:64], v[65:66], v[111:112]
	v_fma_f64 v[61:62], v[61:62], v[69:70], -v[113:114]
	v_fma_f64 v[63:64], v[63:64], v[69:70], v[115:116]
	v_fma_f64 v[107:108], v[73:74], v[65:66], -v[117:118]
	v_fma_f64 v[65:66], v[75:76], v[65:66], v[67:68]
	v_add_f64 v[23:24], v[23:24], v[85:86]
	v_add_f64 v[25:26], v[87:88], v[25:26]
	;; [unrolled: 1-line block ×6, first 2 shown]
	v_fma_f64 v[73:74], v[73:74], v[69:70], -v[123:124]
	v_fma_f64 v[69:70], v[75:76], v[69:70], v[71:72]
	v_add_f64 v[71:72], v[15:16], v[93:94]
	v_add_f64 v[75:76], v[119:120], v[17:18]
	ds_read_b128 v[3:6], v28 offset:1536
	ds_read_b128 v[33:36], v28 offset:1792
	;; [unrolled: 1-line block ×7, first 2 shown]
	s_add_i32 s10, s10, 8
	s_cmp_lt_i32 s10, s3
	v_add_f64 v[97:98], v[23:24], v[97:98]
	v_add_f64 v[99:100], v[99:100], v[25:26]
	v_add_f64 v[101:102], v[19:20], v[101:102]
	v_add_f64 v[103:104], v[103:104], v[21:22]
	v_add_f64 v[9:10], v[9:10], v[57:58]
	v_add_f64 v[53:54], v[53:54], v[85:86]
	ds_read_b128 v[19:22], v28 offset:2560
	ds_read_b128 v[23:26], v28 offset:2816
	s_waitcnt lgkmcnt(8)
	v_mul_f64 v[109:110], v[79:80], v[5:6]
	v_mul_f64 v[111:112], v[77:78], v[5:6]
	s_waitcnt lgkmcnt(7)
	v_mul_f64 v[67:68], v[79:80], v[35:36]
	v_mul_f64 v[113:114], v[77:78], v[35:36]
	;; [unrolled: 1-line block ×6, first 2 shown]
	s_waitcnt lgkmcnt(4)
	v_mul_f64 v[95:96], v[39:40], v[47:48]
	v_add_f64 v[71:72], v[71:72], v[105:106]
	v_add_f64 v[75:76], v[125:126], v[75:76]
	v_mul_f64 v[93:94], v[37:38], v[43:44]
	ds_read_b128 v[5:8], v29 offset:80
	v_add_f64 v[55:56], v[97:98], v[55:56]
	v_add_f64 v[59:60], v[59:60], v[99:100]
	;; [unrolled: 1-line block ×6, first 2 shown]
	s_waitcnt lgkmcnt(2)
	v_mul_f64 v[99:100], v[17:18], v[21:22]
	s_waitcnt lgkmcnt(1)
	v_mul_f64 v[101:102], v[17:18], v[25:26]
	v_fma_f64 v[89:90], v[77:78], v[3:4], -v[109:110]
	v_fma_f64 v[91:92], v[79:80], v[3:4], v[111:112]
	v_fma_f64 v[67:68], v[77:78], v[33:34], -v[67:68]
	v_mul_f64 v[77:78], v[39:40], v[43:44]
	v_mul_f64 v[109:110], v[37:38], v[47:48]
	v_fma_f64 v[79:80], v[79:80], v[33:34], v[113:114]
	v_mul_f64 v[111:112], v[51:52], v[43:44]
	v_mul_f64 v[43:44], v[49:50], v[43:44]
	v_fma_f64 v[57:58], v[81:82], v[3:4], -v[115:116]
	v_fma_f64 v[3:4], v[83:84], v[3:4], v[117:118]
	v_fma_f64 v[81:82], v[81:82], v[33:34], -v[87:88]
	v_fma_f64 v[83:84], v[83:84], v[33:34], v[35:36]
	v_fma_f64 v[87:88], v[37:38], v[45:46], -v[95:96]
	v_mul_f64 v[95:96], v[51:52], v[47:48]
	v_mul_f64 v[47:48], v[49:50], v[47:48]
	v_add_f64 v[71:72], v[71:72], v[107:108]
	v_add_f64 v[65:66], v[65:66], v[75:76]
	v_fma_f64 v[85:86], v[39:40], v[41:42], v[93:94]
	s_waitcnt lgkmcnt(0)
	v_mul_f64 v[69:70], v[7:8], v[21:22]
	v_mul_f64 v[73:74], v[5:6], v[21:22]
	;; [unrolled: 1-line block ×6, first 2 shown]
	v_add_f64 v[55:56], v[55:56], v[89:90]
	v_fma_f64 v[77:78], v[37:38], v[41:42], -v[77:78]
	v_fma_f64 v[93:94], v[39:40], v[45:46], v[109:110]
	v_add_f64 v[59:60], v[91:92], v[59:60]
	v_fma_f64 v[105:106], v[49:50], v[41:42], -v[111:112]
	v_fma_f64 v[109:110], v[51:52], v[41:42], v[43:44]
	v_add_f64 v[61:62], v[61:62], v[67:68]
	v_add_f64 v[63:64], v[79:80], v[63:64]
	;; [unrolled: 1-line block ×4, first 2 shown]
	ds_read_b128 v[33:36], v29 offset:96
	ds_read_b128 v[37:40], v28 offset:3072
	v_fma_f64 v[49:50], v[49:50], v[45:46], -v[95:96]
	v_fma_f64 v[51:52], v[51:52], v[45:46], v[47:48]
	v_add_f64 v[57:58], v[71:72], v[57:58]
	v_add_f64 v[65:66], v[3:4], v[65:66]
	ds_read_b128 v[41:44], v28 offset:3328
	ds_read_b128 v[45:48], v29 offset:2144
	v_fma_f64 v[69:70], v[5:6], v[19:20], -v[69:70]
	v_fma_f64 v[71:72], v[7:8], v[19:20], v[73:74]
	v_fma_f64 v[73:74], v[5:6], v[23:24], -v[75:76]
	v_fma_f64 v[75:76], v[7:8], v[23:24], v[97:98]
	v_fma_f64 v[79:80], v[15:16], v[19:20], -v[99:100]
	v_fma_f64 v[81:82], v[17:18], v[19:20], v[21:22]
	v_fma_f64 v[83:84], v[15:16], v[23:24], -v[101:102]
	v_fma_f64 v[23:24], v[17:18], v[23:24], v[25:26]
	v_add_f64 v[55:56], v[55:56], v[77:78]
	v_add_f64 v[59:60], v[85:86], v[59:60]
	ds_read_b128 v[3:6], v29 offset:112
	ds_read_b128 v[7:10], v29 offset:2160
	v_add_f64 v[61:62], v[61:62], v[87:88]
	v_add_f64 v[63:64], v[93:94], v[63:64]
	s_waitcnt lgkmcnt(4)
	v_mul_f64 v[89:90], v[35:36], v[39:40]
	v_mul_f64 v[25:26], v[33:34], v[39:40]
	ds_read_b128 v[15:18], v28 offset:3584
	ds_read_b128 v[19:22], v28 offset:3840
	v_add_f64 v[49:50], v[67:68], v[49:50]
	s_waitcnt lgkmcnt(5)
	v_mul_f64 v[91:92], v[35:36], v[43:44]
	v_mul_f64 v[95:96], v[33:34], v[43:44]
	s_waitcnt lgkmcnt(4)
	v_mul_f64 v[97:98], v[47:48], v[39:40]
	v_mul_f64 v[39:40], v[45:46], v[39:40]
	v_add_f64 v[57:58], v[57:58], v[105:106]
	v_add_f64 v[65:66], v[109:110], v[65:66]
	v_add_f64 v[51:52], v[51:52], v[53:54]
	v_mul_f64 v[53:54], v[47:48], v[43:44]
	v_mul_f64 v[43:44], v[45:46], v[43:44]
	s_waitcnt lgkmcnt(0)
	s_barrier
	buffer_gl0_inv
	v_fma_f64 v[67:68], v[33:34], v[37:38], -v[89:90]
	v_fma_f64 v[25:26], v[35:36], v[37:38], v[25:26]
	v_add_f64 v[49:50], v[49:50], v[83:84]
	v_fma_f64 v[33:34], v[33:34], v[41:42], -v[91:92]
	v_fma_f64 v[35:36], v[35:36], v[41:42], v[95:96]
	v_fma_f64 v[77:78], v[45:46], v[37:38], -v[97:98]
	v_fma_f64 v[37:38], v[47:48], v[37:38], v[39:40]
	v_add_f64 v[39:40], v[55:56], v[69:70]
	v_add_f64 v[55:56], v[71:72], v[59:60]
	;; [unrolled: 1-line block ×7, first 2 shown]
	v_fma_f64 v[45:46], v[45:46], v[41:42], -v[53:54]
	v_fma_f64 v[41:42], v[47:48], v[41:42], v[43:44]
	v_mul_f64 v[43:44], v[5:6], v[17:18]
	v_mul_f64 v[47:48], v[3:4], v[17:18]
	;; [unrolled: 1-line block ×8, first 2 shown]
	v_add_f64 v[39:40], v[39:40], v[67:68]
	v_add_f64 v[25:26], v[25:26], v[55:56]
	;; [unrolled: 1-line block ×8, first 2 shown]
	v_fma_f64 v[23:24], v[3:4], v[15:16], -v[43:44]
	v_fma_f64 v[43:44], v[5:6], v[15:16], v[47:48]
	v_fma_f64 v[3:4], v[3:4], v[19:20], -v[51:52]
	v_fma_f64 v[5:6], v[5:6], v[19:20], v[53:54]
	;; [unrolled: 2-line block ×4, first 2 shown]
	v_add_f64 v[23:24], v[39:40], v[23:24]
	v_add_f64 v[25:26], v[43:44], v[25:26]
	;; [unrolled: 1-line block ×8, first 2 shown]
	s_cbranch_scc0 .LBB141_13
.LBB141_7:                              ; =>This Inner Loop Header: Depth=1
	v_add_nc_u32_e32 v3, s10, v30
	v_mov_b32_e32 v5, 0
	v_mov_b32_e32 v6, 0
	v_cmp_gt_i32_e64 s0, s3, v3
	v_mov_b32_e32 v3, 0
	v_mov_b32_e32 v4, 0
	s_and_b32 s11, vcc_lo, s0
	s_and_saveexec_b32 s0, s11
	s_cbranch_execz .LBB141_9
; %bb.8:                                ;   in Loop: Header=BB141_7 Depth=1
	global_load_dwordx4 v[3:6], v[11:12], off offset:-8
	s_waitcnt vmcnt(0)
	v_xor_b32_e32 v6, 0x80000000, v6
.LBB141_9:                              ;   in Loop: Header=BB141_7 Depth=1
	s_or_b32 exec_lo, exec_lo, s0
	v_add_nc_u32_e32 v33, s10, v27
	ds_write_b128 v31, v[3:6]
	v_cmp_le_i32_e64 s0, s3, v33
	s_or_b32 s0, s0, s1
	s_and_saveexec_b32 s11, s0
	s_xor_b32 s0, exec_lo, s11
	s_cbranch_execz .LBB141_11
; %bb.10:                               ;   in Loop: Header=BB141_7 Depth=1
	v_mov_b32_e32 v3, v2
	v_mov_b32_e32 v4, v2
	;; [unrolled: 1-line block ×3, first 2 shown]
	ds_write_b128 v32, v[2:5]
.LBB141_11:                             ;   in Loop: Header=BB141_7 Depth=1
	s_andn2_saveexec_b32 s0, s0
	s_cbranch_execz .LBB141_6
; %bb.12:                               ;   in Loop: Header=BB141_7 Depth=1
	global_load_dwordx4 v[3:6], v[13:14], off
	s_waitcnt vmcnt(0)
	ds_write2_b64 v32, v[3:4], v[5:6] offset1:1
	s_branch .LBB141_6
.LBB141_13:
	s_clause 0x1
	s_load_dword s3, s[4:5], 0x60
	s_load_dwordx2 s[0:1], s[4:5], 0x68
	v_add_nc_u32_e32 v27, s7, v1
	v_cmp_neq_f64_e64 s7, s[14:15], 0
	v_add_nc_u32_e32 v4, s6, v0
	v_cmp_le_i32_e32 vcc_lo, v27, v4
	v_ashrrev_i32_e32 v5, 31, v4
	s_waitcnt lgkmcnt(0)
	v_mad_i64_i32 v[0:1], null, v27, s3, 0
	s_mul_i32 s1, s1, s8
	s_mul_hi_u32 s5, s0, s8
	s_mul_i32 s4, s0, s8
	s_add_i32 s5, s5, s1
	v_cmp_gt_i32_e64 s0, s2, v4
	s_lshl_b64 s[4:5], s[4:5], 4
	v_lshlrev_b64 v[0:1], 4, v[0:1]
	s_add_u32 s4, s18, s4
	s_addc_u32 s5, s19, s5
	s_xor_b32 s6, s9, -1
	s_or_b32 s6, s7, s6
	v_add_co_u32 v13, s1, s4, v0
	v_add_co_ci_u32_e64 v14, null, s5, v1, s1
	v_cndmask_b32_e64 v6, 0, 1, s6
	s_and_b32 s7, vcc_lo, s0
	s_and_saveexec_b32 s1, s7
	s_cbranch_execz .LBB141_17
; %bb.14:
	v_mul_f64 v[0:1], s[22:23], v[25:26]
	v_mul_f64 v[2:3], s[20:21], v[25:26]
	v_lshlrev_b64 v[11:12], 4, v[4:5]
	v_add_co_u32 v11, vcc_lo, v13, v11
	v_add_co_ci_u32_e64 v12, null, v14, v12, vcc_lo
	s_andn2_b32 vcc_lo, exec_lo, s6
	v_fma_f64 v[0:1], s[20:21], v[23:24], -v[0:1]
	v_fma_f64 v[2:3], s[22:23], v[23:24], v[2:3]
	s_cbranch_vccnz .LBB141_16
; %bb.15:
	global_load_dwordx4 v[23:26], v[11:12], off
	s_waitcnt vmcnt(0)
	v_mul_f64 v[28:29], s[16:17], v[25:26]
	v_mul_f64 v[25:26], s[14:15], v[25:26]
	v_fma_f64 v[28:29], s[14:15], v[23:24], -v[28:29]
	v_fma_f64 v[23:24], s[16:17], v[23:24], v[25:26]
	v_add_f64 v[0:1], v[0:1], v[28:29]
	v_add_f64 v[2:3], v[2:3], v[23:24]
.LBB141_16:
	global_store_dwordx4 v[11:12], v[0:3], off
.LBB141_17:
	s_or_b32 exec_lo, exec_lo, s1
	v_add_nc_u32_e32 v11, 16, v4
	v_cmp_le_i32_e32 vcc_lo, v27, v11
	v_cmp_gt_i32_e64 s1, s2, v11
	v_ashrrev_i32_e32 v12, 31, v11
	s_and_b32 s2, vcc_lo, s1
	s_and_saveexec_b32 s6, s2
	s_cbranch_execz .LBB141_21
; %bb.18:
	v_mul_f64 v[0:1], s[22:23], v[21:22]
	v_mul_f64 v[2:3], s[20:21], v[21:22]
	v_cmp_ne_u32_e32 vcc_lo, 1, v6
	s_and_b32 vcc_lo, exec_lo, vcc_lo
	v_fma_f64 v[0:1], s[20:21], v[19:20], -v[0:1]
	v_fma_f64 v[2:3], s[22:23], v[19:20], v[2:3]
	v_lshlrev_b64 v[19:20], 4, v[11:12]
	v_add_co_u32 v13, s2, v13, v19
	v_add_co_ci_u32_e64 v14, null, v14, v20, s2
	s_cbranch_vccnz .LBB141_20
; %bb.19:
	global_load_dwordx4 v[19:22], v[13:14], off
	s_waitcnt vmcnt(0)
	v_mul_f64 v[23:24], s[16:17], v[21:22]
	v_mul_f64 v[21:22], s[14:15], v[21:22]
	v_fma_f64 v[23:24], s[14:15], v[19:20], -v[23:24]
	v_fma_f64 v[19:20], s[16:17], v[19:20], v[21:22]
	v_add_f64 v[0:1], v[0:1], v[23:24]
	v_add_f64 v[2:3], v[2:3], v[19:20]
.LBB141_20:
	global_store_dwordx4 v[13:14], v[0:3], off
.LBB141_21:
	s_or_b32 exec_lo, exec_lo, s6
	v_add_nc_u32_e32 v19, 16, v27
	v_mad_i64_i32 v[0:1], null, v19, s3, 0
	v_cmp_le_i32_e32 vcc_lo, v19, v4
	s_and_b32 s0, vcc_lo, s0
	v_lshlrev_b64 v[0:1], 4, v[0:1]
	v_add_co_u32 v13, s2, s4, v0
	v_add_co_ci_u32_e64 v14, null, s5, v1, s2
	s_and_saveexec_b32 s2, s0
	s_cbranch_execz .LBB141_25
; %bb.22:
	v_mul_f64 v[0:1], s[22:23], v[17:18]
	v_mul_f64 v[2:3], s[20:21], v[17:18]
	v_lshlrev_b64 v[4:5], 4, v[4:5]
	v_cmp_ne_u32_e32 vcc_lo, 1, v6
	s_and_b32 vcc_lo, exec_lo, vcc_lo
	v_add_co_u32 v4, s0, v13, v4
	v_add_co_ci_u32_e64 v5, null, v14, v5, s0
	v_fma_f64 v[0:1], s[20:21], v[15:16], -v[0:1]
	v_fma_f64 v[2:3], s[22:23], v[15:16], v[2:3]
	s_cbranch_vccnz .LBB141_24
; %bb.23:
	global_load_dwordx4 v[15:18], v[4:5], off
	s_waitcnt vmcnt(0)
	v_mul_f64 v[20:21], s[16:17], v[17:18]
	v_mul_f64 v[17:18], s[14:15], v[17:18]
	v_fma_f64 v[20:21], s[14:15], v[15:16], -v[20:21]
	v_fma_f64 v[15:16], s[16:17], v[15:16], v[17:18]
	v_add_f64 v[0:1], v[0:1], v[20:21]
	v_add_f64 v[2:3], v[2:3], v[15:16]
.LBB141_24:
	global_store_dwordx4 v[4:5], v[0:3], off
.LBB141_25:
	s_or_b32 exec_lo, exec_lo, s2
	v_cmp_le_i32_e32 vcc_lo, v19, v11
	s_and_b32 s0, vcc_lo, s1
	s_and_saveexec_b32 s1, s0
	s_cbranch_execz .LBB141_30
; %bb.26:
	v_mul_f64 v[0:1], s[22:23], v[7:8]
	v_mul_f64 v[2:3], s[20:21], v[7:8]
	v_lshlrev_b64 v[4:5], 4, v[11:12]
	v_cmp_ne_u32_e32 vcc_lo, 1, v6
	s_and_b32 vcc_lo, exec_lo, vcc_lo
	v_add_co_u32 v4, s0, v13, v4
	v_add_co_ci_u32_e64 v5, null, v14, v5, s0
	v_fma_f64 v[0:1], s[20:21], v[9:10], -v[0:1]
	v_fma_f64 v[2:3], s[22:23], v[9:10], v[2:3]
	s_cbranch_vccnz .LBB141_28
; %bb.27:
	global_load_dwordx4 v[6:9], v[4:5], off
	s_waitcnt vmcnt(0)
	v_mul_f64 v[10:11], s[16:17], v[8:9]
	v_mul_f64 v[8:9], s[14:15], v[8:9]
	v_fma_f64 v[10:11], s[14:15], v[6:7], -v[10:11]
	v_fma_f64 v[6:7], s[16:17], v[6:7], v[8:9]
	v_add_f64 v[0:1], v[0:1], v[10:11]
	v_add_f64 v[2:3], v[2:3], v[6:7]
.LBB141_28:
	global_store_dwordx4 v[4:5], v[0:3], off
	s_endpgm
.LBB141_29:
.LBB141_30:
	s_endpgm
	.section	.rodata,"a",@progbits
	.p2align	6, 0x0
	.amdhsa_kernel _ZL29rocblas_internal_gemmt_kernelIiLi16ELi32ELi8ELc67ELc78ELc76ELb1ELb0E19rocblas_complex_numIdES1_PKS1_PS1_EviT_T9_T10_S5_lS7_S5_lS6_T11_S5_li
		.amdhsa_group_segment_fixed_size 8192
		.amdhsa_private_segment_fixed_size 0
		.amdhsa_kernarg_size 116
		.amdhsa_user_sgpr_count 6
		.amdhsa_user_sgpr_private_segment_buffer 1
		.amdhsa_user_sgpr_dispatch_ptr 0
		.amdhsa_user_sgpr_queue_ptr 0
		.amdhsa_user_sgpr_kernarg_segment_ptr 1
		.amdhsa_user_sgpr_dispatch_id 0
		.amdhsa_user_sgpr_flat_scratch_init 0
		.amdhsa_user_sgpr_private_segment_size 0
		.amdhsa_wavefront_size32 1
		.amdhsa_uses_dynamic_stack 0
		.amdhsa_system_sgpr_private_segment_wavefront_offset 0
		.amdhsa_system_sgpr_workgroup_id_x 1
		.amdhsa_system_sgpr_workgroup_id_y 1
		.amdhsa_system_sgpr_workgroup_id_z 1
		.amdhsa_system_sgpr_workgroup_info 0
		.amdhsa_system_vgpr_workitem_id 1
		.amdhsa_next_free_vgpr 127
		.amdhsa_next_free_sgpr 30
		.amdhsa_reserve_vcc 1
		.amdhsa_reserve_flat_scratch 0
		.amdhsa_float_round_mode_32 0
		.amdhsa_float_round_mode_16_64 0
		.amdhsa_float_denorm_mode_32 3
		.amdhsa_float_denorm_mode_16_64 3
		.amdhsa_dx10_clamp 1
		.amdhsa_ieee_mode 1
		.amdhsa_fp16_overflow 0
		.amdhsa_workgroup_processor_mode 1
		.amdhsa_memory_ordered 1
		.amdhsa_forward_progress 1
		.amdhsa_shared_vgpr_count 0
		.amdhsa_exception_fp_ieee_invalid_op 0
		.amdhsa_exception_fp_denorm_src 0
		.amdhsa_exception_fp_ieee_div_zero 0
		.amdhsa_exception_fp_ieee_overflow 0
		.amdhsa_exception_fp_ieee_underflow 0
		.amdhsa_exception_fp_ieee_inexact 0
		.amdhsa_exception_int_div_zero 0
	.end_amdhsa_kernel
	.section	.text._ZL29rocblas_internal_gemmt_kernelIiLi16ELi32ELi8ELc67ELc78ELc76ELb1ELb0E19rocblas_complex_numIdES1_PKS1_PS1_EviT_T9_T10_S5_lS7_S5_lS6_T11_S5_li,"axG",@progbits,_ZL29rocblas_internal_gemmt_kernelIiLi16ELi32ELi8ELc67ELc78ELc76ELb1ELb0E19rocblas_complex_numIdES1_PKS1_PS1_EviT_T9_T10_S5_lS7_S5_lS6_T11_S5_li,comdat
.Lfunc_end141:
	.size	_ZL29rocblas_internal_gemmt_kernelIiLi16ELi32ELi8ELc67ELc78ELc76ELb1ELb0E19rocblas_complex_numIdES1_PKS1_PS1_EviT_T9_T10_S5_lS7_S5_lS6_T11_S5_li, .Lfunc_end141-_ZL29rocblas_internal_gemmt_kernelIiLi16ELi32ELi8ELc67ELc78ELc76ELb1ELb0E19rocblas_complex_numIdES1_PKS1_PS1_EviT_T9_T10_S5_lS7_S5_lS6_T11_S5_li
                                        ; -- End function
	.set _ZL29rocblas_internal_gemmt_kernelIiLi16ELi32ELi8ELc67ELc78ELc76ELb1ELb0E19rocblas_complex_numIdES1_PKS1_PS1_EviT_T9_T10_S5_lS7_S5_lS6_T11_S5_li.num_vgpr, 127
	.set _ZL29rocblas_internal_gemmt_kernelIiLi16ELi32ELi8ELc67ELc78ELc76ELb1ELb0E19rocblas_complex_numIdES1_PKS1_PS1_EviT_T9_T10_S5_lS7_S5_lS6_T11_S5_li.num_agpr, 0
	.set _ZL29rocblas_internal_gemmt_kernelIiLi16ELi32ELi8ELc67ELc78ELc76ELb1ELb0E19rocblas_complex_numIdES1_PKS1_PS1_EviT_T9_T10_S5_lS7_S5_lS6_T11_S5_li.numbered_sgpr, 30
	.set _ZL29rocblas_internal_gemmt_kernelIiLi16ELi32ELi8ELc67ELc78ELc76ELb1ELb0E19rocblas_complex_numIdES1_PKS1_PS1_EviT_T9_T10_S5_lS7_S5_lS6_T11_S5_li.num_named_barrier, 0
	.set _ZL29rocblas_internal_gemmt_kernelIiLi16ELi32ELi8ELc67ELc78ELc76ELb1ELb0E19rocblas_complex_numIdES1_PKS1_PS1_EviT_T9_T10_S5_lS7_S5_lS6_T11_S5_li.private_seg_size, 0
	.set _ZL29rocblas_internal_gemmt_kernelIiLi16ELi32ELi8ELc67ELc78ELc76ELb1ELb0E19rocblas_complex_numIdES1_PKS1_PS1_EviT_T9_T10_S5_lS7_S5_lS6_T11_S5_li.uses_vcc, 1
	.set _ZL29rocblas_internal_gemmt_kernelIiLi16ELi32ELi8ELc67ELc78ELc76ELb1ELb0E19rocblas_complex_numIdES1_PKS1_PS1_EviT_T9_T10_S5_lS7_S5_lS6_T11_S5_li.uses_flat_scratch, 0
	.set _ZL29rocblas_internal_gemmt_kernelIiLi16ELi32ELi8ELc67ELc78ELc76ELb1ELb0E19rocblas_complex_numIdES1_PKS1_PS1_EviT_T9_T10_S5_lS7_S5_lS6_T11_S5_li.has_dyn_sized_stack, 0
	.set _ZL29rocblas_internal_gemmt_kernelIiLi16ELi32ELi8ELc67ELc78ELc76ELb1ELb0E19rocblas_complex_numIdES1_PKS1_PS1_EviT_T9_T10_S5_lS7_S5_lS6_T11_S5_li.has_recursion, 0
	.set _ZL29rocblas_internal_gemmt_kernelIiLi16ELi32ELi8ELc67ELc78ELc76ELb1ELb0E19rocblas_complex_numIdES1_PKS1_PS1_EviT_T9_T10_S5_lS7_S5_lS6_T11_S5_li.has_indirect_call, 0
	.section	.AMDGPU.csdata,"",@progbits
; Kernel info:
; codeLenInByte = 3528
; TotalNumSgprs: 32
; NumVgprs: 127
; ScratchSize: 0
; MemoryBound: 1
; FloatMode: 240
; IeeeMode: 1
; LDSByteSize: 8192 bytes/workgroup (compile time only)
; SGPRBlocks: 0
; VGPRBlocks: 15
; NumSGPRsForWavesPerEU: 32
; NumVGPRsForWavesPerEU: 127
; Occupancy: 8
; WaveLimiterHint : 0
; COMPUTE_PGM_RSRC2:SCRATCH_EN: 0
; COMPUTE_PGM_RSRC2:USER_SGPR: 6
; COMPUTE_PGM_RSRC2:TRAP_HANDLER: 0
; COMPUTE_PGM_RSRC2:TGID_X_EN: 1
; COMPUTE_PGM_RSRC2:TGID_Y_EN: 1
; COMPUTE_PGM_RSRC2:TGID_Z_EN: 1
; COMPUTE_PGM_RSRC2:TIDIG_COMP_CNT: 1
	.section	.text._ZL29rocblas_internal_gemmt_kernelIiLi16ELi32ELi8ELc67ELc84ELc76ELb1ELb0E19rocblas_complex_numIdES1_PKS1_PS1_EviT_T9_T10_S5_lS7_S5_lS6_T11_S5_li,"axG",@progbits,_ZL29rocblas_internal_gemmt_kernelIiLi16ELi32ELi8ELc67ELc84ELc76ELb1ELb0E19rocblas_complex_numIdES1_PKS1_PS1_EviT_T9_T10_S5_lS7_S5_lS6_T11_S5_li,comdat
	.globl	_ZL29rocblas_internal_gemmt_kernelIiLi16ELi32ELi8ELc67ELc84ELc76ELb1ELb0E19rocblas_complex_numIdES1_PKS1_PS1_EviT_T9_T10_S5_lS7_S5_lS6_T11_S5_li ; -- Begin function _ZL29rocblas_internal_gemmt_kernelIiLi16ELi32ELi8ELc67ELc84ELc76ELb1ELb0E19rocblas_complex_numIdES1_PKS1_PS1_EviT_T9_T10_S5_lS7_S5_lS6_T11_S5_li
	.p2align	8
	.type	_ZL29rocblas_internal_gemmt_kernelIiLi16ELi32ELi8ELc67ELc84ELc76ELb1ELb0E19rocblas_complex_numIdES1_PKS1_PS1_EviT_T9_T10_S5_lS7_S5_lS6_T11_S5_li,@function
_ZL29rocblas_internal_gemmt_kernelIiLi16ELi32ELi8ELc67ELc84ELc76ELb1ELb0E19rocblas_complex_numIdES1_PKS1_PS1_EviT_T9_T10_S5_lS7_S5_lS6_T11_S5_li: ; @_ZL29rocblas_internal_gemmt_kernelIiLi16ELi32ELi8ELc67ELc84ELc76ELb1ELb0E19rocblas_complex_numIdES1_PKS1_PS1_EviT_T9_T10_S5_lS7_S5_lS6_T11_S5_li
; %bb.0:
	s_clause 0x2
	s_load_dwordx8 s[12:19], s[4:5], 0x40
	s_load_dwordx2 s[2:3], s[4:5], 0x0
	s_load_dwordx4 s[20:23], s[4:5], 0x8
	s_waitcnt lgkmcnt(0)
	v_cmp_eq_f64_e64 s0, s[14:15], 1.0
	v_cmp_eq_f64_e64 s9, s[16:17], 0
	s_and_b32 s0, s0, s9
	s_andn2_b32 vcc_lo, exec_lo, s0
	s_mov_b32 s0, -1
	s_cbranch_vccnz .LBB142_3
; %bb.1:
	s_cmp_lg_u32 s3, 0
	s_cbranch_scc0 .LBB142_29
; %bb.2:
	v_cmp_neq_f64_e64 s0, s[20:21], 0
	v_cmp_neq_f64_e64 s1, s[22:23], 0
	s_or_b32 s0, s0, s1
.LBB142_3:
	s_and_b32 vcc_lo, exec_lo, s0
	s_cbranch_vccz .LBB142_30
; %bb.4:
	v_cmp_eq_f64_e64 s0, s[20:21], 0
	v_cmp_eq_f64_e64 s1, s[22:23], 0
	s_lshl_b32 s10, s6, 5
	s_lshl_b32 s11, s7, 5
	v_mov_b32_e32 v23, 0
	v_mov_b32_e32 v25, 0
	;; [unrolled: 1-line block ×16, first 2 shown]
	s_mov_b32 s28, 0
	s_and_b32 s0, s0, s1
	s_cmp_lt_i32 s3, 1
	s_cselect_b32 s1, -1, 0
	s_or_b32 s0, s0, s1
	s_and_b32 vcc_lo, exec_lo, s0
	s_cbranch_vccnz .LBB142_13
; %bb.5:
	s_clause 0x1
	s_load_dword s0, s[4:5], 0x20
	s_load_dwordx2 s[30:31], s[4:5], 0x18
	v_lshl_add_u32 v2, v1, 4, v0
	s_clause 0x1
	s_load_dwordx4 s[24:27], s[4:5], 0x28
	s_load_dword s6, s[4:5], 0x38
	v_and_b32_e32 v27, 7, v0
	v_mov_b32_e32 v17, 0
	v_mov_b32_e32 v15, 0
	v_and_b32_e32 v3, 31, v2
	v_lshrrev_b32_e32 v4, 3, v2
	v_lshlrev_b32_e32 v5, 4, v27
	v_lshrrev_b32_e32 v30, 5, v2
	v_mov_b32_e32 v21, 0
	v_or_b32_e32 v6, s10, v3
	v_lshlrev_b32_e32 v7, 4, v3
	v_add_nc_u32_e32 v3, s10, v3
	v_add_nc_u32_e32 v2, s11, v4
	v_lshl_or_b32 v8, v4, 7, v5
	v_cmp_gt_i32_e32 vcc_lo, s2, v6
	v_lshl_or_b32 v31, v30, 9, v7
	v_lshlrev_b32_e32 v10, 4, v30
	s_waitcnt lgkmcnt(0)
	v_mad_i64_i32 v[4:5], null, s0, v3, 0
	s_mul_i32 s1, s25, s8
	s_mul_hi_u32 s25, s24, s8
	v_mad_i64_i32 v[6:7], null, s6, v27, 0
	s_mul_i32 s24, s24, s8
	s_add_i32 s25, s25, s1
	v_lshlrev_b64 v[4:5], 4, v[4:5]
	s_lshl_b64 s[24:25], s[24:25], 4
	v_add_nc_u32_e32 v32, 0x1000, v8
	v_ashrrev_i32_e32 v3, 31, v2
	v_cmp_gt_i32_e64 s0, s2, v2
	v_mov_b32_e32 v19, 0
	v_add_co_u32 v8, s1, v4, s24
	v_add_co_ci_u32_e64 v9, null, s25, v5, s1
	s_mul_i32 s1, s13, s8
	s_mul_hi_u32 s13, s12, s8
	v_lshlrev_b64 v[4:5], 4, v[6:7]
	s_add_i32 s13, s13, s1
	s_mul_i32 s12, s12, s8
	v_add_co_u32 v6, s1, v8, v10
	s_lshl_b64 s[12:13], s[12:13], 4
	v_lshlrev_b64 v[2:3], 4, v[2:3]
	v_add_co_ci_u32_e64 v7, null, 0, v9, s1
	v_add_co_u32 v4, s1, s12, v4
	v_add_co_ci_u32_e64 v5, null, s13, v5, s1
	v_add_co_u32 v6, s1, s30, v6
	;; [unrolled: 2-line block ×5, first 2 shown]
	v_mov_b32_e32 v7, 0
	v_mov_b32_e32 v9, 0
	;; [unrolled: 1-line block ×4, first 2 shown]
	v_lshlrev_b32_e32 v28, 4, v0
	v_lshl_add_u32 v29, v1, 7, 0x1000
	v_add_co_ci_u32_e64 v14, null, s27, v3, s1
	v_mov_b32_e32 v8, 0
	v_mov_b32_e32 v10, 0
	;; [unrolled: 1-line block ×9, first 2 shown]
	s_ashr_i32 s7, s6, 31
	s_xor_b32 s1, s0, -1
	s_lshl_b64 s[6:7], s[6:7], 7
	s_branch .LBB142_7
.LBB142_6:                              ;   in Loop: Header=BB142_7 Depth=1
	s_or_b32 exec_lo, exec_lo, s0
	s_waitcnt lgkmcnt(0)
	s_barrier
	buffer_gl0_inv
	ds_read_b128 v[3:6], v29
	ds_read_b128 v[33:36], v28
	ds_read_b128 v[37:40], v28 offset:256
	ds_read_b128 v[41:44], v29 offset:2048
	;; [unrolled: 1-line block ×12, first 2 shown]
	v_add_co_u32 v11, s0, 0x80, v11
	v_add_co_ci_u32_e64 v12, null, 0, v12, s0
	v_add_co_u32 v13, s0, v13, s6
	v_add_co_ci_u32_e64 v14, null, s7, v14, s0
	s_waitcnt lgkmcnt(12)
	v_mul_f64 v[85:86], v[5:6], v[35:36]
	v_mul_f64 v[87:88], v[3:4], v[35:36]
	s_waitcnt lgkmcnt(11)
	v_mul_f64 v[89:90], v[5:6], v[39:40]
	v_mul_f64 v[91:92], v[3:4], v[39:40]
	;; [unrolled: 3-line block ×3, first 2 shown]
	v_mul_f64 v[95:96], v[43:44], v[39:40]
	v_mul_f64 v[39:40], v[41:42], v[39:40]
	s_waitcnt lgkmcnt(8)
	v_mul_f64 v[97:98], v[47:48], v[51:52]
	v_mul_f64 v[99:100], v[45:46], v[51:52]
	s_waitcnt lgkmcnt(7)
	;; [unrolled: 3-line block ×3, first 2 shown]
	v_mul_f64 v[105:106], v[59:60], v[51:52]
	v_mul_f64 v[51:52], v[57:58], v[51:52]
	;; [unrolled: 1-line block ×4, first 2 shown]
	s_waitcnt lgkmcnt(4)
	v_mul_f64 v[109:110], v[63:64], v[67:68]
	v_mul_f64 v[111:112], v[61:62], v[67:68]
	s_waitcnt lgkmcnt(3)
	v_mul_f64 v[113:114], v[63:64], v[71:72]
	v_mul_f64 v[115:116], v[61:62], v[71:72]
	;; [unrolled: 3-line block ×3, first 2 shown]
	v_fma_f64 v[85:86], v[3:4], v[33:34], -v[85:86]
	v_fma_f64 v[87:88], v[5:6], v[33:34], v[87:88]
	v_fma_f64 v[89:90], v[3:4], v[37:38], -v[89:90]
	v_fma_f64 v[91:92], v[5:6], v[37:38], v[91:92]
	;; [unrolled: 2-line block ×4, first 2 shown]
	v_mul_f64 v[123:124], v[75:76], v[71:72]
	v_mul_f64 v[71:72], v[73:74], v[71:72]
	v_fma_f64 v[97:98], v[45:46], v[49:50], -v[97:98]
	v_fma_f64 v[99:100], v[47:48], v[49:50], v[99:100]
	v_fma_f64 v[101:102], v[45:46], v[53:54], -v[101:102]
	v_fma_f64 v[103:104], v[47:48], v[53:54], v[103:104]
	;; [unrolled: 2-line block ×7, first 2 shown]
	v_add_f64 v[23:24], v[23:24], v[85:86]
	v_add_f64 v[25:26], v[87:88], v[25:26]
	;; [unrolled: 1-line block ×6, first 2 shown]
	v_fma_f64 v[73:74], v[73:74], v[69:70], -v[123:124]
	v_fma_f64 v[69:70], v[75:76], v[69:70], v[71:72]
	v_add_f64 v[71:72], v[15:16], v[93:94]
	v_add_f64 v[75:76], v[119:120], v[17:18]
	ds_read_b128 v[3:6], v28 offset:1536
	ds_read_b128 v[33:36], v28 offset:1792
	;; [unrolled: 1-line block ×7, first 2 shown]
	s_add_i32 s28, s28, 8
	s_cmp_lt_i32 s28, s3
	v_add_f64 v[97:98], v[23:24], v[97:98]
	v_add_f64 v[99:100], v[99:100], v[25:26]
	;; [unrolled: 1-line block ×6, first 2 shown]
	ds_read_b128 v[19:22], v28 offset:2560
	ds_read_b128 v[23:26], v28 offset:2816
	s_waitcnt lgkmcnt(8)
	v_mul_f64 v[109:110], v[79:80], v[5:6]
	v_mul_f64 v[111:112], v[77:78], v[5:6]
	s_waitcnt lgkmcnt(7)
	v_mul_f64 v[67:68], v[79:80], v[35:36]
	v_mul_f64 v[113:114], v[77:78], v[35:36]
	;; [unrolled: 1-line block ×6, first 2 shown]
	s_waitcnt lgkmcnt(4)
	v_mul_f64 v[95:96], v[39:40], v[47:48]
	v_add_f64 v[71:72], v[71:72], v[105:106]
	v_add_f64 v[75:76], v[125:126], v[75:76]
	v_mul_f64 v[93:94], v[37:38], v[43:44]
	ds_read_b128 v[5:8], v29 offset:80
	v_add_f64 v[55:56], v[97:98], v[55:56]
	v_add_f64 v[59:60], v[59:60], v[99:100]
	;; [unrolled: 1-line block ×6, first 2 shown]
	s_waitcnt lgkmcnt(2)
	v_mul_f64 v[99:100], v[17:18], v[21:22]
	s_waitcnt lgkmcnt(1)
	v_mul_f64 v[101:102], v[17:18], v[25:26]
	v_fma_f64 v[89:90], v[77:78], v[3:4], -v[109:110]
	v_fma_f64 v[91:92], v[79:80], v[3:4], v[111:112]
	v_fma_f64 v[67:68], v[77:78], v[33:34], -v[67:68]
	v_mul_f64 v[77:78], v[39:40], v[43:44]
	v_mul_f64 v[109:110], v[37:38], v[47:48]
	v_fma_f64 v[79:80], v[79:80], v[33:34], v[113:114]
	v_mul_f64 v[111:112], v[51:52], v[43:44]
	v_mul_f64 v[43:44], v[49:50], v[43:44]
	v_fma_f64 v[57:58], v[81:82], v[3:4], -v[115:116]
	v_fma_f64 v[3:4], v[83:84], v[3:4], v[117:118]
	v_fma_f64 v[81:82], v[81:82], v[33:34], -v[87:88]
	v_fma_f64 v[83:84], v[83:84], v[33:34], v[35:36]
	v_fma_f64 v[87:88], v[37:38], v[45:46], -v[95:96]
	v_mul_f64 v[95:96], v[51:52], v[47:48]
	v_mul_f64 v[47:48], v[49:50], v[47:48]
	v_add_f64 v[71:72], v[71:72], v[107:108]
	v_add_f64 v[65:66], v[65:66], v[75:76]
	v_fma_f64 v[85:86], v[39:40], v[41:42], v[93:94]
	s_waitcnt lgkmcnt(0)
	v_mul_f64 v[69:70], v[7:8], v[21:22]
	v_mul_f64 v[73:74], v[5:6], v[21:22]
	;; [unrolled: 1-line block ×6, first 2 shown]
	v_add_f64 v[55:56], v[55:56], v[89:90]
	v_fma_f64 v[77:78], v[37:38], v[41:42], -v[77:78]
	v_fma_f64 v[93:94], v[39:40], v[45:46], v[109:110]
	v_add_f64 v[59:60], v[91:92], v[59:60]
	v_fma_f64 v[105:106], v[49:50], v[41:42], -v[111:112]
	v_fma_f64 v[109:110], v[51:52], v[41:42], v[43:44]
	v_add_f64 v[61:62], v[61:62], v[67:68]
	v_add_f64 v[63:64], v[79:80], v[63:64]
	;; [unrolled: 1-line block ×4, first 2 shown]
	ds_read_b128 v[33:36], v29 offset:96
	ds_read_b128 v[37:40], v28 offset:3072
	v_fma_f64 v[49:50], v[49:50], v[45:46], -v[95:96]
	v_fma_f64 v[51:52], v[51:52], v[45:46], v[47:48]
	v_add_f64 v[57:58], v[71:72], v[57:58]
	v_add_f64 v[65:66], v[3:4], v[65:66]
	ds_read_b128 v[41:44], v28 offset:3328
	ds_read_b128 v[45:48], v29 offset:2144
	v_fma_f64 v[69:70], v[5:6], v[19:20], -v[69:70]
	v_fma_f64 v[71:72], v[7:8], v[19:20], v[73:74]
	v_fma_f64 v[73:74], v[5:6], v[23:24], -v[75:76]
	v_fma_f64 v[75:76], v[7:8], v[23:24], v[97:98]
	;; [unrolled: 2-line block ×4, first 2 shown]
	v_add_f64 v[55:56], v[55:56], v[77:78]
	v_add_f64 v[59:60], v[85:86], v[59:60]
	ds_read_b128 v[3:6], v29 offset:112
	ds_read_b128 v[7:10], v29 offset:2160
	v_add_f64 v[61:62], v[61:62], v[87:88]
	v_add_f64 v[63:64], v[93:94], v[63:64]
	s_waitcnt lgkmcnt(4)
	v_mul_f64 v[89:90], v[35:36], v[39:40]
	v_mul_f64 v[25:26], v[33:34], v[39:40]
	ds_read_b128 v[15:18], v28 offset:3584
	ds_read_b128 v[19:22], v28 offset:3840
	v_add_f64 v[49:50], v[67:68], v[49:50]
	s_waitcnt lgkmcnt(5)
	v_mul_f64 v[91:92], v[35:36], v[43:44]
	v_mul_f64 v[95:96], v[33:34], v[43:44]
	s_waitcnt lgkmcnt(4)
	v_mul_f64 v[97:98], v[47:48], v[39:40]
	v_mul_f64 v[39:40], v[45:46], v[39:40]
	v_add_f64 v[57:58], v[57:58], v[105:106]
	v_add_f64 v[65:66], v[109:110], v[65:66]
	;; [unrolled: 1-line block ×3, first 2 shown]
	v_mul_f64 v[53:54], v[47:48], v[43:44]
	v_mul_f64 v[43:44], v[45:46], v[43:44]
	s_waitcnt lgkmcnt(0)
	s_barrier
	buffer_gl0_inv
	v_fma_f64 v[67:68], v[33:34], v[37:38], -v[89:90]
	v_fma_f64 v[25:26], v[35:36], v[37:38], v[25:26]
	v_add_f64 v[49:50], v[49:50], v[83:84]
	v_fma_f64 v[33:34], v[33:34], v[41:42], -v[91:92]
	v_fma_f64 v[35:36], v[35:36], v[41:42], v[95:96]
	v_fma_f64 v[77:78], v[45:46], v[37:38], -v[97:98]
	v_fma_f64 v[37:38], v[47:48], v[37:38], v[39:40]
	v_add_f64 v[39:40], v[55:56], v[69:70]
	v_add_f64 v[55:56], v[71:72], v[59:60]
	;; [unrolled: 1-line block ×7, first 2 shown]
	v_fma_f64 v[45:46], v[45:46], v[41:42], -v[53:54]
	v_fma_f64 v[41:42], v[47:48], v[41:42], v[43:44]
	v_mul_f64 v[43:44], v[5:6], v[17:18]
	v_mul_f64 v[47:48], v[3:4], v[17:18]
	;; [unrolled: 1-line block ×8, first 2 shown]
	v_add_f64 v[39:40], v[39:40], v[67:68]
	v_add_f64 v[25:26], v[25:26], v[55:56]
	;; [unrolled: 1-line block ×8, first 2 shown]
	v_fma_f64 v[23:24], v[3:4], v[15:16], -v[43:44]
	v_fma_f64 v[43:44], v[5:6], v[15:16], v[47:48]
	v_fma_f64 v[3:4], v[3:4], v[19:20], -v[51:52]
	v_fma_f64 v[5:6], v[5:6], v[19:20], v[53:54]
	;; [unrolled: 2-line block ×4, first 2 shown]
	v_add_f64 v[23:24], v[39:40], v[23:24]
	v_add_f64 v[25:26], v[43:44], v[25:26]
	;; [unrolled: 1-line block ×8, first 2 shown]
	s_cbranch_scc0 .LBB142_13
.LBB142_7:                              ; =>This Inner Loop Header: Depth=1
	v_add_nc_u32_e32 v3, s28, v30
	v_mov_b32_e32 v5, 0
	v_mov_b32_e32 v6, 0
	v_cmp_gt_i32_e64 s0, s3, v3
	v_mov_b32_e32 v3, 0
	v_mov_b32_e32 v4, 0
	s_and_b32 s12, vcc_lo, s0
	s_and_saveexec_b32 s0, s12
	s_cbranch_execz .LBB142_9
; %bb.8:                                ;   in Loop: Header=BB142_7 Depth=1
	global_load_dwordx4 v[3:6], v[11:12], off offset:-8
	s_waitcnt vmcnt(0)
	v_xor_b32_e32 v6, 0x80000000, v6
.LBB142_9:                              ;   in Loop: Header=BB142_7 Depth=1
	s_or_b32 exec_lo, exec_lo, s0
	v_add_nc_u32_e32 v33, s28, v27
	ds_write_b128 v31, v[3:6]
	v_cmp_le_i32_e64 s0, s3, v33
	s_or_b32 s0, s0, s1
	s_and_saveexec_b32 s12, s0
	s_xor_b32 s0, exec_lo, s12
	s_cbranch_execz .LBB142_11
; %bb.10:                               ;   in Loop: Header=BB142_7 Depth=1
	v_mov_b32_e32 v3, v2
	v_mov_b32_e32 v4, v2
	;; [unrolled: 1-line block ×3, first 2 shown]
	ds_write_b128 v32, v[2:5]
.LBB142_11:                             ;   in Loop: Header=BB142_7 Depth=1
	s_andn2_saveexec_b32 s0, s0
	s_cbranch_execz .LBB142_6
; %bb.12:                               ;   in Loop: Header=BB142_7 Depth=1
	global_load_dwordx4 v[3:6], v[13:14], off
	s_waitcnt vmcnt(0)
	ds_write2_b64 v32, v[3:4], v[5:6] offset1:1
	s_branch .LBB142_6
.LBB142_13:
	s_clause 0x1
	s_load_dword s3, s[4:5], 0x60
	s_load_dwordx2 s[0:1], s[4:5], 0x68
	v_cmp_neq_f64_e64 s6, s[14:15], 0
	v_add_nc_u32_e32 v27, s11, v1
	v_add_nc_u32_e32 v4, s10, v0
	v_cmp_le_i32_e32 vcc_lo, v27, v4
	v_ashrrev_i32_e32 v5, 31, v4
	s_waitcnt lgkmcnt(0)
	v_mad_i64_i32 v[0:1], null, v27, s3, 0
	s_mul_i32 s1, s1, s8
	s_mul_hi_u32 s5, s0, s8
	s_mul_i32 s4, s0, s8
	s_add_i32 s5, s5, s1
	v_cmp_gt_i32_e64 s0, s2, v4
	s_lshl_b64 s[4:5], s[4:5], 4
	v_lshlrev_b64 v[0:1], 4, v[0:1]
	s_add_u32 s4, s18, s4
	s_addc_u32 s5, s19, s5
	s_xor_b32 s7, s9, -1
	s_or_b32 s6, s6, s7
	v_add_co_u32 v13, s1, s4, v0
	v_add_co_ci_u32_e64 v14, null, s5, v1, s1
	v_cndmask_b32_e64 v6, 0, 1, s6
	s_and_b32 s7, vcc_lo, s0
	s_and_saveexec_b32 s1, s7
	s_cbranch_execz .LBB142_17
; %bb.14:
	v_mul_f64 v[0:1], s[22:23], v[25:26]
	v_mul_f64 v[2:3], s[20:21], v[25:26]
	v_lshlrev_b64 v[11:12], 4, v[4:5]
	v_add_co_u32 v11, vcc_lo, v13, v11
	v_add_co_ci_u32_e64 v12, null, v14, v12, vcc_lo
	s_andn2_b32 vcc_lo, exec_lo, s6
	v_fma_f64 v[0:1], s[20:21], v[23:24], -v[0:1]
	v_fma_f64 v[2:3], s[22:23], v[23:24], v[2:3]
	s_cbranch_vccnz .LBB142_16
; %bb.15:
	global_load_dwordx4 v[23:26], v[11:12], off
	s_waitcnt vmcnt(0)
	v_mul_f64 v[28:29], s[16:17], v[25:26]
	v_mul_f64 v[25:26], s[14:15], v[25:26]
	v_fma_f64 v[28:29], s[14:15], v[23:24], -v[28:29]
	v_fma_f64 v[23:24], s[16:17], v[23:24], v[25:26]
	v_add_f64 v[0:1], v[0:1], v[28:29]
	v_add_f64 v[2:3], v[2:3], v[23:24]
.LBB142_16:
	global_store_dwordx4 v[11:12], v[0:3], off
.LBB142_17:
	s_or_b32 exec_lo, exec_lo, s1
	v_add_nc_u32_e32 v11, 16, v4
	v_cmp_le_i32_e32 vcc_lo, v27, v11
	v_cmp_gt_i32_e64 s1, s2, v11
	v_ashrrev_i32_e32 v12, 31, v11
	s_and_b32 s2, vcc_lo, s1
	s_and_saveexec_b32 s6, s2
	s_cbranch_execz .LBB142_21
; %bb.18:
	v_mul_f64 v[0:1], s[22:23], v[21:22]
	v_mul_f64 v[2:3], s[20:21], v[21:22]
	v_cmp_ne_u32_e32 vcc_lo, 1, v6
	s_and_b32 vcc_lo, exec_lo, vcc_lo
	v_fma_f64 v[0:1], s[20:21], v[19:20], -v[0:1]
	v_fma_f64 v[2:3], s[22:23], v[19:20], v[2:3]
	v_lshlrev_b64 v[19:20], 4, v[11:12]
	v_add_co_u32 v13, s2, v13, v19
	v_add_co_ci_u32_e64 v14, null, v14, v20, s2
	s_cbranch_vccnz .LBB142_20
; %bb.19:
	global_load_dwordx4 v[19:22], v[13:14], off
	s_waitcnt vmcnt(0)
	v_mul_f64 v[23:24], s[16:17], v[21:22]
	v_mul_f64 v[21:22], s[14:15], v[21:22]
	v_fma_f64 v[23:24], s[14:15], v[19:20], -v[23:24]
	v_fma_f64 v[19:20], s[16:17], v[19:20], v[21:22]
	v_add_f64 v[0:1], v[0:1], v[23:24]
	v_add_f64 v[2:3], v[2:3], v[19:20]
.LBB142_20:
	global_store_dwordx4 v[13:14], v[0:3], off
.LBB142_21:
	s_or_b32 exec_lo, exec_lo, s6
	v_add_nc_u32_e32 v19, 16, v27
	v_mad_i64_i32 v[0:1], null, v19, s3, 0
	v_cmp_le_i32_e32 vcc_lo, v19, v4
	s_and_b32 s0, vcc_lo, s0
	v_lshlrev_b64 v[0:1], 4, v[0:1]
	v_add_co_u32 v13, s2, s4, v0
	v_add_co_ci_u32_e64 v14, null, s5, v1, s2
	s_and_saveexec_b32 s2, s0
	s_cbranch_execz .LBB142_25
; %bb.22:
	v_mul_f64 v[0:1], s[22:23], v[17:18]
	v_mul_f64 v[2:3], s[20:21], v[17:18]
	v_lshlrev_b64 v[4:5], 4, v[4:5]
	v_cmp_ne_u32_e32 vcc_lo, 1, v6
	s_and_b32 vcc_lo, exec_lo, vcc_lo
	v_add_co_u32 v4, s0, v13, v4
	v_add_co_ci_u32_e64 v5, null, v14, v5, s0
	v_fma_f64 v[0:1], s[20:21], v[15:16], -v[0:1]
	v_fma_f64 v[2:3], s[22:23], v[15:16], v[2:3]
	s_cbranch_vccnz .LBB142_24
; %bb.23:
	global_load_dwordx4 v[15:18], v[4:5], off
	s_waitcnt vmcnt(0)
	v_mul_f64 v[20:21], s[16:17], v[17:18]
	v_mul_f64 v[17:18], s[14:15], v[17:18]
	v_fma_f64 v[20:21], s[14:15], v[15:16], -v[20:21]
	v_fma_f64 v[15:16], s[16:17], v[15:16], v[17:18]
	v_add_f64 v[0:1], v[0:1], v[20:21]
	v_add_f64 v[2:3], v[2:3], v[15:16]
.LBB142_24:
	global_store_dwordx4 v[4:5], v[0:3], off
.LBB142_25:
	s_or_b32 exec_lo, exec_lo, s2
	v_cmp_le_i32_e32 vcc_lo, v19, v11
	s_and_b32 s0, vcc_lo, s1
	s_and_saveexec_b32 s1, s0
	s_cbranch_execz .LBB142_30
; %bb.26:
	v_mul_f64 v[0:1], s[22:23], v[7:8]
	v_mul_f64 v[2:3], s[20:21], v[7:8]
	v_lshlrev_b64 v[4:5], 4, v[11:12]
	v_cmp_ne_u32_e32 vcc_lo, 1, v6
	s_and_b32 vcc_lo, exec_lo, vcc_lo
	v_add_co_u32 v4, s0, v13, v4
	v_add_co_ci_u32_e64 v5, null, v14, v5, s0
	v_fma_f64 v[0:1], s[20:21], v[9:10], -v[0:1]
	v_fma_f64 v[2:3], s[22:23], v[9:10], v[2:3]
	s_cbranch_vccnz .LBB142_28
; %bb.27:
	global_load_dwordx4 v[6:9], v[4:5], off
	s_waitcnt vmcnt(0)
	v_mul_f64 v[10:11], s[16:17], v[8:9]
	v_mul_f64 v[8:9], s[14:15], v[8:9]
	v_fma_f64 v[10:11], s[14:15], v[6:7], -v[10:11]
	v_fma_f64 v[6:7], s[16:17], v[6:7], v[8:9]
	v_add_f64 v[0:1], v[0:1], v[10:11]
	v_add_f64 v[2:3], v[2:3], v[6:7]
.LBB142_28:
	global_store_dwordx4 v[4:5], v[0:3], off
	s_endpgm
.LBB142_29:
.LBB142_30:
	s_endpgm
	.section	.rodata,"a",@progbits
	.p2align	6, 0x0
	.amdhsa_kernel _ZL29rocblas_internal_gemmt_kernelIiLi16ELi32ELi8ELc67ELc84ELc76ELb1ELb0E19rocblas_complex_numIdES1_PKS1_PS1_EviT_T9_T10_S5_lS7_S5_lS6_T11_S5_li
		.amdhsa_group_segment_fixed_size 8192
		.amdhsa_private_segment_fixed_size 0
		.amdhsa_kernarg_size 116
		.amdhsa_user_sgpr_count 6
		.amdhsa_user_sgpr_private_segment_buffer 1
		.amdhsa_user_sgpr_dispatch_ptr 0
		.amdhsa_user_sgpr_queue_ptr 0
		.amdhsa_user_sgpr_kernarg_segment_ptr 1
		.amdhsa_user_sgpr_dispatch_id 0
		.amdhsa_user_sgpr_flat_scratch_init 0
		.amdhsa_user_sgpr_private_segment_size 0
		.amdhsa_wavefront_size32 1
		.amdhsa_uses_dynamic_stack 0
		.amdhsa_system_sgpr_private_segment_wavefront_offset 0
		.amdhsa_system_sgpr_workgroup_id_x 1
		.amdhsa_system_sgpr_workgroup_id_y 1
		.amdhsa_system_sgpr_workgroup_id_z 1
		.amdhsa_system_sgpr_workgroup_info 0
		.amdhsa_system_vgpr_workitem_id 1
		.amdhsa_next_free_vgpr 127
		.amdhsa_next_free_sgpr 32
		.amdhsa_reserve_vcc 1
		.amdhsa_reserve_flat_scratch 0
		.amdhsa_float_round_mode_32 0
		.amdhsa_float_round_mode_16_64 0
		.amdhsa_float_denorm_mode_32 3
		.amdhsa_float_denorm_mode_16_64 3
		.amdhsa_dx10_clamp 1
		.amdhsa_ieee_mode 1
		.amdhsa_fp16_overflow 0
		.amdhsa_workgroup_processor_mode 1
		.amdhsa_memory_ordered 1
		.amdhsa_forward_progress 1
		.amdhsa_shared_vgpr_count 0
		.amdhsa_exception_fp_ieee_invalid_op 0
		.amdhsa_exception_fp_denorm_src 0
		.amdhsa_exception_fp_ieee_div_zero 0
		.amdhsa_exception_fp_ieee_overflow 0
		.amdhsa_exception_fp_ieee_underflow 0
		.amdhsa_exception_fp_ieee_inexact 0
		.amdhsa_exception_int_div_zero 0
	.end_amdhsa_kernel
	.section	.text._ZL29rocblas_internal_gemmt_kernelIiLi16ELi32ELi8ELc67ELc84ELc76ELb1ELb0E19rocblas_complex_numIdES1_PKS1_PS1_EviT_T9_T10_S5_lS7_S5_lS6_T11_S5_li,"axG",@progbits,_ZL29rocblas_internal_gemmt_kernelIiLi16ELi32ELi8ELc67ELc84ELc76ELb1ELb0E19rocblas_complex_numIdES1_PKS1_PS1_EviT_T9_T10_S5_lS7_S5_lS6_T11_S5_li,comdat
.Lfunc_end142:
	.size	_ZL29rocblas_internal_gemmt_kernelIiLi16ELi32ELi8ELc67ELc84ELc76ELb1ELb0E19rocblas_complex_numIdES1_PKS1_PS1_EviT_T9_T10_S5_lS7_S5_lS6_T11_S5_li, .Lfunc_end142-_ZL29rocblas_internal_gemmt_kernelIiLi16ELi32ELi8ELc67ELc84ELc76ELb1ELb0E19rocblas_complex_numIdES1_PKS1_PS1_EviT_T9_T10_S5_lS7_S5_lS6_T11_S5_li
                                        ; -- End function
	.set _ZL29rocblas_internal_gemmt_kernelIiLi16ELi32ELi8ELc67ELc84ELc76ELb1ELb0E19rocblas_complex_numIdES1_PKS1_PS1_EviT_T9_T10_S5_lS7_S5_lS6_T11_S5_li.num_vgpr, 127
	.set _ZL29rocblas_internal_gemmt_kernelIiLi16ELi32ELi8ELc67ELc84ELc76ELb1ELb0E19rocblas_complex_numIdES1_PKS1_PS1_EviT_T9_T10_S5_lS7_S5_lS6_T11_S5_li.num_agpr, 0
	.set _ZL29rocblas_internal_gemmt_kernelIiLi16ELi32ELi8ELc67ELc84ELc76ELb1ELb0E19rocblas_complex_numIdES1_PKS1_PS1_EviT_T9_T10_S5_lS7_S5_lS6_T11_S5_li.numbered_sgpr, 32
	.set _ZL29rocblas_internal_gemmt_kernelIiLi16ELi32ELi8ELc67ELc84ELc76ELb1ELb0E19rocblas_complex_numIdES1_PKS1_PS1_EviT_T9_T10_S5_lS7_S5_lS6_T11_S5_li.num_named_barrier, 0
	.set _ZL29rocblas_internal_gemmt_kernelIiLi16ELi32ELi8ELc67ELc84ELc76ELb1ELb0E19rocblas_complex_numIdES1_PKS1_PS1_EviT_T9_T10_S5_lS7_S5_lS6_T11_S5_li.private_seg_size, 0
	.set _ZL29rocblas_internal_gemmt_kernelIiLi16ELi32ELi8ELc67ELc84ELc76ELb1ELb0E19rocblas_complex_numIdES1_PKS1_PS1_EviT_T9_T10_S5_lS7_S5_lS6_T11_S5_li.uses_vcc, 1
	.set _ZL29rocblas_internal_gemmt_kernelIiLi16ELi32ELi8ELc67ELc84ELc76ELb1ELb0E19rocblas_complex_numIdES1_PKS1_PS1_EviT_T9_T10_S5_lS7_S5_lS6_T11_S5_li.uses_flat_scratch, 0
	.set _ZL29rocblas_internal_gemmt_kernelIiLi16ELi32ELi8ELc67ELc84ELc76ELb1ELb0E19rocblas_complex_numIdES1_PKS1_PS1_EviT_T9_T10_S5_lS7_S5_lS6_T11_S5_li.has_dyn_sized_stack, 0
	.set _ZL29rocblas_internal_gemmt_kernelIiLi16ELi32ELi8ELc67ELc84ELc76ELb1ELb0E19rocblas_complex_numIdES1_PKS1_PS1_EviT_T9_T10_S5_lS7_S5_lS6_T11_S5_li.has_recursion, 0
	.set _ZL29rocblas_internal_gemmt_kernelIiLi16ELi32ELi8ELc67ELc84ELc76ELb1ELb0E19rocblas_complex_numIdES1_PKS1_PS1_EviT_T9_T10_S5_lS7_S5_lS6_T11_S5_li.has_indirect_call, 0
	.section	.AMDGPU.csdata,"",@progbits
; Kernel info:
; codeLenInByte = 3544
; TotalNumSgprs: 34
; NumVgprs: 127
; ScratchSize: 0
; MemoryBound: 1
; FloatMode: 240
; IeeeMode: 1
; LDSByteSize: 8192 bytes/workgroup (compile time only)
; SGPRBlocks: 0
; VGPRBlocks: 15
; NumSGPRsForWavesPerEU: 34
; NumVGPRsForWavesPerEU: 127
; Occupancy: 8
; WaveLimiterHint : 0
; COMPUTE_PGM_RSRC2:SCRATCH_EN: 0
; COMPUTE_PGM_RSRC2:USER_SGPR: 6
; COMPUTE_PGM_RSRC2:TRAP_HANDLER: 0
; COMPUTE_PGM_RSRC2:TGID_X_EN: 1
; COMPUTE_PGM_RSRC2:TGID_Y_EN: 1
; COMPUTE_PGM_RSRC2:TGID_Z_EN: 1
; COMPUTE_PGM_RSRC2:TIDIG_COMP_CNT: 1
	.section	.text._ZL29rocblas_internal_gemmt_kernelIiLi16ELi32ELi8ELc67ELc67ELc76ELb1ELb1E19rocblas_complex_numIdES1_PKS1_PS1_EviT_T9_T10_S5_lS7_S5_lS6_T11_S5_li,"axG",@progbits,_ZL29rocblas_internal_gemmt_kernelIiLi16ELi32ELi8ELc67ELc67ELc76ELb1ELb1E19rocblas_complex_numIdES1_PKS1_PS1_EviT_T9_T10_S5_lS7_S5_lS6_T11_S5_li,comdat
	.globl	_ZL29rocblas_internal_gemmt_kernelIiLi16ELi32ELi8ELc67ELc67ELc76ELb1ELb1E19rocblas_complex_numIdES1_PKS1_PS1_EviT_T9_T10_S5_lS7_S5_lS6_T11_S5_li ; -- Begin function _ZL29rocblas_internal_gemmt_kernelIiLi16ELi32ELi8ELc67ELc67ELc76ELb1ELb1E19rocblas_complex_numIdES1_PKS1_PS1_EviT_T9_T10_S5_lS7_S5_lS6_T11_S5_li
	.p2align	8
	.type	_ZL29rocblas_internal_gemmt_kernelIiLi16ELi32ELi8ELc67ELc67ELc76ELb1ELb1E19rocblas_complex_numIdES1_PKS1_PS1_EviT_T9_T10_S5_lS7_S5_lS6_T11_S5_li,@function
_ZL29rocblas_internal_gemmt_kernelIiLi16ELi32ELi8ELc67ELc67ELc76ELb1ELb1E19rocblas_complex_numIdES1_PKS1_PS1_EviT_T9_T10_S5_lS7_S5_lS6_T11_S5_li: ; @_ZL29rocblas_internal_gemmt_kernelIiLi16ELi32ELi8ELc67ELc67ELc76ELb1ELb1E19rocblas_complex_numIdES1_PKS1_PS1_EviT_T9_T10_S5_lS7_S5_lS6_T11_S5_li
; %bb.0:
	s_clause 0x2
	s_load_dwordx8 s[12:19], s[4:5], 0x40
	s_load_dwordx2 s[2:3], s[4:5], 0x0
	s_load_dwordx4 s[20:23], s[4:5], 0x8
	s_waitcnt lgkmcnt(0)
	v_cmp_eq_f64_e64 s0, s[14:15], 1.0
	v_cmp_eq_f64_e64 s9, s[16:17], 0
	s_and_b32 s0, s0, s9
	s_andn2_b32 vcc_lo, exec_lo, s0
	s_mov_b32 s0, -1
	s_cbranch_vccnz .LBB143_3
; %bb.1:
	s_cmp_lg_u32 s3, 0
	s_cbranch_scc0 .LBB143_27
; %bb.2:
	v_cmp_neq_f64_e64 s0, s[20:21], 0
	v_cmp_neq_f64_e64 s1, s[22:23], 0
	s_or_b32 s0, s0, s1
.LBB143_3:
	s_and_b32 vcc_lo, exec_lo, s0
	s_cbranch_vccz .LBB143_28
; %bb.4:
	v_cmp_eq_f64_e64 s0, s[20:21], 0
	v_cmp_eq_f64_e64 s1, s[22:23], 0
	s_lshl_b32 s10, s6, 5
	s_lshl_b32 s11, s7, 5
	v_mov_b32_e32 v26, 0
	v_mov_b32_e32 v28, 0
	;; [unrolled: 1-line block ×16, first 2 shown]
	s_mov_b32 s28, 0
	s_and_b32 s0, s0, s1
	s_cmp_lt_i32 s3, 1
	s_cselect_b32 s1, -1, 0
	s_or_b32 s0, s0, s1
	s_and_b32 vcc_lo, exec_lo, s0
	s_cbranch_vccnz .LBB143_11
; %bb.5:
	s_clause 0x1
	s_load_dword s0, s[4:5], 0x20
	s_load_dwordx2 s[30:31], s[4:5], 0x18
	v_lshl_add_u32 v2, v1, 4, v0
	s_clause 0x1
	s_load_dwordx4 s[24:27], s[4:5], 0x28
	s_load_dword s6, s[4:5], 0x38
	v_and_b32_e32 v30, 7, v0
	v_mov_b32_e32 v12, 0
	v_mov_b32_e32 v18, 0
	v_and_b32_e32 v3, 31, v2
	v_lshrrev_b32_e32 v4, 3, v2
	v_lshlrev_b32_e32 v5, 4, v30
	v_lshrrev_b32_e32 v33, 5, v2
	v_mov_b32_e32 v16, 0
	v_add_nc_u32_e32 v7, s10, v3
	v_add_nc_u32_e32 v2, s11, v4
	v_lshl_or_b32 v8, v4, 7, v5
	v_or_b32_e32 v6, s10, v3
	v_lshlrev_b32_e32 v3, 4, v3
	v_lshlrev_b32_e32 v10, 4, v33
	v_mov_b32_e32 v24, 0
	v_add_nc_u32_e32 v35, 0x1000, v8
	s_waitcnt lgkmcnt(0)
	v_mad_i64_i32 v[4:5], null, s0, v7, 0
	v_cmp_gt_i32_e32 vcc_lo, s2, v6
	s_mul_i32 s1, s25, s8
	s_mul_hi_u32 s7, s24, s8
	v_mad_i64_i32 v[6:7], null, s6, v30, 0
	s_mul_i32 s24, s24, s8
	v_lshlrev_b64 v[4:5], 4, v[4:5]
	s_add_i32 s25, s7, s1
	v_lshl_or_b32 v34, v33, 9, v3
	s_lshl_b64 s[24:25], s[24:25], 4
	v_ashrrev_i32_e32 v3, 31, v2
	s_mul_hi_u32 s7, s12, s8
	v_add_co_u32 v8, s1, v4, s24
	v_add_co_ci_u32_e64 v9, null, s25, v5, s1
	s_mul_i32 s1, s13, s8
	v_lshlrev_b64 v[4:5], 4, v[6:7]
	s_add_i32 s13, s7, s1
	s_mul_i32 s12, s12, s8
	v_add_co_u32 v6, s1, v8, v10
	s_lshl_b64 s[12:13], s[12:13], 4
	v_cmp_gt_i32_e64 s0, s2, v2
	v_lshlrev_b64 v[2:3], 4, v[2:3]
	v_add_co_ci_u32_e64 v7, null, 0, v9, s1
	v_add_co_u32 v4, s1, s12, v4
	v_add_co_ci_u32_e64 v5, null, s13, v5, s1
	v_add_co_u32 v6, s1, s30, v6
	;; [unrolled: 2-line block ×5, first 2 shown]
	v_add_co_ci_u32_e64 v3, null, s27, v3, s1
	v_mov_b32_e32 v10, 0
	v_add_co_u32 v20, s1, v2, 8
	v_mov_b32_e32 v22, 0
	v_mov_b32_e32 v28, 0
	;; [unrolled: 1-line block ×3, first 2 shown]
	v_lshlrev_b32_e32 v31, 4, v0
	v_lshl_add_u32 v32, v1, 7, 0x1000
	v_mov_b32_e32 v11, 0
	v_mov_b32_e32 v13, 0
	;; [unrolled: 1-line block ×8, first 2 shown]
	v_add_co_ci_u32_e64 v21, null, 0, v3, s1
	s_ashr_i32 s7, s6, 31
	s_lshl_b64 s[6:7], s[6:7], 7
	s_branch .LBB143_7
.LBB143_6:                              ;   in Loop: Header=BB143_7 Depth=1
	s_or_b32 exec_lo, exec_lo, s1
	ds_write_b128 v35, v[6:9]
	s_waitcnt lgkmcnt(0)
	s_barrier
	buffer_gl0_inv
	ds_read_b128 v[2:5], v32
	ds_read_b128 v[6:9], v31
	ds_read_b128 v[36:39], v31 offset:256
	ds_read_b128 v[40:43], v32 offset:2048
	ds_read_b128 v[44:47], v32 offset:16
	ds_read_b128 v[48:51], v31 offset:512
	ds_read_b128 v[52:55], v31 offset:768
	ds_read_b128 v[56:59], v32 offset:2064
	ds_read_b128 v[60:63], v32 offset:32
	ds_read_b128 v[64:67], v31 offset:1024
	ds_read_b128 v[68:71], v31 offset:1280
	ds_read_b128 v[72:75], v32 offset:2080
	ds_read_b128 v[76:79], v32 offset:48
	ds_read_b128 v[80:83], v32 offset:2096
	v_add_co_u32 v14, s1, 0x80, v14
	v_add_co_ci_u32_e64 v15, null, 0, v15, s1
	v_add_co_u32 v20, s1, v20, s6
	v_add_co_ci_u32_e64 v21, null, s7, v21, s1
	s_waitcnt lgkmcnt(12)
	v_mul_f64 v[84:85], v[4:5], v[8:9]
	v_mul_f64 v[86:87], v[2:3], v[8:9]
	s_waitcnt lgkmcnt(11)
	v_mul_f64 v[88:89], v[4:5], v[38:39]
	v_mul_f64 v[90:91], v[2:3], v[38:39]
	s_waitcnt lgkmcnt(10)
	v_mul_f64 v[92:93], v[42:43], v[8:9]
	v_mul_f64 v[8:9], v[40:41], v[8:9]
	v_mul_f64 v[94:95], v[42:43], v[38:39]
	v_mul_f64 v[38:39], v[40:41], v[38:39]
	s_waitcnt lgkmcnt(8)
	v_mul_f64 v[96:97], v[46:47], v[50:51]
	v_mul_f64 v[98:99], v[44:45], v[50:51]
	s_waitcnt lgkmcnt(7)
	;; [unrolled: 3-line block ×3, first 2 shown]
	v_mul_f64 v[104:105], v[58:59], v[50:51]
	v_mul_f64 v[50:51], v[56:57], v[50:51]
	;; [unrolled: 1-line block ×4, first 2 shown]
	s_waitcnt lgkmcnt(4)
	v_mul_f64 v[108:109], v[62:63], v[66:67]
	v_mul_f64 v[110:111], v[60:61], v[66:67]
	s_waitcnt lgkmcnt(3)
	v_mul_f64 v[112:113], v[62:63], v[70:71]
	v_mul_f64 v[114:115], v[60:61], v[70:71]
	;; [unrolled: 3-line block ×3, first 2 shown]
	v_fma_f64 v[84:85], v[2:3], v[6:7], -v[84:85]
	v_fma_f64 v[86:87], v[4:5], v[6:7], v[86:87]
	v_fma_f64 v[88:89], v[2:3], v[36:37], -v[88:89]
	v_fma_f64 v[90:91], v[4:5], v[36:37], v[90:91]
	;; [unrolled: 2-line block ×4, first 2 shown]
	v_mul_f64 v[122:123], v[74:75], v[70:71]
	v_mul_f64 v[70:71], v[72:73], v[70:71]
	ds_read_b128 v[2:5], v31 offset:1536
	ds_read_b128 v[6:9], v31 offset:1792
	v_fma_f64 v[96:97], v[44:45], v[48:49], -v[96:97]
	v_fma_f64 v[98:99], v[46:47], v[48:49], v[98:99]
	v_fma_f64 v[100:101], v[44:45], v[52:53], -v[100:101]
	v_fma_f64 v[102:103], v[46:47], v[52:53], v[102:103]
	v_fma_f64 v[104:105], v[56:57], v[48:49], -v[104:105]
	v_fma_f64 v[124:125], v[58:59], v[48:49], v[50:51]
	v_fma_f64 v[56:57], v[56:57], v[52:53], -v[106:107]
	v_fma_f64 v[52:53], v[58:59], v[52:53], v[54:55]
	v_fma_f64 v[54:55], v[60:61], v[64:65], -v[108:109]
	v_fma_f64 v[58:59], v[62:63], v[64:65], v[110:111]
	v_fma_f64 v[60:61], v[60:61], v[68:69], -v[112:113]
	v_fma_f64 v[62:63], v[62:63], v[68:69], v[114:115]
	v_fma_f64 v[106:107], v[72:73], v[64:65], -v[116:117]
	v_fma_f64 v[64:65], v[74:75], v[64:65], v[66:67]
	v_add_f64 v[26:27], v[26:27], v[84:85]
	v_add_f64 v[28:29], v[86:87], v[28:29]
	;; [unrolled: 1-line block ×4, first 2 shown]
	s_waitcnt lgkmcnt(1)
	v_mul_f64 v[108:109], v[78:79], v[4:5]
	v_mul_f64 v[110:111], v[76:77], v[4:5]
	s_waitcnt lgkmcnt(0)
	v_mul_f64 v[66:67], v[78:79], v[8:9]
	v_fma_f64 v[72:73], v[72:73], v[68:69], -v[122:123]
	v_mul_f64 v[114:115], v[82:83], v[4:5]
	v_mul_f64 v[4:5], v[80:81], v[4:5]
	v_fma_f64 v[68:69], v[74:75], v[68:69], v[70:71]
	v_add_f64 v[70:71], v[16:17], v[92:93]
	v_add_f64 v[74:75], v[118:119], v[18:19]
	;; [unrolled: 1-line block ×4, first 2 shown]
	ds_read_b128 v[36:39], v32 offset:64
	ds_read_b128 v[40:43], v31 offset:2048
	;; [unrolled: 1-line block ×3, first 2 shown]
	v_mul_f64 v[112:113], v[76:77], v[8:9]
	v_mul_f64 v[86:87], v[82:83], v[8:9]
	;; [unrolled: 1-line block ×3, first 2 shown]
	ds_read_b128 v[48:51], v32 offset:2112
	ds_read_b128 v[16:19], v32 offset:2128
	v_add_f64 v[26:27], v[26:27], v[96:97]
	v_add_f64 v[28:29], v[98:99], v[28:29]
	;; [unrolled: 1-line block ×4, first 2 shown]
	v_fma_f64 v[88:89], v[76:77], v[2:3], -v[108:109]
	v_fma_f64 v[90:91], v[78:79], v[2:3], v[110:111]
	v_fma_f64 v[66:67], v[76:77], v[6:7], -v[66:67]
	ds_read_b128 v[8:11], v32 offset:80
	ds_read_b128 v[22:25], v31 offset:2816
	s_add_i32 s28, s28, 8
	v_add_f64 v[70:71], v[70:71], v[104:105]
	v_add_f64 v[74:75], v[124:125], v[74:75]
	s_waitcnt lgkmcnt(5)
	v_mul_f64 v[76:77], v[38:39], v[42:43]
	v_mul_f64 v[94:95], v[36:37], v[42:43]
	v_add_f64 v[12:13], v[12:13], v[56:57]
	v_add_f64 v[52:53], v[52:53], v[84:85]
	v_fma_f64 v[56:57], v[80:81], v[2:3], -v[114:115]
	v_fma_f64 v[84:85], v[82:83], v[2:3], v[4:5]
	ds_read_b128 v[2:5], v31 offset:2560
	s_waitcnt lgkmcnt(5)
	v_mul_f64 v[108:109], v[38:39], v[46:47]
	v_mul_f64 v[110:111], v[36:37], v[46:47]
	v_fma_f64 v[78:79], v[78:79], v[6:7], v[112:113]
	s_waitcnt lgkmcnt(4)
	v_mul_f64 v[112:113], v[50:51], v[42:43]
	v_mul_f64 v[42:43], v[48:49], v[42:43]
	v_fma_f64 v[80:81], v[80:81], v[6:7], -v[86:87]
	v_fma_f64 v[82:83], v[82:83], v[6:7], v[92:93]
	v_add_f64 v[54:55], v[26:27], v[54:55]
	v_add_f64 v[28:29], v[58:59], v[28:29]
	;; [unrolled: 1-line block ×4, first 2 shown]
	s_waitcnt lgkmcnt(1)
	v_mul_f64 v[102:103], v[18:19], v[24:25]
	v_mul_f64 v[104:105], v[16:17], v[24:25]
	v_add_f64 v[62:63], v[70:71], v[106:107]
	v_add_f64 v[64:65], v[64:65], v[74:75]
	v_fma_f64 v[76:77], v[36:37], v[40:41], -v[76:77]
	v_fma_f64 v[86:87], v[38:39], v[40:41], v[94:95]
	v_add_f64 v[12:13], v[12:13], v[72:73]
	v_add_f64 v[52:53], v[68:69], v[52:53]
	s_waitcnt lgkmcnt(0)
	v_mul_f64 v[68:69], v[10:11], v[4:5]
	v_mul_f64 v[70:71], v[8:9], v[4:5]
	;; [unrolled: 1-line block ×3, first 2 shown]
	v_fma_f64 v[92:93], v[36:37], v[44:45], -v[108:109]
	v_fma_f64 v[94:95], v[38:39], v[44:45], v[110:111]
	v_mul_f64 v[36:37], v[50:51], v[46:47]
	v_mul_f64 v[38:39], v[48:49], v[46:47]
	v_fma_f64 v[46:47], v[48:49], v[40:41], -v[112:113]
	v_fma_f64 v[100:101], v[50:51], v[40:41], v[42:43]
	v_mul_f64 v[74:75], v[8:9], v[24:25]
	v_mul_f64 v[96:97], v[18:19], v[4:5]
	;; [unrolled: 1-line block ×3, first 2 shown]
	v_add_f64 v[28:29], v[90:91], v[28:29]
	ds_read_b128 v[4:7], v32 offset:96
	ds_read_b128 v[24:27], v31 offset:3072
	s_cmp_lt_i32 s28, s3
	v_add_f64 v[56:57], v[62:63], v[56:57]
	v_add_f64 v[12:13], v[12:13], v[80:81]
	;; [unrolled: 1-line block ×3, first 2 shown]
	v_fma_f64 v[62:63], v[8:9], v[2:3], -v[68:69]
	v_fma_f64 v[48:49], v[48:49], v[44:45], -v[36:37]
	v_fma_f64 v[44:45], v[50:51], v[44:45], v[38:39]
	v_add_f64 v[50:51], v[54:55], v[88:89]
	v_add_f64 v[54:55], v[58:59], v[66:67]
	;; [unrolled: 1-line block ×4, first 2 shown]
	ds_read_b128 v[36:39], v31 offset:3328
	ds_read_b128 v[40:43], v32 offset:2144
	v_fma_f64 v[64:65], v[10:11], v[2:3], v[70:71]
	v_fma_f64 v[66:67], v[8:9], v[22:23], -v[72:73]
	v_fma_f64 v[68:69], v[10:11], v[22:23], v[74:75]
	v_fma_f64 v[70:71], v[16:17], v[2:3], -v[96:97]
	;; [unrolled: 2-line block ×3, first 2 shown]
	s_waitcnt lgkmcnt(2)
	v_mul_f64 v[74:75], v[6:7], v[26:27]
	v_fma_f64 v[22:23], v[18:19], v[22:23], v[104:105]
	v_mul_f64 v[78:79], v[4:5], v[26:27]
	v_add_f64 v[56:57], v[56:57], v[46:47]
	ds_read_b128 v[8:11], v32 offset:112
	ds_read_b128 v[16:19], v32 offset:2160
	v_add_f64 v[12:13], v[12:13], v[48:49]
	v_add_f64 v[48:49], v[44:45], v[52:53]
	;; [unrolled: 1-line block ×3, first 2 shown]
	s_waitcnt lgkmcnt(3)
	v_mul_f64 v[80:81], v[6:7], v[38:39]
	v_mul_f64 v[82:83], v[4:5], v[38:39]
	s_waitcnt lgkmcnt(2)
	v_mul_f64 v[84:85], v[42:43], v[26:27]
	v_mul_f64 v[88:89], v[40:41], v[26:27]
	v_add_f64 v[76:77], v[86:87], v[28:29]
	v_add_f64 v[54:55], v[54:55], v[92:93]
	;; [unrolled: 1-line block ×4, first 2 shown]
	v_mul_f64 v[52:53], v[42:43], v[38:39]
	v_mul_f64 v[38:39], v[40:41], v[38:39]
	ds_read_b128 v[26:29], v31 offset:3584
	ds_read_b128 v[44:47], v31 offset:3840
	v_fma_f64 v[74:75], v[4:5], v[24:25], -v[74:75]
	v_fma_f64 v[78:79], v[6:7], v[24:25], v[78:79]
	v_add_f64 v[56:57], v[56:57], v[70:71]
	s_waitcnt lgkmcnt(0)
	s_barrier
	buffer_gl0_inv
	v_add_f64 v[12:13], v[12:13], v[72:73]
	v_add_f64 v[22:23], v[22:23], v[48:49]
	;; [unrolled: 1-line block ×3, first 2 shown]
	v_fma_f64 v[4:5], v[4:5], v[36:37], -v[80:81]
	v_fma_f64 v[6:7], v[6:7], v[36:37], v[82:83]
	v_fma_f64 v[80:81], v[40:41], v[24:25], -v[84:85]
	v_fma_f64 v[24:25], v[42:43], v[24:25], v[88:89]
	v_add_f64 v[62:63], v[64:65], v[76:77]
	v_add_f64 v[54:55], v[54:55], v[66:67]
	;; [unrolled: 1-line block ×4, first 2 shown]
	v_fma_f64 v[40:41], v[40:41], v[36:37], -v[52:53]
	v_fma_f64 v[36:37], v[42:43], v[36:37], v[38:39]
	v_mul_f64 v[38:39], v[10:11], v[28:29]
	v_mul_f64 v[42:43], v[8:9], v[28:29]
	;; [unrolled: 1-line block ×8, first 2 shown]
	v_add_f64 v[50:51], v[50:51], v[74:75]
	v_add_f64 v[62:63], v[78:79], v[62:63]
	;; [unrolled: 1-line block ×8, first 2 shown]
	v_fma_f64 v[22:23], v[8:9], v[26:27], -v[38:39]
	v_fma_f64 v[24:25], v[10:11], v[26:27], v[42:43]
	v_fma_f64 v[8:9], v[8:9], v[44:45], -v[48:49]
	v_fma_f64 v[10:11], v[10:11], v[44:45], v[52:53]
	;; [unrolled: 2-line block ×4, first 2 shown]
	v_add_f64 v[26:27], v[50:51], v[22:23]
	v_add_f64 v[28:29], v[24:25], v[62:63]
	;; [unrolled: 1-line block ×8, first 2 shown]
	s_cbranch_scc0 .LBB143_11
.LBB143_7:                              ; =>This Inner Loop Header: Depth=1
	v_add_nc_u32_e32 v2, s28, v33
	v_mov_b32_e32 v4, 0
	v_mov_b32_e32 v5, 0
	v_cmp_gt_i32_e64 s1, s3, v2
	v_mov_b32_e32 v2, 0
	v_mov_b32_e32 v3, 0
	s_and_b32 s12, vcc_lo, s1
	s_and_saveexec_b32 s1, s12
	s_cbranch_execz .LBB143_9
; %bb.8:                                ;   in Loop: Header=BB143_7 Depth=1
	global_load_dwordx4 v[2:5], v[14:15], off offset:-8
	s_waitcnt vmcnt(0)
	v_xor_b32_e32 v5, 0x80000000, v5
.LBB143_9:                              ;   in Loop: Header=BB143_7 Depth=1
	s_or_b32 exec_lo, exec_lo, s1
	v_add_nc_u32_e32 v6, s28, v30
	v_mov_b32_e32 v8, 0
	v_mov_b32_e32 v9, 0
	ds_write_b128 v34, v[2:5]
	v_cmp_gt_i32_e64 s1, s3, v6
	v_mov_b32_e32 v6, 0
	v_mov_b32_e32 v7, 0
	s_and_b32 s12, s1, s0
	s_and_saveexec_b32 s1, s12
	s_cbranch_execz .LBB143_6
; %bb.10:                               ;   in Loop: Header=BB143_7 Depth=1
	global_load_dwordx4 v[6:9], v[20:21], off offset:-8
	s_waitcnt vmcnt(0)
	v_xor_b32_e32 v9, 0x80000000, v9
	s_branch .LBB143_6
.LBB143_11:
	s_clause 0x1
	s_load_dword s3, s[4:5], 0x60
	s_load_dwordx2 s[0:1], s[4:5], 0x68
	v_cmp_neq_f64_e64 s6, s[14:15], 0
	v_add_nc_u32_e32 v15, s11, v1
	v_add_nc_u32_e32 v4, s10, v0
	v_cmp_le_i32_e32 vcc_lo, v15, v4
	v_ashrrev_i32_e32 v5, 31, v4
	s_waitcnt lgkmcnt(0)
	v_mad_i64_i32 v[0:1], null, v15, s3, 0
	s_mul_i32 s1, s1, s8
	s_mul_hi_u32 s5, s0, s8
	s_mul_i32 s4, s0, s8
	s_add_i32 s5, s5, s1
	v_cmp_gt_i32_e64 s0, s2, v4
	s_lshl_b64 s[4:5], s[4:5], 4
	v_lshlrev_b64 v[0:1], 4, v[0:1]
	s_add_u32 s4, s18, s4
	s_addc_u32 s5, s19, s5
	s_xor_b32 s7, s9, -1
	s_or_b32 s6, s6, s7
	v_add_co_u32 v8, s1, s4, v0
	v_add_co_ci_u32_e64 v9, null, s5, v1, s1
	v_cndmask_b32_e64 v14, 0, 1, s6
	s_and_b32 s7, vcc_lo, s0
	s_and_saveexec_b32 s1, s7
	s_cbranch_execz .LBB143_15
; %bb.12:
	v_mul_f64 v[0:1], s[22:23], v[28:29]
	v_mul_f64 v[2:3], s[20:21], v[28:29]
	v_lshlrev_b64 v[6:7], 4, v[4:5]
	v_add_co_u32 v6, vcc_lo, v8, v6
	v_add_co_ci_u32_e64 v7, null, v9, v7, vcc_lo
	s_andn2_b32 vcc_lo, exec_lo, s6
	v_fma_f64 v[0:1], s[20:21], v[26:27], -v[0:1]
	v_fma_f64 v[2:3], s[22:23], v[26:27], v[2:3]
	s_cbranch_vccnz .LBB143_14
; %bb.13:
	global_load_dwordx4 v[26:29], v[6:7], off
	s_waitcnt vmcnt(0)
	v_mul_f64 v[20:21], s[16:17], v[28:29]
	v_mul_f64 v[28:29], s[14:15], v[28:29]
	v_fma_f64 v[20:21], s[14:15], v[26:27], -v[20:21]
	v_fma_f64 v[26:27], s[16:17], v[26:27], v[28:29]
	v_add_f64 v[0:1], v[0:1], v[20:21]
	v_add_f64 v[2:3], v[2:3], v[26:27]
.LBB143_14:
	global_store_dwordx4 v[6:7], v[0:3], off
.LBB143_15:
	s_or_b32 exec_lo, exec_lo, s1
	v_add_nc_u32_e32 v6, 16, v4
	v_cmp_le_i32_e32 vcc_lo, v15, v6
	v_cmp_gt_i32_e64 s1, s2, v6
	v_ashrrev_i32_e32 v7, 31, v6
	s_and_b32 s2, vcc_lo, s1
	s_and_saveexec_b32 s6, s2
	s_cbranch_execz .LBB143_19
; %bb.16:
	v_mul_f64 v[0:1], s[22:23], v[24:25]
	v_mul_f64 v[2:3], s[20:21], v[24:25]
	v_lshlrev_b64 v[20:21], 4, v[6:7]
	v_cmp_ne_u32_e32 vcc_lo, 1, v14
	s_and_b32 vcc_lo, exec_lo, vcc_lo
	v_add_co_u32 v8, s2, v8, v20
	v_add_co_ci_u32_e64 v9, null, v9, v21, s2
	v_fma_f64 v[0:1], s[20:21], v[22:23], -v[0:1]
	v_fma_f64 v[2:3], s[22:23], v[22:23], v[2:3]
	s_cbranch_vccnz .LBB143_18
; %bb.17:
	global_load_dwordx4 v[20:23], v[8:9], off
	s_waitcnt vmcnt(0)
	v_mul_f64 v[24:25], s[16:17], v[22:23]
	v_mul_f64 v[22:23], s[14:15], v[22:23]
	v_fma_f64 v[24:25], s[14:15], v[20:21], -v[24:25]
	v_fma_f64 v[20:21], s[16:17], v[20:21], v[22:23]
	v_add_f64 v[0:1], v[0:1], v[24:25]
	v_add_f64 v[2:3], v[2:3], v[20:21]
.LBB143_18:
	global_store_dwordx4 v[8:9], v[0:3], off
.LBB143_19:
	s_or_b32 exec_lo, exec_lo, s6
	v_add_nc_u32_e32 v15, 16, v15
	v_mad_i64_i32 v[0:1], null, v15, s3, 0
	v_cmp_le_i32_e32 vcc_lo, v15, v4
	s_and_b32 s0, vcc_lo, s0
	v_lshlrev_b64 v[0:1], 4, v[0:1]
	v_add_co_u32 v8, s2, s4, v0
	v_add_co_ci_u32_e64 v9, null, s5, v1, s2
	s_and_saveexec_b32 s2, s0
	s_cbranch_execz .LBB143_23
; %bb.20:
	v_mul_f64 v[0:1], s[22:23], v[18:19]
	v_mul_f64 v[2:3], s[20:21], v[18:19]
	v_lshlrev_b64 v[4:5], 4, v[4:5]
	v_cmp_ne_u32_e32 vcc_lo, 1, v14
	s_and_b32 vcc_lo, exec_lo, vcc_lo
	v_add_co_u32 v4, s0, v8, v4
	v_add_co_ci_u32_e64 v5, null, v9, v5, s0
	v_fma_f64 v[0:1], s[20:21], v[16:17], -v[0:1]
	v_fma_f64 v[2:3], s[22:23], v[16:17], v[2:3]
	s_cbranch_vccnz .LBB143_22
; %bb.21:
	global_load_dwordx4 v[16:19], v[4:5], off
	s_waitcnt vmcnt(0)
	v_mul_f64 v[20:21], s[16:17], v[18:19]
	v_mul_f64 v[18:19], s[14:15], v[18:19]
	v_fma_f64 v[20:21], s[14:15], v[16:17], -v[20:21]
	v_fma_f64 v[16:17], s[16:17], v[16:17], v[18:19]
	v_add_f64 v[0:1], v[0:1], v[20:21]
	v_add_f64 v[2:3], v[2:3], v[16:17]
.LBB143_22:
	global_store_dwordx4 v[4:5], v[0:3], off
.LBB143_23:
	s_or_b32 exec_lo, exec_lo, s2
	v_cmp_le_i32_e32 vcc_lo, v15, v6
	s_and_b32 s0, vcc_lo, s1
	s_and_saveexec_b32 s1, s0
	s_cbranch_execz .LBB143_28
; %bb.24:
	v_mul_f64 v[0:1], s[22:23], v[10:11]
	v_mul_f64 v[2:3], s[20:21], v[10:11]
	v_lshlrev_b64 v[4:5], 4, v[6:7]
	v_cmp_ne_u32_e32 vcc_lo, 1, v14
	s_and_b32 vcc_lo, exec_lo, vcc_lo
	v_add_co_u32 v4, s0, v8, v4
	v_add_co_ci_u32_e64 v5, null, v9, v5, s0
	v_fma_f64 v[0:1], s[20:21], v[12:13], -v[0:1]
	v_fma_f64 v[2:3], s[22:23], v[12:13], v[2:3]
	s_cbranch_vccnz .LBB143_26
; %bb.25:
	global_load_dwordx4 v[6:9], v[4:5], off
	s_waitcnt vmcnt(0)
	v_mul_f64 v[10:11], s[16:17], v[8:9]
	v_mul_f64 v[8:9], s[14:15], v[8:9]
	v_fma_f64 v[10:11], s[14:15], v[6:7], -v[10:11]
	v_fma_f64 v[6:7], s[16:17], v[6:7], v[8:9]
	v_add_f64 v[0:1], v[0:1], v[10:11]
	v_add_f64 v[2:3], v[2:3], v[6:7]
.LBB143_26:
	global_store_dwordx4 v[4:5], v[0:3], off
	s_endpgm
.LBB143_27:
.LBB143_28:
	s_endpgm
	.section	.rodata,"a",@progbits
	.p2align	6, 0x0
	.amdhsa_kernel _ZL29rocblas_internal_gemmt_kernelIiLi16ELi32ELi8ELc67ELc67ELc76ELb1ELb1E19rocblas_complex_numIdES1_PKS1_PS1_EviT_T9_T10_S5_lS7_S5_lS6_T11_S5_li
		.amdhsa_group_segment_fixed_size 8192
		.amdhsa_private_segment_fixed_size 0
		.amdhsa_kernarg_size 116
		.amdhsa_user_sgpr_count 6
		.amdhsa_user_sgpr_private_segment_buffer 1
		.amdhsa_user_sgpr_dispatch_ptr 0
		.amdhsa_user_sgpr_queue_ptr 0
		.amdhsa_user_sgpr_kernarg_segment_ptr 1
		.amdhsa_user_sgpr_dispatch_id 0
		.amdhsa_user_sgpr_flat_scratch_init 0
		.amdhsa_user_sgpr_private_segment_size 0
		.amdhsa_wavefront_size32 1
		.amdhsa_uses_dynamic_stack 0
		.amdhsa_system_sgpr_private_segment_wavefront_offset 0
		.amdhsa_system_sgpr_workgroup_id_x 1
		.amdhsa_system_sgpr_workgroup_id_y 1
		.amdhsa_system_sgpr_workgroup_id_z 1
		.amdhsa_system_sgpr_workgroup_info 0
		.amdhsa_system_vgpr_workitem_id 1
		.amdhsa_next_free_vgpr 126
		.amdhsa_next_free_sgpr 32
		.amdhsa_reserve_vcc 1
		.amdhsa_reserve_flat_scratch 0
		.amdhsa_float_round_mode_32 0
		.amdhsa_float_round_mode_16_64 0
		.amdhsa_float_denorm_mode_32 3
		.amdhsa_float_denorm_mode_16_64 3
		.amdhsa_dx10_clamp 1
		.amdhsa_ieee_mode 1
		.amdhsa_fp16_overflow 0
		.amdhsa_workgroup_processor_mode 1
		.amdhsa_memory_ordered 1
		.amdhsa_forward_progress 1
		.amdhsa_shared_vgpr_count 0
		.amdhsa_exception_fp_ieee_invalid_op 0
		.amdhsa_exception_fp_denorm_src 0
		.amdhsa_exception_fp_ieee_div_zero 0
		.amdhsa_exception_fp_ieee_overflow 0
		.amdhsa_exception_fp_ieee_underflow 0
		.amdhsa_exception_fp_ieee_inexact 0
		.amdhsa_exception_int_div_zero 0
	.end_amdhsa_kernel
	.section	.text._ZL29rocblas_internal_gemmt_kernelIiLi16ELi32ELi8ELc67ELc67ELc76ELb1ELb1E19rocblas_complex_numIdES1_PKS1_PS1_EviT_T9_T10_S5_lS7_S5_lS6_T11_S5_li,"axG",@progbits,_ZL29rocblas_internal_gemmt_kernelIiLi16ELi32ELi8ELc67ELc67ELc76ELb1ELb1E19rocblas_complex_numIdES1_PKS1_PS1_EviT_T9_T10_S5_lS7_S5_lS6_T11_S5_li,comdat
.Lfunc_end143:
	.size	_ZL29rocblas_internal_gemmt_kernelIiLi16ELi32ELi8ELc67ELc67ELc76ELb1ELb1E19rocblas_complex_numIdES1_PKS1_PS1_EviT_T9_T10_S5_lS7_S5_lS6_T11_S5_li, .Lfunc_end143-_ZL29rocblas_internal_gemmt_kernelIiLi16ELi32ELi8ELc67ELc67ELc76ELb1ELb1E19rocblas_complex_numIdES1_PKS1_PS1_EviT_T9_T10_S5_lS7_S5_lS6_T11_S5_li
                                        ; -- End function
	.set _ZL29rocblas_internal_gemmt_kernelIiLi16ELi32ELi8ELc67ELc67ELc76ELb1ELb1E19rocblas_complex_numIdES1_PKS1_PS1_EviT_T9_T10_S5_lS7_S5_lS6_T11_S5_li.num_vgpr, 126
	.set _ZL29rocblas_internal_gemmt_kernelIiLi16ELi32ELi8ELc67ELc67ELc76ELb1ELb1E19rocblas_complex_numIdES1_PKS1_PS1_EviT_T9_T10_S5_lS7_S5_lS6_T11_S5_li.num_agpr, 0
	.set _ZL29rocblas_internal_gemmt_kernelIiLi16ELi32ELi8ELc67ELc67ELc76ELb1ELb1E19rocblas_complex_numIdES1_PKS1_PS1_EviT_T9_T10_S5_lS7_S5_lS6_T11_S5_li.numbered_sgpr, 32
	.set _ZL29rocblas_internal_gemmt_kernelIiLi16ELi32ELi8ELc67ELc67ELc76ELb1ELb1E19rocblas_complex_numIdES1_PKS1_PS1_EviT_T9_T10_S5_lS7_S5_lS6_T11_S5_li.num_named_barrier, 0
	.set _ZL29rocblas_internal_gemmt_kernelIiLi16ELi32ELi8ELc67ELc67ELc76ELb1ELb1E19rocblas_complex_numIdES1_PKS1_PS1_EviT_T9_T10_S5_lS7_S5_lS6_T11_S5_li.private_seg_size, 0
	.set _ZL29rocblas_internal_gemmt_kernelIiLi16ELi32ELi8ELc67ELc67ELc76ELb1ELb1E19rocblas_complex_numIdES1_PKS1_PS1_EviT_T9_T10_S5_lS7_S5_lS6_T11_S5_li.uses_vcc, 1
	.set _ZL29rocblas_internal_gemmt_kernelIiLi16ELi32ELi8ELc67ELc67ELc76ELb1ELb1E19rocblas_complex_numIdES1_PKS1_PS1_EviT_T9_T10_S5_lS7_S5_lS6_T11_S5_li.uses_flat_scratch, 0
	.set _ZL29rocblas_internal_gemmt_kernelIiLi16ELi32ELi8ELc67ELc67ELc76ELb1ELb1E19rocblas_complex_numIdES1_PKS1_PS1_EviT_T9_T10_S5_lS7_S5_lS6_T11_S5_li.has_dyn_sized_stack, 0
	.set _ZL29rocblas_internal_gemmt_kernelIiLi16ELi32ELi8ELc67ELc67ELc76ELb1ELb1E19rocblas_complex_numIdES1_PKS1_PS1_EviT_T9_T10_S5_lS7_S5_lS6_T11_S5_li.has_recursion, 0
	.set _ZL29rocblas_internal_gemmt_kernelIiLi16ELi32ELi8ELc67ELc67ELc76ELb1ELb1E19rocblas_complex_numIdES1_PKS1_PS1_EviT_T9_T10_S5_lS7_S5_lS6_T11_S5_li.has_indirect_call, 0
	.section	.AMDGPU.csdata,"",@progbits
; Kernel info:
; codeLenInByte = 3548
; TotalNumSgprs: 34
; NumVgprs: 126
; ScratchSize: 0
; MemoryBound: 1
; FloatMode: 240
; IeeeMode: 1
; LDSByteSize: 8192 bytes/workgroup (compile time only)
; SGPRBlocks: 0
; VGPRBlocks: 15
; NumSGPRsForWavesPerEU: 34
; NumVGPRsForWavesPerEU: 126
; Occupancy: 8
; WaveLimiterHint : 0
; COMPUTE_PGM_RSRC2:SCRATCH_EN: 0
; COMPUTE_PGM_RSRC2:USER_SGPR: 6
; COMPUTE_PGM_RSRC2:TRAP_HANDLER: 0
; COMPUTE_PGM_RSRC2:TGID_X_EN: 1
; COMPUTE_PGM_RSRC2:TGID_Y_EN: 1
; COMPUTE_PGM_RSRC2:TGID_Z_EN: 1
; COMPUTE_PGM_RSRC2:TIDIG_COMP_CNT: 1
	.section	.text._ZL29rocblas_internal_gemmt_kernelIlLi16ELi32ELi8ELc78ELc78ELc85ELb0ELb0EfPKfS1_PfEviT_T9_T10_S3_lS5_S3_lS4_T11_S3_li,"axG",@progbits,_ZL29rocblas_internal_gemmt_kernelIlLi16ELi32ELi8ELc78ELc78ELc85ELb0ELb0EfPKfS1_PfEviT_T9_T10_S3_lS5_S3_lS4_T11_S3_li,comdat
	.globl	_ZL29rocblas_internal_gemmt_kernelIlLi16ELi32ELi8ELc78ELc78ELc85ELb0ELb0EfPKfS1_PfEviT_T9_T10_S3_lS5_S3_lS4_T11_S3_li ; -- Begin function _ZL29rocblas_internal_gemmt_kernelIlLi16ELi32ELi8ELc78ELc78ELc85ELb0ELb0EfPKfS1_PfEviT_T9_T10_S3_lS5_S3_lS4_T11_S3_li
	.p2align	8
	.type	_ZL29rocblas_internal_gemmt_kernelIlLi16ELi32ELi8ELc78ELc78ELc85ELb0ELb0EfPKfS1_PfEviT_T9_T10_S3_lS5_S3_lS4_T11_S3_li,@function
_ZL29rocblas_internal_gemmt_kernelIlLi16ELi32ELi8ELc78ELc78ELc85ELb0ELb0EfPKfS1_PfEviT_T9_T10_S3_lS5_S3_lS4_T11_S3_li: ; @_ZL29rocblas_internal_gemmt_kernelIlLi16ELi32ELi8ELc78ELc78ELc85ELb0ELb0EfPKfS1_PfEviT_T9_T10_S3_lS5_S3_lS4_T11_S3_li
; %bb.0:
	s_clause 0x1
	s_load_dwordx8 s[36:43], s[4:5], 0x48
	s_load_dwordx16 s[12:27], s[4:5], 0x8
	s_waitcnt lgkmcnt(0)
	s_load_dword s9, s[36:37], 0x0
	s_load_dword s10, s[14:15], 0x0
	s_waitcnt lgkmcnt(0)
	v_cmp_neq_f32_e64 s0, s9, 1.0
	s_and_b32 vcc_lo, exec_lo, s0
	s_cbranch_vccnz .LBB144_2
; %bb.1:
	v_cmp_neq_f32_e64 s0, s10, 0
	s_cmp_lg_u64 s[12:13], 0
	s_cselect_b32 s1, -1, 0
	s_and_b32 s0, s1, s0
.LBB144_2:
	s_andn2_b32 vcc_lo, exec_lo, s0
	s_cbranch_vccnz .LBB144_28
; %bb.3:
	s_load_dword s4, s[4:5], 0x0
	v_cmp_lt_i64_e64 s0, s[12:13], 1
	v_cmp_eq_f32_e64 s1, s10, 0
	v_mov_b32_e32 v8, 0
	v_mov_b32_e32 v4, 0
	;; [unrolled: 1-line block ×4, first 2 shown]
	s_or_b32 s0, s1, s0
	s_lshl_b32 s5, s6, 5
	s_and_b32 vcc_lo, exec_lo, s0
	s_lshl_b32 s6, s7, 5
	s_cbranch_vccnz .LBB144_12
; %bb.4:
	v_lshl_add_u32 v3, v1, 4, v0
	s_mul_i32 s1, s27, s8
	s_mul_hi_u32 s2, s26, s8
	v_and_b32_e32 v5, 7, v0
	s_mul_i32 s0, s26, s8
	v_lshrrev_b32_e32 v8, 3, v3
	v_and_b32_e32 v4, 31, v3
	s_add_i32 s1, s2, s1
	v_lshrrev_b32_e32 v9, 5, v3
	s_lshl_b64 s[0:1], s[0:1], 2
	v_add_nc_u32_e32 v13, s6, v8
	v_or_b32_e32 v2, s5, v4
	s_mul_i32 s3, s21, s8
	s_mul_hi_u32 s7, s20, s8
	s_add_u32 s11, s22, s0
	v_ashrrev_i32_e32 v6, 31, v13
	v_mul_lo_u32 v10, s25, v13
	v_ashrrev_i32_e32 v3, 31, v2
	s_mul_i32 s2, s20, s8
	s_addc_u32 s14, s23, s1
	v_mul_lo_u32 v11, s24, v6
	v_mad_u64_u32 v[6:7], null, s24, v13, 0
	s_add_i32 s3, s7, s3
	v_lshlrev_b32_e32 v12, 2, v4
	v_lshlrev_b32_e32 v14, 2, v5
	v_lshlrev_b64 v[3:4], 2, v[2:3]
	s_lshl_b64 s[0:1], s[2:3], 2
	v_lshlrev_b32_e32 v16, 2, v0
	v_add3_u32 v7, v7, v11, v10
	s_add_u32 s2, s16, s0
	s_waitcnt lgkmcnt(0)
	v_cmp_gt_i32_e64 s0, s4, v2
	v_lshl_or_b32 v2, v8, 5, v14
	s_addc_u32 s1, s17, s1
	v_lshlrev_b64 v[6:7], 2, v[6:7]
	v_add_co_u32 v11, vcc_lo, s2, v3
	v_lshl_or_b32 v10, v9, 7, v12
	v_add_co_ci_u32_e64 v12, null, s1, v4, vcc_lo
	v_add_co_u32 v14, vcc_lo, s11, v6
	v_cmp_gt_i32_e64 s1, s4, v13
	v_add_nc_u32_e32 v13, 0x400, v2
	v_add_co_ci_u32_e64 v15, null, s14, v7, vcc_lo
	v_lshl_add_u32 v17, v1, 5, 0x400
	v_mov_b32_e32 v3, 0
	v_mov_b32_e32 v6, 0
	;; [unrolled: 1-line block ×5, first 2 shown]
	s_mov_b64 s[2:3], 0
	s_branch .LBB144_6
.LBB144_5:                              ;   in Loop: Header=BB144_6 Depth=1
	s_or_b32 exec_lo, exec_lo, s7
	s_waitcnt vmcnt(0)
	ds_write_b32 v13, v19
	s_waitcnt lgkmcnt(0)
	s_barrier
	buffer_gl0_inv
	ds_read_b128 v[18:21], v17
	ds_read2_b32 v[34:35], v16 offset1:16
	ds_read_b128 v[22:25], v17 offset:512
	ds_read2_b32 v[36:37], v16 offset0:32 offset1:48
	ds_read2_b32 v[38:39], v16 offset0:64 offset1:80
	;; [unrolled: 1-line block ×3, first 2 shown]
	ds_read_b128 v[26:29], v17 offset:16
	ds_read2_b32 v[42:43], v16 offset0:128 offset1:144
	ds_read_b128 v[30:33], v17 offset:528
	ds_read2_b32 v[44:45], v16 offset0:160 offset1:176
	s_add_u32 s2, s2, 8
	s_addc_u32 s3, s3, 0
	v_cmp_gt_i64_e64 s7, s[12:13], s[2:3]
	s_and_b32 vcc_lo, exec_lo, s7
	s_waitcnt lgkmcnt(8)
	v_fmac_f32_e32 v8, v34, v18
	v_fmac_f32_e32 v4, v35, v18
	s_waitcnt lgkmcnt(7)
	v_fmac_f32_e32 v7, v34, v22
	v_fmac_f32_e32 v6, v35, v22
	ds_read2_b32 v[34:35], v16 offset0:192 offset1:208
	s_waitcnt lgkmcnt(7)
	v_fmac_f32_e32 v8, v36, v19
	v_fmac_f32_e32 v4, v37, v19
	;; [unrolled: 1-line block ×4, first 2 shown]
	ds_read2_b32 v[18:19], v16 offset0:224 offset1:240
	s_waitcnt lgkmcnt(7)
	v_fmac_f32_e32 v8, v38, v20
	v_fmac_f32_e32 v4, v39, v20
	;; [unrolled: 1-line block ×4, first 2 shown]
	s_waitcnt lgkmcnt(0)
	v_fmac_f32_e32 v8, v40, v21
	v_fmac_f32_e32 v4, v41, v21
	v_fmac_f32_e32 v7, v40, v25
	v_fmac_f32_e32 v6, v41, v25
	s_barrier
	v_fmac_f32_e32 v8, v42, v26
	v_fmac_f32_e32 v4, v43, v26
	;; [unrolled: 1-line block ×4, first 2 shown]
	buffer_gl0_inv
	v_fmac_f32_e32 v8, v44, v27
	v_fmac_f32_e32 v4, v45, v27
	;; [unrolled: 1-line block ×12, first 2 shown]
	s_cbranch_vccz .LBB144_12
.LBB144_6:                              ; =>This Inner Loop Header: Depth=1
	v_mov_b32_e32 v18, 0
	s_and_saveexec_b32 s7, s0
	s_cbranch_execz .LBB144_10
; %bb.7:                                ;   in Loop: Header=BB144_6 Depth=1
	v_add_nc_u32_e32 v2, s2, v9
	v_mov_b32_e32 v18, 0
	s_mov_b32 s11, exec_lo
	v_cmpx_gt_u64_e64 s[12:13], v[2:3]
	s_cbranch_execz .LBB144_9
; %bb.8:                                ;   in Loop: Header=BB144_6 Depth=1
	v_mad_u64_u32 v[18:19], null, s18, v2, 0
	v_mad_u64_u32 v[19:20], null, s19, v2, v[19:20]
	v_lshlrev_b64 v[18:19], 2, v[18:19]
	v_add_co_u32 v18, vcc_lo, v11, v18
	v_add_co_ci_u32_e64 v19, null, v12, v19, vcc_lo
	global_load_dword v18, v[18:19], off
.LBB144_9:                              ;   in Loop: Header=BB144_6 Depth=1
	s_or_b32 exec_lo, exec_lo, s11
.LBB144_10:                             ;   in Loop: Header=BB144_6 Depth=1
	s_or_b32 exec_lo, exec_lo, s7
	v_add_nc_u32_e32 v2, s2, v5
	v_mov_b32_e32 v19, 0
	s_waitcnt vmcnt(0)
	ds_write_b32 v10, v18
	v_cmp_gt_u64_e32 vcc_lo, s[12:13], v[2:3]
	s_and_b32 s11, vcc_lo, s1
	s_and_saveexec_b32 s7, s11
	s_cbranch_execz .LBB144_5
; %bb.11:                               ;   in Loop: Header=BB144_6 Depth=1
	v_lshlrev_b64 v[18:19], 2, v[2:3]
	v_add_co_u32 v18, vcc_lo, v14, v18
	v_add_co_ci_u32_e64 v19, null, v15, v19, vcc_lo
	global_load_dword v19, v[18:19], off
	s_branch .LBB144_5
.LBB144_12:
	v_add_nc_u32_e32 v10, s6, v1
	s_mul_i32 s1, s43, s8
	s_mul_hi_u32 s2, s42, s8
	s_mul_i32 s0, s42, s8
	s_add_i32 s1, s2, s1
	v_ashrrev_i32_e32 v3, 31, v10
	v_mul_lo_u32 v5, s41, v10
	v_mad_u64_u32 v[1:2], null, s40, v10, 0
	v_add_nc_u32_e32 v0, s5, v0
	v_mul_lo_u32 v3, s40, v3
	s_lshl_b64 s[2:3], s[0:1], 2
	v_cmp_neq_f32_e64 s5, s9, 0
	s_add_u32 s2, s38, s2
	s_waitcnt lgkmcnt(0)
	v_cmp_gt_i32_e64 s0, s4, v10
	v_cmp_le_i32_e32 vcc_lo, v0, v10
	s_addc_u32 s3, s39, s3
	v_cndmask_b32_e64 v9, 0, 1, s5
	v_add3_u32 v2, v2, v3, v5
	s_and_b32 s6, s0, vcc_lo
	v_lshlrev_b64 v[2:3], 2, v[1:2]
	v_ashrrev_i32_e32 v1, 31, v0
	v_add_co_u32 v5, s1, s2, v2
	v_add_co_ci_u32_e64 v11, null, s3, v3, s1
	s_and_saveexec_b32 s1, s6
	s_cbranch_execz .LBB144_16
; %bb.13:
	v_lshlrev_b64 v[2:3], 2, v[0:1]
	v_mul_f32_e32 v8, s10, v8
	v_add_co_u32 v2, vcc_lo, v5, v2
	v_add_co_ci_u32_e64 v3, null, v11, v3, vcc_lo
	s_andn2_b32 vcc_lo, exec_lo, s5
	s_cbranch_vccnz .LBB144_15
; %bb.14:
	global_load_dword v12, v[2:3], off
	s_waitcnt vmcnt(0)
	v_fmac_f32_e32 v8, s9, v12
.LBB144_15:
	global_store_dword v[2:3], v8, off
.LBB144_16:
	s_or_b32 exec_lo, exec_lo, s1
	v_add_nc_u32_e32 v2, 16, v0
	v_cmp_le_i32_e32 vcc_lo, v2, v10
	v_ashrrev_i32_e32 v3, 31, v2
	s_and_b32 s0, s0, vcc_lo
	s_and_saveexec_b32 s1, s0
	s_cbranch_execz .LBB144_20
; %bb.17:
	v_lshlrev_b64 v[12:13], 2, v[2:3]
	v_mul_f32_e32 v8, s10, v4
	v_cmp_ne_u32_e32 vcc_lo, 1, v9
	v_add_co_u32 v4, s0, v5, v12
	v_add_co_ci_u32_e64 v5, null, v11, v13, s0
	s_cbranch_vccnz .LBB144_19
; %bb.18:
	global_load_dword v11, v[4:5], off
	s_waitcnt vmcnt(0)
	v_fmac_f32_e32 v8, s9, v11
.LBB144_19:
	global_store_dword v[4:5], v8, off
.LBB144_20:
	s_or_b32 exec_lo, exec_lo, s1
	v_add_nc_u32_e32 v8, 16, v10
	v_ashrrev_i32_e32 v10, 31, v8
	v_mul_lo_u32 v11, s41, v8
	v_mad_u64_u32 v[4:5], null, s40, v8, 0
	v_cmp_gt_i32_e64 s0, s4, v8
	v_mul_lo_u32 v10, s40, v10
	v_cmp_le_i32_e32 vcc_lo, v0, v8
	v_add3_u32 v5, v5, v10, v11
	v_lshlrev_b64 v[4:5], 2, v[4:5]
	v_add_co_u32 v4, s1, s2, v4
	v_add_co_ci_u32_e64 v5, null, s3, v5, s1
	s_and_b32 s1, s0, vcc_lo
	s_and_saveexec_b32 s2, s1
	s_cbranch_execz .LBB144_24
; %bb.21:
	v_lshlrev_b64 v[0:1], 2, v[0:1]
	v_cmp_ne_u32_e32 vcc_lo, 1, v9
	v_mul_f32_e32 v7, s10, v7
	v_add_co_u32 v0, s1, v4, v0
	v_add_co_ci_u32_e64 v1, null, v5, v1, s1
	s_cbranch_vccnz .LBB144_23
; %bb.22:
	global_load_dword v10, v[0:1], off
	s_waitcnt vmcnt(0)
	v_fmac_f32_e32 v7, s9, v10
.LBB144_23:
	global_store_dword v[0:1], v7, off
.LBB144_24:
	s_or_b32 exec_lo, exec_lo, s2
	v_cmp_le_i32_e32 vcc_lo, v2, v8
	s_and_b32 s0, s0, vcc_lo
	s_and_saveexec_b32 s1, s0
	s_cbranch_execz .LBB144_28
; %bb.25:
	v_lshlrev_b64 v[0:1], 2, v[2:3]
	v_cmp_ne_u32_e32 vcc_lo, 1, v9
	v_mul_f32_e32 v2, s10, v6
	v_add_co_u32 v0, s0, v4, v0
	v_add_co_ci_u32_e64 v1, null, v5, v1, s0
	s_cbranch_vccnz .LBB144_27
; %bb.26:
	global_load_dword v3, v[0:1], off
	s_waitcnt vmcnt(0)
	v_fmac_f32_e32 v2, s9, v3
.LBB144_27:
	global_store_dword v[0:1], v2, off
.LBB144_28:
	s_endpgm
	.section	.rodata,"a",@progbits
	.p2align	6, 0x0
	.amdhsa_kernel _ZL29rocblas_internal_gemmt_kernelIlLi16ELi32ELi8ELc78ELc78ELc85ELb0ELb0EfPKfS1_PfEviT_T9_T10_S3_lS5_S3_lS4_T11_S3_li
		.amdhsa_group_segment_fixed_size 2048
		.amdhsa_private_segment_fixed_size 0
		.amdhsa_kernarg_size 108
		.amdhsa_user_sgpr_count 6
		.amdhsa_user_sgpr_private_segment_buffer 1
		.amdhsa_user_sgpr_dispatch_ptr 0
		.amdhsa_user_sgpr_queue_ptr 0
		.amdhsa_user_sgpr_kernarg_segment_ptr 1
		.amdhsa_user_sgpr_dispatch_id 0
		.amdhsa_user_sgpr_flat_scratch_init 0
		.amdhsa_user_sgpr_private_segment_size 0
		.amdhsa_wavefront_size32 1
		.amdhsa_uses_dynamic_stack 0
		.amdhsa_system_sgpr_private_segment_wavefront_offset 0
		.amdhsa_system_sgpr_workgroup_id_x 1
		.amdhsa_system_sgpr_workgroup_id_y 1
		.amdhsa_system_sgpr_workgroup_id_z 1
		.amdhsa_system_sgpr_workgroup_info 0
		.amdhsa_system_vgpr_workitem_id 1
		.amdhsa_next_free_vgpr 46
		.amdhsa_next_free_sgpr 44
		.amdhsa_reserve_vcc 1
		.amdhsa_reserve_flat_scratch 0
		.amdhsa_float_round_mode_32 0
		.amdhsa_float_round_mode_16_64 0
		.amdhsa_float_denorm_mode_32 3
		.amdhsa_float_denorm_mode_16_64 3
		.amdhsa_dx10_clamp 1
		.amdhsa_ieee_mode 1
		.amdhsa_fp16_overflow 0
		.amdhsa_workgroup_processor_mode 1
		.amdhsa_memory_ordered 1
		.amdhsa_forward_progress 1
		.amdhsa_shared_vgpr_count 0
		.amdhsa_exception_fp_ieee_invalid_op 0
		.amdhsa_exception_fp_denorm_src 0
		.amdhsa_exception_fp_ieee_div_zero 0
		.amdhsa_exception_fp_ieee_overflow 0
		.amdhsa_exception_fp_ieee_underflow 0
		.amdhsa_exception_fp_ieee_inexact 0
		.amdhsa_exception_int_div_zero 0
	.end_amdhsa_kernel
	.section	.text._ZL29rocblas_internal_gemmt_kernelIlLi16ELi32ELi8ELc78ELc78ELc85ELb0ELb0EfPKfS1_PfEviT_T9_T10_S3_lS5_S3_lS4_T11_S3_li,"axG",@progbits,_ZL29rocblas_internal_gemmt_kernelIlLi16ELi32ELi8ELc78ELc78ELc85ELb0ELb0EfPKfS1_PfEviT_T9_T10_S3_lS5_S3_lS4_T11_S3_li,comdat
.Lfunc_end144:
	.size	_ZL29rocblas_internal_gemmt_kernelIlLi16ELi32ELi8ELc78ELc78ELc85ELb0ELb0EfPKfS1_PfEviT_T9_T10_S3_lS5_S3_lS4_T11_S3_li, .Lfunc_end144-_ZL29rocblas_internal_gemmt_kernelIlLi16ELi32ELi8ELc78ELc78ELc85ELb0ELb0EfPKfS1_PfEviT_T9_T10_S3_lS5_S3_lS4_T11_S3_li
                                        ; -- End function
	.set _ZL29rocblas_internal_gemmt_kernelIlLi16ELi32ELi8ELc78ELc78ELc85ELb0ELb0EfPKfS1_PfEviT_T9_T10_S3_lS5_S3_lS4_T11_S3_li.num_vgpr, 46
	.set _ZL29rocblas_internal_gemmt_kernelIlLi16ELi32ELi8ELc78ELc78ELc85ELb0ELb0EfPKfS1_PfEviT_T9_T10_S3_lS5_S3_lS4_T11_S3_li.num_agpr, 0
	.set _ZL29rocblas_internal_gemmt_kernelIlLi16ELi32ELi8ELc78ELc78ELc85ELb0ELb0EfPKfS1_PfEviT_T9_T10_S3_lS5_S3_lS4_T11_S3_li.numbered_sgpr, 44
	.set _ZL29rocblas_internal_gemmt_kernelIlLi16ELi32ELi8ELc78ELc78ELc85ELb0ELb0EfPKfS1_PfEviT_T9_T10_S3_lS5_S3_lS4_T11_S3_li.num_named_barrier, 0
	.set _ZL29rocblas_internal_gemmt_kernelIlLi16ELi32ELi8ELc78ELc78ELc85ELb0ELb0EfPKfS1_PfEviT_T9_T10_S3_lS5_S3_lS4_T11_S3_li.private_seg_size, 0
	.set _ZL29rocblas_internal_gemmt_kernelIlLi16ELi32ELi8ELc78ELc78ELc85ELb0ELb0EfPKfS1_PfEviT_T9_T10_S3_lS5_S3_lS4_T11_S3_li.uses_vcc, 1
	.set _ZL29rocblas_internal_gemmt_kernelIlLi16ELi32ELi8ELc78ELc78ELc85ELb0ELb0EfPKfS1_PfEviT_T9_T10_S3_lS5_S3_lS4_T11_S3_li.uses_flat_scratch, 0
	.set _ZL29rocblas_internal_gemmt_kernelIlLi16ELi32ELi8ELc78ELc78ELc85ELb0ELb0EfPKfS1_PfEviT_T9_T10_S3_lS5_S3_lS4_T11_S3_li.has_dyn_sized_stack, 0
	.set _ZL29rocblas_internal_gemmt_kernelIlLi16ELi32ELi8ELc78ELc78ELc85ELb0ELb0EfPKfS1_PfEviT_T9_T10_S3_lS5_S3_lS4_T11_S3_li.has_recursion, 0
	.set _ZL29rocblas_internal_gemmt_kernelIlLi16ELi32ELi8ELc78ELc78ELc85ELb0ELb0EfPKfS1_PfEviT_T9_T10_S3_lS5_S3_lS4_T11_S3_li.has_indirect_call, 0
	.section	.AMDGPU.csdata,"",@progbits
; Kernel info:
; codeLenInByte = 1424
; TotalNumSgprs: 46
; NumVgprs: 46
; ScratchSize: 0
; MemoryBound: 0
; FloatMode: 240
; IeeeMode: 1
; LDSByteSize: 2048 bytes/workgroup (compile time only)
; SGPRBlocks: 0
; VGPRBlocks: 5
; NumSGPRsForWavesPerEU: 46
; NumVGPRsForWavesPerEU: 46
; Occupancy: 16
; WaveLimiterHint : 0
; COMPUTE_PGM_RSRC2:SCRATCH_EN: 0
; COMPUTE_PGM_RSRC2:USER_SGPR: 6
; COMPUTE_PGM_RSRC2:TRAP_HANDLER: 0
; COMPUTE_PGM_RSRC2:TGID_X_EN: 1
; COMPUTE_PGM_RSRC2:TGID_Y_EN: 1
; COMPUTE_PGM_RSRC2:TGID_Z_EN: 1
; COMPUTE_PGM_RSRC2:TIDIG_COMP_CNT: 1
	.section	.text._ZL29rocblas_internal_gemmt_kernelIlLi16ELi32ELi8ELc78ELc84ELc85ELb0ELb0EfPKfS1_PfEviT_T9_T10_S3_lS5_S3_lS4_T11_S3_li,"axG",@progbits,_ZL29rocblas_internal_gemmt_kernelIlLi16ELi32ELi8ELc78ELc84ELc85ELb0ELb0EfPKfS1_PfEviT_T9_T10_S3_lS5_S3_lS4_T11_S3_li,comdat
	.globl	_ZL29rocblas_internal_gemmt_kernelIlLi16ELi32ELi8ELc78ELc84ELc85ELb0ELb0EfPKfS1_PfEviT_T9_T10_S3_lS5_S3_lS4_T11_S3_li ; -- Begin function _ZL29rocblas_internal_gemmt_kernelIlLi16ELi32ELi8ELc78ELc84ELc85ELb0ELb0EfPKfS1_PfEviT_T9_T10_S3_lS5_S3_lS4_T11_S3_li
	.p2align	8
	.type	_ZL29rocblas_internal_gemmt_kernelIlLi16ELi32ELi8ELc78ELc84ELc85ELb0ELb0EfPKfS1_PfEviT_T9_T10_S3_lS5_S3_lS4_T11_S3_li,@function
_ZL29rocblas_internal_gemmt_kernelIlLi16ELi32ELi8ELc78ELc84ELc85ELb0ELb0EfPKfS1_PfEviT_T9_T10_S3_lS5_S3_lS4_T11_S3_li: ; @_ZL29rocblas_internal_gemmt_kernelIlLi16ELi32ELi8ELc78ELc84ELc85ELb0ELb0EfPKfS1_PfEviT_T9_T10_S3_lS5_S3_lS4_T11_S3_li
; %bb.0:
	s_clause 0x1
	s_load_dwordx8 s[36:43], s[4:5], 0x48
	s_load_dwordx16 s[12:27], s[4:5], 0x8
	s_waitcnt lgkmcnt(0)
	s_load_dword s9, s[36:37], 0x0
	s_load_dword s10, s[14:15], 0x0
	s_waitcnt lgkmcnt(0)
	v_cmp_neq_f32_e64 s0, s9, 1.0
	s_and_b32 vcc_lo, exec_lo, s0
	s_cbranch_vccnz .LBB145_2
; %bb.1:
	v_cmp_neq_f32_e64 s0, s10, 0
	s_cmp_lg_u64 s[12:13], 0
	s_cselect_b32 s1, -1, 0
	s_and_b32 s0, s1, s0
.LBB145_2:
	s_andn2_b32 vcc_lo, exec_lo, s0
	s_cbranch_vccnz .LBB145_28
; %bb.3:
	s_load_dword s4, s[4:5], 0x0
	v_cmp_lt_i64_e64 s0, s[12:13], 1
	v_cmp_eq_f32_e64 s1, s10, 0
	v_mov_b32_e32 v5, 0
	v_mov_b32_e32 v4, 0
	;; [unrolled: 1-line block ×4, first 2 shown]
	s_or_b32 s0, s1, s0
	s_lshl_b32 s5, s6, 5
	s_and_b32 vcc_lo, exec_lo, s0
	s_lshl_b32 s6, s7, 5
	s_cbranch_vccnz .LBB145_12
; %bb.4:
	v_lshl_add_u32 v3, v1, 4, v0
	s_mul_i32 s1, s27, s8
	s_mul_hi_u32 s2, s26, s8
	s_mul_i32 s0, s26, s8
	s_add_i32 s1, s2, s1
	v_and_b32_e32 v5, 31, v3
	v_lshrrev_b32_e32 v11, 3, v3
	s_lshl_b64 s[0:1], s[0:1], 2
	v_and_b32_e32 v8, 7, v0
	v_lshrrev_b32_e32 v9, 5, v3
	v_or_b32_e32 v2, s5, v5
	v_add_nc_u32_e32 v4, s6, v11
	s_add_u32 s2, s22, s0
	s_mul_i32 s0, s21, s8
	s_mul_hi_u32 s3, s20, s8
	v_ashrrev_i32_e32 v3, 31, v2
	v_lshlrev_b32_e32 v10, 2, v5
	v_ashrrev_i32_e32 v5, 31, v4
	s_addc_u32 s7, s23, s1
	s_add_i32 s1, s3, s0
	s_mul_i32 s0, s20, s8
	v_lshlrev_b32_e32 v12, 2, v8
	s_lshl_b64 s[0:1], s[0:1], 2
	v_lshlrev_b64 v[6:7], 2, v[2:3]
	s_add_u32 s3, s16, s0
	s_waitcnt lgkmcnt(0)
	v_cmp_gt_i32_e64 s0, s4, v2
	v_lshlrev_b64 v[2:3], 2, v[4:5]
	v_lshl_or_b32 v13, v11, 5, v12
	s_addc_u32 s1, s17, s1
	v_add_co_u32 v11, vcc_lo, s3, v6
	v_add_co_ci_u32_e64 v12, null, s1, v7, vcc_lo
	v_add_co_u32 v14, vcc_lo, s2, v2
	v_lshl_or_b32 v10, v9, 7, v10
	v_cmp_gt_i32_e64 s1, s4, v4
	v_add_nc_u32_e32 v13, 0x400, v13
	v_add_co_ci_u32_e64 v15, null, s7, v3, vcc_lo
	v_lshlrev_b32_e32 v16, 2, v0
	v_lshl_add_u32 v17, v1, 5, 0x400
	v_mov_b32_e32 v3, 0
	v_mov_b32_e32 v6, 0
	;; [unrolled: 1-line block ×5, first 2 shown]
	s_mov_b64 s[2:3], 0
	s_branch .LBB145_6
.LBB145_5:                              ;   in Loop: Header=BB145_6 Depth=1
	s_or_b32 exec_lo, exec_lo, s7
	s_waitcnt vmcnt(0)
	ds_write_b32 v13, v19
	s_waitcnt lgkmcnt(0)
	s_barrier
	buffer_gl0_inv
	ds_read_b128 v[18:21], v17
	ds_read2_b32 v[34:35], v16 offset1:16
	ds_read_b128 v[22:25], v17 offset:512
	ds_read2_b32 v[36:37], v16 offset0:32 offset1:48
	ds_read2_b32 v[38:39], v16 offset0:64 offset1:80
	;; [unrolled: 1-line block ×3, first 2 shown]
	ds_read_b128 v[26:29], v17 offset:16
	ds_read2_b32 v[42:43], v16 offset0:128 offset1:144
	ds_read_b128 v[30:33], v17 offset:528
	ds_read2_b32 v[44:45], v16 offset0:160 offset1:176
	s_add_u32 s2, s2, 8
	s_addc_u32 s3, s3, 0
	v_cmp_gt_i64_e64 s7, s[12:13], s[2:3]
	s_and_b32 vcc_lo, exec_lo, s7
	s_waitcnt lgkmcnt(8)
	v_fmac_f32_e32 v5, v34, v18
	v_fmac_f32_e32 v4, v35, v18
	s_waitcnt lgkmcnt(7)
	v_fmac_f32_e32 v7, v34, v22
	v_fmac_f32_e32 v6, v35, v22
	ds_read2_b32 v[34:35], v16 offset0:192 offset1:208
	s_waitcnt lgkmcnt(7)
	v_fmac_f32_e32 v5, v36, v19
	v_fmac_f32_e32 v4, v37, v19
	;; [unrolled: 1-line block ×4, first 2 shown]
	ds_read2_b32 v[18:19], v16 offset0:224 offset1:240
	s_waitcnt lgkmcnt(7)
	v_fmac_f32_e32 v5, v38, v20
	v_fmac_f32_e32 v4, v39, v20
	;; [unrolled: 1-line block ×4, first 2 shown]
	s_waitcnt lgkmcnt(0)
	v_fmac_f32_e32 v5, v40, v21
	v_fmac_f32_e32 v4, v41, v21
	;; [unrolled: 1-line block ×4, first 2 shown]
	s_barrier
	v_fmac_f32_e32 v5, v42, v26
	v_fmac_f32_e32 v4, v43, v26
	;; [unrolled: 1-line block ×4, first 2 shown]
	buffer_gl0_inv
	v_fmac_f32_e32 v5, v44, v27
	v_fmac_f32_e32 v4, v45, v27
	;; [unrolled: 1-line block ×12, first 2 shown]
	s_cbranch_vccz .LBB145_12
.LBB145_6:                              ; =>This Inner Loop Header: Depth=1
	v_mov_b32_e32 v18, 0
	s_and_saveexec_b32 s7, s0
	s_cbranch_execz .LBB145_10
; %bb.7:                                ;   in Loop: Header=BB145_6 Depth=1
	v_add_nc_u32_e32 v2, s2, v9
	v_mov_b32_e32 v18, 0
	s_mov_b32 s11, exec_lo
	v_cmpx_gt_u64_e64 s[12:13], v[2:3]
	s_cbranch_execz .LBB145_9
; %bb.8:                                ;   in Loop: Header=BB145_6 Depth=1
	v_mad_u64_u32 v[18:19], null, s18, v2, 0
	v_mad_u64_u32 v[19:20], null, s19, v2, v[19:20]
	v_lshlrev_b64 v[18:19], 2, v[18:19]
	v_add_co_u32 v18, vcc_lo, v11, v18
	v_add_co_ci_u32_e64 v19, null, v12, v19, vcc_lo
	global_load_dword v18, v[18:19], off
.LBB145_9:                              ;   in Loop: Header=BB145_6 Depth=1
	s_or_b32 exec_lo, exec_lo, s11
.LBB145_10:                             ;   in Loop: Header=BB145_6 Depth=1
	s_or_b32 exec_lo, exec_lo, s7
	v_add_nc_u32_e32 v2, s2, v8
	v_mov_b32_e32 v19, 0
	s_waitcnt vmcnt(0)
	ds_write_b32 v10, v18
	v_cmp_gt_u64_e32 vcc_lo, s[12:13], v[2:3]
	s_and_b32 s11, vcc_lo, s1
	s_and_saveexec_b32 s7, s11
	s_cbranch_execz .LBB145_5
; %bb.11:                               ;   in Loop: Header=BB145_6 Depth=1
	v_mad_u64_u32 v[18:19], null, s24, v2, 0
	v_mad_u64_u32 v[19:20], null, s25, v2, v[19:20]
	v_lshlrev_b64 v[18:19], 2, v[18:19]
	v_add_co_u32 v18, vcc_lo, v14, v18
	v_add_co_ci_u32_e64 v19, null, v15, v19, vcc_lo
	global_load_dword v19, v[18:19], off
	s_branch .LBB145_5
.LBB145_12:
	v_add_nc_u32_e32 v9, s6, v1
	s_mul_i32 s1, s43, s8
	s_mul_hi_u32 s2, s42, s8
	s_mul_i32 s0, s42, s8
	s_add_i32 s1, s2, s1
	v_ashrrev_i32_e32 v3, 31, v9
	v_mul_lo_u32 v8, s41, v9
	v_mad_u64_u32 v[1:2], null, s40, v9, 0
	v_add_nc_u32_e32 v0, s5, v0
	v_mul_lo_u32 v3, s40, v3
	s_lshl_b64 s[2:3], s[0:1], 2
	v_cmp_neq_f32_e64 s5, s9, 0
	s_add_u32 s2, s38, s2
	s_waitcnt lgkmcnt(0)
	v_cmp_gt_i32_e64 s0, s4, v9
	v_cmp_le_i32_e32 vcc_lo, v0, v9
	s_addc_u32 s3, s39, s3
	v_add3_u32 v2, v2, v3, v8
	v_cndmask_b32_e64 v8, 0, 1, s5
	s_and_b32 s6, s0, vcc_lo
	v_lshlrev_b64 v[2:3], 2, v[1:2]
	v_ashrrev_i32_e32 v1, 31, v0
	v_add_co_u32 v10, s1, s2, v2
	v_add_co_ci_u32_e64 v11, null, s3, v3, s1
	s_and_saveexec_b32 s1, s6
	s_cbranch_execz .LBB145_16
; %bb.13:
	v_lshlrev_b64 v[2:3], 2, v[0:1]
	v_mul_f32_e32 v5, s10, v5
	v_add_co_u32 v2, vcc_lo, v10, v2
	v_add_co_ci_u32_e64 v3, null, v11, v3, vcc_lo
	s_andn2_b32 vcc_lo, exec_lo, s5
	s_cbranch_vccnz .LBB145_15
; %bb.14:
	global_load_dword v12, v[2:3], off
	s_waitcnt vmcnt(0)
	v_fmac_f32_e32 v5, s9, v12
.LBB145_15:
	global_store_dword v[2:3], v5, off
.LBB145_16:
	s_or_b32 exec_lo, exec_lo, s1
	v_add_nc_u32_e32 v2, 16, v0
	v_cmp_le_i32_e32 vcc_lo, v2, v9
	v_ashrrev_i32_e32 v3, 31, v2
	s_and_b32 s0, s0, vcc_lo
	s_and_saveexec_b32 s1, s0
	s_cbranch_execz .LBB145_20
; %bb.17:
	v_lshlrev_b64 v[13:14], 2, v[2:3]
	v_mul_f32_e32 v12, s10, v4
	v_cmp_ne_u32_e32 vcc_lo, 1, v8
	v_add_co_u32 v4, s0, v10, v13
	v_add_co_ci_u32_e64 v5, null, v11, v14, s0
	s_cbranch_vccnz .LBB145_19
; %bb.18:
	global_load_dword v10, v[4:5], off
	s_waitcnt vmcnt(0)
	v_fmac_f32_e32 v12, s9, v10
.LBB145_19:
	global_store_dword v[4:5], v12, off
.LBB145_20:
	s_or_b32 exec_lo, exec_lo, s1
	v_add_nc_u32_e32 v9, 16, v9
	v_ashrrev_i32_e32 v10, 31, v9
	v_mul_lo_u32 v11, s41, v9
	v_mad_u64_u32 v[4:5], null, s40, v9, 0
	v_cmp_gt_i32_e64 s0, s4, v9
	v_mul_lo_u32 v10, s40, v10
	v_cmp_le_i32_e32 vcc_lo, v0, v9
	v_add3_u32 v5, v5, v10, v11
	v_lshlrev_b64 v[4:5], 2, v[4:5]
	v_add_co_u32 v4, s1, s2, v4
	v_add_co_ci_u32_e64 v5, null, s3, v5, s1
	s_and_b32 s1, s0, vcc_lo
	s_and_saveexec_b32 s2, s1
	s_cbranch_execz .LBB145_24
; %bb.21:
	v_lshlrev_b64 v[0:1], 2, v[0:1]
	v_cmp_ne_u32_e32 vcc_lo, 1, v8
	v_mul_f32_e32 v7, s10, v7
	v_add_co_u32 v0, s1, v4, v0
	v_add_co_ci_u32_e64 v1, null, v5, v1, s1
	s_cbranch_vccnz .LBB145_23
; %bb.22:
	global_load_dword v10, v[0:1], off
	s_waitcnt vmcnt(0)
	v_fmac_f32_e32 v7, s9, v10
.LBB145_23:
	global_store_dword v[0:1], v7, off
.LBB145_24:
	s_or_b32 exec_lo, exec_lo, s2
	v_cmp_le_i32_e32 vcc_lo, v2, v9
	s_and_b32 s0, s0, vcc_lo
	s_and_saveexec_b32 s1, s0
	s_cbranch_execz .LBB145_28
; %bb.25:
	v_lshlrev_b64 v[0:1], 2, v[2:3]
	v_cmp_ne_u32_e32 vcc_lo, 1, v8
	v_mul_f32_e32 v2, s10, v6
	v_add_co_u32 v0, s0, v4, v0
	v_add_co_ci_u32_e64 v1, null, v5, v1, s0
	s_cbranch_vccnz .LBB145_27
; %bb.26:
	global_load_dword v3, v[0:1], off
	s_waitcnt vmcnt(0)
	v_fmac_f32_e32 v2, s9, v3
.LBB145_27:
	global_store_dword v[0:1], v2, off
.LBB145_28:
	s_endpgm
	.section	.rodata,"a",@progbits
	.p2align	6, 0x0
	.amdhsa_kernel _ZL29rocblas_internal_gemmt_kernelIlLi16ELi32ELi8ELc78ELc84ELc85ELb0ELb0EfPKfS1_PfEviT_T9_T10_S3_lS5_S3_lS4_T11_S3_li
		.amdhsa_group_segment_fixed_size 2048
		.amdhsa_private_segment_fixed_size 0
		.amdhsa_kernarg_size 108
		.amdhsa_user_sgpr_count 6
		.amdhsa_user_sgpr_private_segment_buffer 1
		.amdhsa_user_sgpr_dispatch_ptr 0
		.amdhsa_user_sgpr_queue_ptr 0
		.amdhsa_user_sgpr_kernarg_segment_ptr 1
		.amdhsa_user_sgpr_dispatch_id 0
		.amdhsa_user_sgpr_flat_scratch_init 0
		.amdhsa_user_sgpr_private_segment_size 0
		.amdhsa_wavefront_size32 1
		.amdhsa_uses_dynamic_stack 0
		.amdhsa_system_sgpr_private_segment_wavefront_offset 0
		.amdhsa_system_sgpr_workgroup_id_x 1
		.amdhsa_system_sgpr_workgroup_id_y 1
		.amdhsa_system_sgpr_workgroup_id_z 1
		.amdhsa_system_sgpr_workgroup_info 0
		.amdhsa_system_vgpr_workitem_id 1
		.amdhsa_next_free_vgpr 46
		.amdhsa_next_free_sgpr 44
		.amdhsa_reserve_vcc 1
		.amdhsa_reserve_flat_scratch 0
		.amdhsa_float_round_mode_32 0
		.amdhsa_float_round_mode_16_64 0
		.amdhsa_float_denorm_mode_32 3
		.amdhsa_float_denorm_mode_16_64 3
		.amdhsa_dx10_clamp 1
		.amdhsa_ieee_mode 1
		.amdhsa_fp16_overflow 0
		.amdhsa_workgroup_processor_mode 1
		.amdhsa_memory_ordered 1
		.amdhsa_forward_progress 1
		.amdhsa_shared_vgpr_count 0
		.amdhsa_exception_fp_ieee_invalid_op 0
		.amdhsa_exception_fp_denorm_src 0
		.amdhsa_exception_fp_ieee_div_zero 0
		.amdhsa_exception_fp_ieee_overflow 0
		.amdhsa_exception_fp_ieee_underflow 0
		.amdhsa_exception_fp_ieee_inexact 0
		.amdhsa_exception_int_div_zero 0
	.end_amdhsa_kernel
	.section	.text._ZL29rocblas_internal_gemmt_kernelIlLi16ELi32ELi8ELc78ELc84ELc85ELb0ELb0EfPKfS1_PfEviT_T9_T10_S3_lS5_S3_lS4_T11_S3_li,"axG",@progbits,_ZL29rocblas_internal_gemmt_kernelIlLi16ELi32ELi8ELc78ELc84ELc85ELb0ELb0EfPKfS1_PfEviT_T9_T10_S3_lS5_S3_lS4_T11_S3_li,comdat
.Lfunc_end145:
	.size	_ZL29rocblas_internal_gemmt_kernelIlLi16ELi32ELi8ELc78ELc84ELc85ELb0ELb0EfPKfS1_PfEviT_T9_T10_S3_lS5_S3_lS4_T11_S3_li, .Lfunc_end145-_ZL29rocblas_internal_gemmt_kernelIlLi16ELi32ELi8ELc78ELc84ELc85ELb0ELb0EfPKfS1_PfEviT_T9_T10_S3_lS5_S3_lS4_T11_S3_li
                                        ; -- End function
	.set _ZL29rocblas_internal_gemmt_kernelIlLi16ELi32ELi8ELc78ELc84ELc85ELb0ELb0EfPKfS1_PfEviT_T9_T10_S3_lS5_S3_lS4_T11_S3_li.num_vgpr, 46
	.set _ZL29rocblas_internal_gemmt_kernelIlLi16ELi32ELi8ELc78ELc84ELc85ELb0ELb0EfPKfS1_PfEviT_T9_T10_S3_lS5_S3_lS4_T11_S3_li.num_agpr, 0
	.set _ZL29rocblas_internal_gemmt_kernelIlLi16ELi32ELi8ELc78ELc84ELc85ELb0ELb0EfPKfS1_PfEviT_T9_T10_S3_lS5_S3_lS4_T11_S3_li.numbered_sgpr, 44
	.set _ZL29rocblas_internal_gemmt_kernelIlLi16ELi32ELi8ELc78ELc84ELc85ELb0ELb0EfPKfS1_PfEviT_T9_T10_S3_lS5_S3_lS4_T11_S3_li.num_named_barrier, 0
	.set _ZL29rocblas_internal_gemmt_kernelIlLi16ELi32ELi8ELc78ELc84ELc85ELb0ELb0EfPKfS1_PfEviT_T9_T10_S3_lS5_S3_lS4_T11_S3_li.private_seg_size, 0
	.set _ZL29rocblas_internal_gemmt_kernelIlLi16ELi32ELi8ELc78ELc84ELc85ELb0ELb0EfPKfS1_PfEviT_T9_T10_S3_lS5_S3_lS4_T11_S3_li.uses_vcc, 1
	.set _ZL29rocblas_internal_gemmt_kernelIlLi16ELi32ELi8ELc78ELc84ELc85ELb0ELb0EfPKfS1_PfEviT_T9_T10_S3_lS5_S3_lS4_T11_S3_li.uses_flat_scratch, 0
	.set _ZL29rocblas_internal_gemmt_kernelIlLi16ELi32ELi8ELc78ELc84ELc85ELb0ELb0EfPKfS1_PfEviT_T9_T10_S3_lS5_S3_lS4_T11_S3_li.has_dyn_sized_stack, 0
	.set _ZL29rocblas_internal_gemmt_kernelIlLi16ELi32ELi8ELc78ELc84ELc85ELb0ELb0EfPKfS1_PfEviT_T9_T10_S3_lS5_S3_lS4_T11_S3_li.has_recursion, 0
	.set _ZL29rocblas_internal_gemmt_kernelIlLi16ELi32ELi8ELc78ELc84ELc85ELb0ELb0EfPKfS1_PfEviT_T9_T10_S3_lS5_S3_lS4_T11_S3_li.has_indirect_call, 0
	.section	.AMDGPU.csdata,"",@progbits
; Kernel info:
; codeLenInByte = 1408
; TotalNumSgprs: 46
; NumVgprs: 46
; ScratchSize: 0
; MemoryBound: 0
; FloatMode: 240
; IeeeMode: 1
; LDSByteSize: 2048 bytes/workgroup (compile time only)
; SGPRBlocks: 0
; VGPRBlocks: 5
; NumSGPRsForWavesPerEU: 46
; NumVGPRsForWavesPerEU: 46
; Occupancy: 16
; WaveLimiterHint : 0
; COMPUTE_PGM_RSRC2:SCRATCH_EN: 0
; COMPUTE_PGM_RSRC2:USER_SGPR: 6
; COMPUTE_PGM_RSRC2:TRAP_HANDLER: 0
; COMPUTE_PGM_RSRC2:TGID_X_EN: 1
; COMPUTE_PGM_RSRC2:TGID_Y_EN: 1
; COMPUTE_PGM_RSRC2:TGID_Z_EN: 1
; COMPUTE_PGM_RSRC2:TIDIG_COMP_CNT: 1
	.section	.text._ZL29rocblas_internal_gemmt_kernelIlLi16ELi32ELi8ELc78ELc67ELc85ELb0ELb0EfPKfS1_PfEviT_T9_T10_S3_lS5_S3_lS4_T11_S3_li,"axG",@progbits,_ZL29rocblas_internal_gemmt_kernelIlLi16ELi32ELi8ELc78ELc67ELc85ELb0ELb0EfPKfS1_PfEviT_T9_T10_S3_lS5_S3_lS4_T11_S3_li,comdat
	.globl	_ZL29rocblas_internal_gemmt_kernelIlLi16ELi32ELi8ELc78ELc67ELc85ELb0ELb0EfPKfS1_PfEviT_T9_T10_S3_lS5_S3_lS4_T11_S3_li ; -- Begin function _ZL29rocblas_internal_gemmt_kernelIlLi16ELi32ELi8ELc78ELc67ELc85ELb0ELb0EfPKfS1_PfEviT_T9_T10_S3_lS5_S3_lS4_T11_S3_li
	.p2align	8
	.type	_ZL29rocblas_internal_gemmt_kernelIlLi16ELi32ELi8ELc78ELc67ELc85ELb0ELb0EfPKfS1_PfEviT_T9_T10_S3_lS5_S3_lS4_T11_S3_li,@function
_ZL29rocblas_internal_gemmt_kernelIlLi16ELi32ELi8ELc78ELc67ELc85ELb0ELb0EfPKfS1_PfEviT_T9_T10_S3_lS5_S3_lS4_T11_S3_li: ; @_ZL29rocblas_internal_gemmt_kernelIlLi16ELi32ELi8ELc78ELc67ELc85ELb0ELb0EfPKfS1_PfEviT_T9_T10_S3_lS5_S3_lS4_T11_S3_li
; %bb.0:
	s_clause 0x1
	s_load_dwordx8 s[36:43], s[4:5], 0x48
	s_load_dwordx16 s[12:27], s[4:5], 0x8
	s_waitcnt lgkmcnt(0)
	s_load_dword s9, s[36:37], 0x0
	s_load_dword s10, s[14:15], 0x0
	s_waitcnt lgkmcnt(0)
	v_cmp_neq_f32_e64 s0, s9, 1.0
	s_and_b32 vcc_lo, exec_lo, s0
	s_cbranch_vccnz .LBB146_2
; %bb.1:
	v_cmp_neq_f32_e64 s0, s10, 0
	s_cmp_lg_u64 s[12:13], 0
	s_cselect_b32 s1, -1, 0
	s_and_b32 s0, s1, s0
.LBB146_2:
	s_andn2_b32 vcc_lo, exec_lo, s0
	s_cbranch_vccnz .LBB146_28
; %bb.3:
	s_load_dword s4, s[4:5], 0x0
	v_cmp_lt_i64_e64 s0, s[12:13], 1
	v_cmp_eq_f32_e64 s1, s10, 0
	v_mov_b32_e32 v5, 0
	v_mov_b32_e32 v4, 0
	;; [unrolled: 1-line block ×4, first 2 shown]
	s_or_b32 s0, s1, s0
	s_lshl_b32 s5, s6, 5
	s_and_b32 vcc_lo, exec_lo, s0
	s_lshl_b32 s6, s7, 5
	s_cbranch_vccnz .LBB146_12
; %bb.4:
	v_lshl_add_u32 v3, v1, 4, v0
	s_mul_i32 s1, s27, s8
	s_mul_hi_u32 s2, s26, s8
	s_mul_i32 s0, s26, s8
	s_add_i32 s1, s2, s1
	v_and_b32_e32 v5, 31, v3
	v_lshrrev_b32_e32 v11, 3, v3
	s_lshl_b64 s[0:1], s[0:1], 2
	v_and_b32_e32 v8, 7, v0
	v_lshrrev_b32_e32 v9, 5, v3
	v_or_b32_e32 v2, s5, v5
	v_add_nc_u32_e32 v4, s6, v11
	s_add_u32 s2, s22, s0
	s_mul_i32 s0, s21, s8
	s_mul_hi_u32 s3, s20, s8
	v_ashrrev_i32_e32 v3, 31, v2
	v_lshlrev_b32_e32 v10, 2, v5
	v_ashrrev_i32_e32 v5, 31, v4
	s_addc_u32 s7, s23, s1
	s_add_i32 s1, s3, s0
	s_mul_i32 s0, s20, s8
	v_lshlrev_b32_e32 v12, 2, v8
	s_lshl_b64 s[0:1], s[0:1], 2
	v_lshlrev_b64 v[6:7], 2, v[2:3]
	s_add_u32 s3, s16, s0
	s_waitcnt lgkmcnt(0)
	v_cmp_gt_i32_e64 s0, s4, v2
	v_lshlrev_b64 v[2:3], 2, v[4:5]
	v_lshl_or_b32 v13, v11, 5, v12
	s_addc_u32 s1, s17, s1
	v_add_co_u32 v11, vcc_lo, s3, v6
	v_add_co_ci_u32_e64 v12, null, s1, v7, vcc_lo
	v_add_co_u32 v14, vcc_lo, s2, v2
	v_lshl_or_b32 v10, v9, 7, v10
	v_cmp_gt_i32_e64 s1, s4, v4
	v_add_nc_u32_e32 v13, 0x400, v13
	v_add_co_ci_u32_e64 v15, null, s7, v3, vcc_lo
	v_lshlrev_b32_e32 v16, 2, v0
	v_lshl_add_u32 v17, v1, 5, 0x400
	v_mov_b32_e32 v3, 0
	v_mov_b32_e32 v6, 0
	;; [unrolled: 1-line block ×5, first 2 shown]
	s_mov_b64 s[2:3], 0
	s_branch .LBB146_6
.LBB146_5:                              ;   in Loop: Header=BB146_6 Depth=1
	s_or_b32 exec_lo, exec_lo, s7
	s_waitcnt vmcnt(0)
	ds_write_b32 v13, v19
	s_waitcnt lgkmcnt(0)
	s_barrier
	buffer_gl0_inv
	ds_read_b128 v[18:21], v17
	ds_read2_b32 v[34:35], v16 offset1:16
	ds_read_b128 v[22:25], v17 offset:512
	ds_read2_b32 v[36:37], v16 offset0:32 offset1:48
	ds_read2_b32 v[38:39], v16 offset0:64 offset1:80
	;; [unrolled: 1-line block ×3, first 2 shown]
	ds_read_b128 v[26:29], v17 offset:16
	ds_read2_b32 v[42:43], v16 offset0:128 offset1:144
	ds_read_b128 v[30:33], v17 offset:528
	ds_read2_b32 v[44:45], v16 offset0:160 offset1:176
	s_add_u32 s2, s2, 8
	s_addc_u32 s3, s3, 0
	v_cmp_gt_i64_e64 s7, s[12:13], s[2:3]
	s_and_b32 vcc_lo, exec_lo, s7
	s_waitcnt lgkmcnt(8)
	v_fmac_f32_e32 v5, v34, v18
	v_fmac_f32_e32 v4, v35, v18
	s_waitcnt lgkmcnt(7)
	v_fmac_f32_e32 v7, v34, v22
	v_fmac_f32_e32 v6, v35, v22
	ds_read2_b32 v[34:35], v16 offset0:192 offset1:208
	s_waitcnt lgkmcnt(7)
	v_fmac_f32_e32 v5, v36, v19
	v_fmac_f32_e32 v4, v37, v19
	v_fmac_f32_e32 v7, v36, v23
	v_fmac_f32_e32 v6, v37, v23
	ds_read2_b32 v[18:19], v16 offset0:224 offset1:240
	s_waitcnt lgkmcnt(7)
	v_fmac_f32_e32 v5, v38, v20
	v_fmac_f32_e32 v4, v39, v20
	;; [unrolled: 1-line block ×4, first 2 shown]
	s_waitcnt lgkmcnt(0)
	v_fmac_f32_e32 v5, v40, v21
	v_fmac_f32_e32 v4, v41, v21
	;; [unrolled: 1-line block ×4, first 2 shown]
	s_barrier
	v_fmac_f32_e32 v5, v42, v26
	v_fmac_f32_e32 v4, v43, v26
	;; [unrolled: 1-line block ×4, first 2 shown]
	buffer_gl0_inv
	v_fmac_f32_e32 v5, v44, v27
	v_fmac_f32_e32 v4, v45, v27
	;; [unrolled: 1-line block ×12, first 2 shown]
	s_cbranch_vccz .LBB146_12
.LBB146_6:                              ; =>This Inner Loop Header: Depth=1
	v_mov_b32_e32 v18, 0
	s_and_saveexec_b32 s7, s0
	s_cbranch_execz .LBB146_10
; %bb.7:                                ;   in Loop: Header=BB146_6 Depth=1
	v_add_nc_u32_e32 v2, s2, v9
	v_mov_b32_e32 v18, 0
	s_mov_b32 s11, exec_lo
	v_cmpx_gt_u64_e64 s[12:13], v[2:3]
	s_cbranch_execz .LBB146_9
; %bb.8:                                ;   in Loop: Header=BB146_6 Depth=1
	v_mad_u64_u32 v[18:19], null, s18, v2, 0
	v_mad_u64_u32 v[19:20], null, s19, v2, v[19:20]
	v_lshlrev_b64 v[18:19], 2, v[18:19]
	v_add_co_u32 v18, vcc_lo, v11, v18
	v_add_co_ci_u32_e64 v19, null, v12, v19, vcc_lo
	global_load_dword v18, v[18:19], off
.LBB146_9:                              ;   in Loop: Header=BB146_6 Depth=1
	s_or_b32 exec_lo, exec_lo, s11
.LBB146_10:                             ;   in Loop: Header=BB146_6 Depth=1
	s_or_b32 exec_lo, exec_lo, s7
	v_add_nc_u32_e32 v2, s2, v8
	v_mov_b32_e32 v19, 0
	s_waitcnt vmcnt(0)
	ds_write_b32 v10, v18
	v_cmp_gt_u64_e32 vcc_lo, s[12:13], v[2:3]
	s_and_b32 s11, vcc_lo, s1
	s_and_saveexec_b32 s7, s11
	s_cbranch_execz .LBB146_5
; %bb.11:                               ;   in Loop: Header=BB146_6 Depth=1
	v_mad_u64_u32 v[18:19], null, s24, v2, 0
	v_mad_u64_u32 v[19:20], null, s25, v2, v[19:20]
	v_lshlrev_b64 v[18:19], 2, v[18:19]
	v_add_co_u32 v18, vcc_lo, v14, v18
	v_add_co_ci_u32_e64 v19, null, v15, v19, vcc_lo
	global_load_dword v19, v[18:19], off
	s_branch .LBB146_5
.LBB146_12:
	v_add_nc_u32_e32 v9, s6, v1
	s_mul_i32 s1, s43, s8
	s_mul_hi_u32 s2, s42, s8
	s_mul_i32 s0, s42, s8
	s_add_i32 s1, s2, s1
	v_ashrrev_i32_e32 v3, 31, v9
	v_mul_lo_u32 v8, s41, v9
	v_mad_u64_u32 v[1:2], null, s40, v9, 0
	v_add_nc_u32_e32 v0, s5, v0
	v_mul_lo_u32 v3, s40, v3
	s_lshl_b64 s[2:3], s[0:1], 2
	v_cmp_neq_f32_e64 s5, s9, 0
	s_add_u32 s2, s38, s2
	s_waitcnt lgkmcnt(0)
	v_cmp_gt_i32_e64 s0, s4, v9
	v_cmp_le_i32_e32 vcc_lo, v0, v9
	s_addc_u32 s3, s39, s3
	v_add3_u32 v2, v2, v3, v8
	v_cndmask_b32_e64 v8, 0, 1, s5
	s_and_b32 s6, s0, vcc_lo
	v_lshlrev_b64 v[2:3], 2, v[1:2]
	v_ashrrev_i32_e32 v1, 31, v0
	v_add_co_u32 v10, s1, s2, v2
	v_add_co_ci_u32_e64 v11, null, s3, v3, s1
	s_and_saveexec_b32 s1, s6
	s_cbranch_execz .LBB146_16
; %bb.13:
	v_lshlrev_b64 v[2:3], 2, v[0:1]
	v_mul_f32_e32 v5, s10, v5
	v_add_co_u32 v2, vcc_lo, v10, v2
	v_add_co_ci_u32_e64 v3, null, v11, v3, vcc_lo
	s_andn2_b32 vcc_lo, exec_lo, s5
	s_cbranch_vccnz .LBB146_15
; %bb.14:
	global_load_dword v12, v[2:3], off
	s_waitcnt vmcnt(0)
	v_fmac_f32_e32 v5, s9, v12
.LBB146_15:
	global_store_dword v[2:3], v5, off
.LBB146_16:
	s_or_b32 exec_lo, exec_lo, s1
	v_add_nc_u32_e32 v2, 16, v0
	v_cmp_le_i32_e32 vcc_lo, v2, v9
	v_ashrrev_i32_e32 v3, 31, v2
	s_and_b32 s0, s0, vcc_lo
	s_and_saveexec_b32 s1, s0
	s_cbranch_execz .LBB146_20
; %bb.17:
	v_lshlrev_b64 v[13:14], 2, v[2:3]
	v_mul_f32_e32 v12, s10, v4
	v_cmp_ne_u32_e32 vcc_lo, 1, v8
	v_add_co_u32 v4, s0, v10, v13
	v_add_co_ci_u32_e64 v5, null, v11, v14, s0
	s_cbranch_vccnz .LBB146_19
; %bb.18:
	global_load_dword v10, v[4:5], off
	s_waitcnt vmcnt(0)
	v_fmac_f32_e32 v12, s9, v10
.LBB146_19:
	global_store_dword v[4:5], v12, off
.LBB146_20:
	s_or_b32 exec_lo, exec_lo, s1
	v_add_nc_u32_e32 v9, 16, v9
	v_ashrrev_i32_e32 v10, 31, v9
	v_mul_lo_u32 v11, s41, v9
	v_mad_u64_u32 v[4:5], null, s40, v9, 0
	v_cmp_gt_i32_e64 s0, s4, v9
	v_mul_lo_u32 v10, s40, v10
	v_cmp_le_i32_e32 vcc_lo, v0, v9
	v_add3_u32 v5, v5, v10, v11
	v_lshlrev_b64 v[4:5], 2, v[4:5]
	v_add_co_u32 v4, s1, s2, v4
	v_add_co_ci_u32_e64 v5, null, s3, v5, s1
	s_and_b32 s1, s0, vcc_lo
	s_and_saveexec_b32 s2, s1
	s_cbranch_execz .LBB146_24
; %bb.21:
	v_lshlrev_b64 v[0:1], 2, v[0:1]
	v_cmp_ne_u32_e32 vcc_lo, 1, v8
	v_mul_f32_e32 v7, s10, v7
	v_add_co_u32 v0, s1, v4, v0
	v_add_co_ci_u32_e64 v1, null, v5, v1, s1
	s_cbranch_vccnz .LBB146_23
; %bb.22:
	global_load_dword v10, v[0:1], off
	s_waitcnt vmcnt(0)
	v_fmac_f32_e32 v7, s9, v10
.LBB146_23:
	global_store_dword v[0:1], v7, off
.LBB146_24:
	s_or_b32 exec_lo, exec_lo, s2
	v_cmp_le_i32_e32 vcc_lo, v2, v9
	s_and_b32 s0, s0, vcc_lo
	s_and_saveexec_b32 s1, s0
	s_cbranch_execz .LBB146_28
; %bb.25:
	v_lshlrev_b64 v[0:1], 2, v[2:3]
	v_cmp_ne_u32_e32 vcc_lo, 1, v8
	v_mul_f32_e32 v2, s10, v6
	v_add_co_u32 v0, s0, v4, v0
	v_add_co_ci_u32_e64 v1, null, v5, v1, s0
	s_cbranch_vccnz .LBB146_27
; %bb.26:
	global_load_dword v3, v[0:1], off
	s_waitcnt vmcnt(0)
	v_fmac_f32_e32 v2, s9, v3
.LBB146_27:
	global_store_dword v[0:1], v2, off
.LBB146_28:
	s_endpgm
	.section	.rodata,"a",@progbits
	.p2align	6, 0x0
	.amdhsa_kernel _ZL29rocblas_internal_gemmt_kernelIlLi16ELi32ELi8ELc78ELc67ELc85ELb0ELb0EfPKfS1_PfEviT_T9_T10_S3_lS5_S3_lS4_T11_S3_li
		.amdhsa_group_segment_fixed_size 2048
		.amdhsa_private_segment_fixed_size 0
		.amdhsa_kernarg_size 108
		.amdhsa_user_sgpr_count 6
		.amdhsa_user_sgpr_private_segment_buffer 1
		.amdhsa_user_sgpr_dispatch_ptr 0
		.amdhsa_user_sgpr_queue_ptr 0
		.amdhsa_user_sgpr_kernarg_segment_ptr 1
		.amdhsa_user_sgpr_dispatch_id 0
		.amdhsa_user_sgpr_flat_scratch_init 0
		.amdhsa_user_sgpr_private_segment_size 0
		.amdhsa_wavefront_size32 1
		.amdhsa_uses_dynamic_stack 0
		.amdhsa_system_sgpr_private_segment_wavefront_offset 0
		.amdhsa_system_sgpr_workgroup_id_x 1
		.amdhsa_system_sgpr_workgroup_id_y 1
		.amdhsa_system_sgpr_workgroup_id_z 1
		.amdhsa_system_sgpr_workgroup_info 0
		.amdhsa_system_vgpr_workitem_id 1
		.amdhsa_next_free_vgpr 46
		.amdhsa_next_free_sgpr 44
		.amdhsa_reserve_vcc 1
		.amdhsa_reserve_flat_scratch 0
		.amdhsa_float_round_mode_32 0
		.amdhsa_float_round_mode_16_64 0
		.amdhsa_float_denorm_mode_32 3
		.amdhsa_float_denorm_mode_16_64 3
		.amdhsa_dx10_clamp 1
		.amdhsa_ieee_mode 1
		.amdhsa_fp16_overflow 0
		.amdhsa_workgroup_processor_mode 1
		.amdhsa_memory_ordered 1
		.amdhsa_forward_progress 1
		.amdhsa_shared_vgpr_count 0
		.amdhsa_exception_fp_ieee_invalid_op 0
		.amdhsa_exception_fp_denorm_src 0
		.amdhsa_exception_fp_ieee_div_zero 0
		.amdhsa_exception_fp_ieee_overflow 0
		.amdhsa_exception_fp_ieee_underflow 0
		.amdhsa_exception_fp_ieee_inexact 0
		.amdhsa_exception_int_div_zero 0
	.end_amdhsa_kernel
	.section	.text._ZL29rocblas_internal_gemmt_kernelIlLi16ELi32ELi8ELc78ELc67ELc85ELb0ELb0EfPKfS1_PfEviT_T9_T10_S3_lS5_S3_lS4_T11_S3_li,"axG",@progbits,_ZL29rocblas_internal_gemmt_kernelIlLi16ELi32ELi8ELc78ELc67ELc85ELb0ELb0EfPKfS1_PfEviT_T9_T10_S3_lS5_S3_lS4_T11_S3_li,comdat
.Lfunc_end146:
	.size	_ZL29rocblas_internal_gemmt_kernelIlLi16ELi32ELi8ELc78ELc67ELc85ELb0ELb0EfPKfS1_PfEviT_T9_T10_S3_lS5_S3_lS4_T11_S3_li, .Lfunc_end146-_ZL29rocblas_internal_gemmt_kernelIlLi16ELi32ELi8ELc78ELc67ELc85ELb0ELb0EfPKfS1_PfEviT_T9_T10_S3_lS5_S3_lS4_T11_S3_li
                                        ; -- End function
	.set _ZL29rocblas_internal_gemmt_kernelIlLi16ELi32ELi8ELc78ELc67ELc85ELb0ELb0EfPKfS1_PfEviT_T9_T10_S3_lS5_S3_lS4_T11_S3_li.num_vgpr, 46
	.set _ZL29rocblas_internal_gemmt_kernelIlLi16ELi32ELi8ELc78ELc67ELc85ELb0ELb0EfPKfS1_PfEviT_T9_T10_S3_lS5_S3_lS4_T11_S3_li.num_agpr, 0
	.set _ZL29rocblas_internal_gemmt_kernelIlLi16ELi32ELi8ELc78ELc67ELc85ELb0ELb0EfPKfS1_PfEviT_T9_T10_S3_lS5_S3_lS4_T11_S3_li.numbered_sgpr, 44
	.set _ZL29rocblas_internal_gemmt_kernelIlLi16ELi32ELi8ELc78ELc67ELc85ELb0ELb0EfPKfS1_PfEviT_T9_T10_S3_lS5_S3_lS4_T11_S3_li.num_named_barrier, 0
	.set _ZL29rocblas_internal_gemmt_kernelIlLi16ELi32ELi8ELc78ELc67ELc85ELb0ELb0EfPKfS1_PfEviT_T9_T10_S3_lS5_S3_lS4_T11_S3_li.private_seg_size, 0
	.set _ZL29rocblas_internal_gemmt_kernelIlLi16ELi32ELi8ELc78ELc67ELc85ELb0ELb0EfPKfS1_PfEviT_T9_T10_S3_lS5_S3_lS4_T11_S3_li.uses_vcc, 1
	.set _ZL29rocblas_internal_gemmt_kernelIlLi16ELi32ELi8ELc78ELc67ELc85ELb0ELb0EfPKfS1_PfEviT_T9_T10_S3_lS5_S3_lS4_T11_S3_li.uses_flat_scratch, 0
	.set _ZL29rocblas_internal_gemmt_kernelIlLi16ELi32ELi8ELc78ELc67ELc85ELb0ELb0EfPKfS1_PfEviT_T9_T10_S3_lS5_S3_lS4_T11_S3_li.has_dyn_sized_stack, 0
	.set _ZL29rocblas_internal_gemmt_kernelIlLi16ELi32ELi8ELc78ELc67ELc85ELb0ELb0EfPKfS1_PfEviT_T9_T10_S3_lS5_S3_lS4_T11_S3_li.has_recursion, 0
	.set _ZL29rocblas_internal_gemmt_kernelIlLi16ELi32ELi8ELc78ELc67ELc85ELb0ELb0EfPKfS1_PfEviT_T9_T10_S3_lS5_S3_lS4_T11_S3_li.has_indirect_call, 0
	.section	.AMDGPU.csdata,"",@progbits
; Kernel info:
; codeLenInByte = 1408
; TotalNumSgprs: 46
; NumVgprs: 46
; ScratchSize: 0
; MemoryBound: 0
; FloatMode: 240
; IeeeMode: 1
; LDSByteSize: 2048 bytes/workgroup (compile time only)
; SGPRBlocks: 0
; VGPRBlocks: 5
; NumSGPRsForWavesPerEU: 46
; NumVGPRsForWavesPerEU: 46
; Occupancy: 16
; WaveLimiterHint : 0
; COMPUTE_PGM_RSRC2:SCRATCH_EN: 0
; COMPUTE_PGM_RSRC2:USER_SGPR: 6
; COMPUTE_PGM_RSRC2:TRAP_HANDLER: 0
; COMPUTE_PGM_RSRC2:TGID_X_EN: 1
; COMPUTE_PGM_RSRC2:TGID_Y_EN: 1
; COMPUTE_PGM_RSRC2:TGID_Z_EN: 1
; COMPUTE_PGM_RSRC2:TIDIG_COMP_CNT: 1
	.section	.text._ZL29rocblas_internal_gemmt_kernelIlLi16ELi32ELi8ELc84ELc78ELc85ELb0ELb0EfPKfS1_PfEviT_T9_T10_S3_lS5_S3_lS4_T11_S3_li,"axG",@progbits,_ZL29rocblas_internal_gemmt_kernelIlLi16ELi32ELi8ELc84ELc78ELc85ELb0ELb0EfPKfS1_PfEviT_T9_T10_S3_lS5_S3_lS4_T11_S3_li,comdat
	.globl	_ZL29rocblas_internal_gemmt_kernelIlLi16ELi32ELi8ELc84ELc78ELc85ELb0ELb0EfPKfS1_PfEviT_T9_T10_S3_lS5_S3_lS4_T11_S3_li ; -- Begin function _ZL29rocblas_internal_gemmt_kernelIlLi16ELi32ELi8ELc84ELc78ELc85ELb0ELb0EfPKfS1_PfEviT_T9_T10_S3_lS5_S3_lS4_T11_S3_li
	.p2align	8
	.type	_ZL29rocblas_internal_gemmt_kernelIlLi16ELi32ELi8ELc84ELc78ELc85ELb0ELb0EfPKfS1_PfEviT_T9_T10_S3_lS5_S3_lS4_T11_S3_li,@function
_ZL29rocblas_internal_gemmt_kernelIlLi16ELi32ELi8ELc84ELc78ELc85ELb0ELb0EfPKfS1_PfEviT_T9_T10_S3_lS5_S3_lS4_T11_S3_li: ; @_ZL29rocblas_internal_gemmt_kernelIlLi16ELi32ELi8ELc84ELc78ELc85ELb0ELb0EfPKfS1_PfEviT_T9_T10_S3_lS5_S3_lS4_T11_S3_li
; %bb.0:
	s_clause 0x1
	s_load_dwordx8 s[36:43], s[4:5], 0x48
	s_load_dwordx16 s[12:27], s[4:5], 0x8
	s_waitcnt lgkmcnt(0)
	s_load_dword s9, s[36:37], 0x0
	s_load_dword s10, s[14:15], 0x0
	s_waitcnt lgkmcnt(0)
	v_cmp_neq_f32_e64 s0, s9, 1.0
	s_and_b32 vcc_lo, exec_lo, s0
	s_cbranch_vccnz .LBB147_2
; %bb.1:
	v_cmp_neq_f32_e64 s0, s10, 0
	s_cmp_lg_u64 s[12:13], 0
	s_cselect_b32 s1, -1, 0
	s_and_b32 s0, s1, s0
.LBB147_2:
	s_andn2_b32 vcc_lo, exec_lo, s0
	s_cbranch_vccnz .LBB147_28
; %bb.3:
	s_load_dword s4, s[4:5], 0x0
	v_cmp_lt_i64_e64 s0, s[12:13], 1
	v_cmp_eq_f32_e64 s1, s10, 0
	v_mov_b32_e32 v5, 0
	v_mov_b32_e32 v4, 0
	;; [unrolled: 1-line block ×4, first 2 shown]
	s_or_b32 s0, s1, s0
	s_lshl_b32 s5, s6, 5
	s_and_b32 vcc_lo, exec_lo, s0
	s_lshl_b32 s6, s7, 5
	s_cbranch_vccnz .LBB147_12
; %bb.4:
	v_lshl_add_u32 v6, v1, 4, v0
	s_mul_i32 s1, s27, s8
	s_mul_hi_u32 s2, s26, s8
	s_mul_i32 s0, s26, s8
	s_add_i32 s1, s2, s1
	v_lshrrev_b32_e32 v7, 3, v6
	v_and_b32_e32 v10, 31, v6
	s_lshl_b64 s[0:1], s[0:1], 2
	s_mul_hi_u32 s3, s20, s8
	s_add_u32 s2, s22, s0
	v_add_nc_u32_e32 v13, s6, v7
	v_or_b32_e32 v11, s5, v10
	s_mul_i32 s0, s21, s8
	s_addc_u32 s7, s23, s1
	s_add_i32 s1, s3, s0
	v_ashrrev_i32_e32 v4, 31, v13
	s_mul_i32 s0, s20, s8
	v_mul_lo_u32 v9, s19, v11
	v_mad_u64_u32 v[2:3], null, s18, v11, 0
	s_lshl_b64 s[0:1], s[0:1], 2
	v_mul_lo_u32 v12, s24, v4
	v_mul_lo_u32 v14, s25, v13
	v_mad_u64_u32 v[4:5], null, s24, v13, 0
	s_add_u32 s3, s16, s0
	s_addc_u32 s1, s17, s1
	s_ashr_i32 s0, s5, 31
	v_and_b32_e32 v8, 7, v0
	s_mul_i32 s0, s18, s0
	v_lshlrev_b32_e32 v16, 2, v0
	v_add3_u32 v3, v3, s0, v9
	v_add3_u32 v5, v5, v12, v14
	v_lshrrev_b32_e32 v9, 5, v6
	v_lshlrev_b32_e32 v6, 2, v10
	v_lshlrev_b32_e32 v15, 2, v8
	v_lshlrev_b64 v[2:3], 2, v[2:3]
	v_lshlrev_b64 v[4:5], 2, v[4:5]
	s_waitcnt lgkmcnt(0)
	v_cmp_gt_i32_e64 s0, s4, v11
	v_lshl_or_b32 v10, v9, 7, v6
	v_lshl_or_b32 v6, v7, 5, v15
	v_lshl_add_u32 v17, v1, 5, 0x400
	v_add_co_u32 v11, vcc_lo, s3, v2
	v_add_co_ci_u32_e64 v12, null, s1, v3, vcc_lo
	v_add_co_u32 v14, vcc_lo, s2, v4
	v_cmp_gt_i32_e64 s1, s4, v13
	v_add_nc_u32_e32 v13, 0x400, v6
	v_add_co_ci_u32_e64 v15, null, s7, v5, vcc_lo
	v_mov_b32_e32 v3, 0
	v_mov_b32_e32 v6, 0
	;; [unrolled: 1-line block ×5, first 2 shown]
	s_mov_b64 s[2:3], 0
	s_branch .LBB147_6
.LBB147_5:                              ;   in Loop: Header=BB147_6 Depth=1
	s_or_b32 exec_lo, exec_lo, s7
	s_waitcnt vmcnt(0)
	ds_write_b32 v13, v19
	s_waitcnt lgkmcnt(0)
	s_barrier
	buffer_gl0_inv
	ds_read_b128 v[18:21], v17
	ds_read2_b32 v[34:35], v16 offset1:16
	ds_read_b128 v[22:25], v17 offset:512
	ds_read2_b32 v[36:37], v16 offset0:32 offset1:48
	ds_read2_b32 v[38:39], v16 offset0:64 offset1:80
	;; [unrolled: 1-line block ×3, first 2 shown]
	ds_read_b128 v[26:29], v17 offset:16
	ds_read2_b32 v[42:43], v16 offset0:128 offset1:144
	ds_read_b128 v[30:33], v17 offset:528
	ds_read2_b32 v[44:45], v16 offset0:160 offset1:176
	s_add_u32 s2, s2, 8
	s_addc_u32 s3, s3, 0
	v_cmp_gt_i64_e64 s7, s[12:13], s[2:3]
	s_and_b32 vcc_lo, exec_lo, s7
	s_waitcnt lgkmcnt(8)
	v_fmac_f32_e32 v5, v34, v18
	v_fmac_f32_e32 v4, v35, v18
	s_waitcnt lgkmcnt(7)
	v_fmac_f32_e32 v7, v34, v22
	v_fmac_f32_e32 v6, v35, v22
	ds_read2_b32 v[34:35], v16 offset0:192 offset1:208
	s_waitcnt lgkmcnt(7)
	v_fmac_f32_e32 v5, v36, v19
	v_fmac_f32_e32 v4, v37, v19
	;; [unrolled: 1-line block ×4, first 2 shown]
	ds_read2_b32 v[18:19], v16 offset0:224 offset1:240
	s_waitcnt lgkmcnt(7)
	v_fmac_f32_e32 v5, v38, v20
	v_fmac_f32_e32 v4, v39, v20
	;; [unrolled: 1-line block ×4, first 2 shown]
	s_waitcnt lgkmcnt(0)
	v_fmac_f32_e32 v5, v40, v21
	v_fmac_f32_e32 v4, v41, v21
	;; [unrolled: 1-line block ×4, first 2 shown]
	s_barrier
	v_fmac_f32_e32 v5, v42, v26
	v_fmac_f32_e32 v4, v43, v26
	;; [unrolled: 1-line block ×4, first 2 shown]
	buffer_gl0_inv
	v_fmac_f32_e32 v5, v44, v27
	v_fmac_f32_e32 v4, v45, v27
	;; [unrolled: 1-line block ×12, first 2 shown]
	s_cbranch_vccz .LBB147_12
.LBB147_6:                              ; =>This Inner Loop Header: Depth=1
	v_mov_b32_e32 v18, 0
	s_and_saveexec_b32 s7, s0
	s_cbranch_execz .LBB147_10
; %bb.7:                                ;   in Loop: Header=BB147_6 Depth=1
	v_add_nc_u32_e32 v2, s2, v9
	v_mov_b32_e32 v18, 0
	s_mov_b32 s11, exec_lo
	v_cmpx_gt_u64_e64 s[12:13], v[2:3]
	s_cbranch_execz .LBB147_9
; %bb.8:                                ;   in Loop: Header=BB147_6 Depth=1
	v_lshlrev_b64 v[18:19], 2, v[2:3]
	v_add_co_u32 v18, vcc_lo, v11, v18
	v_add_co_ci_u32_e64 v19, null, v12, v19, vcc_lo
	global_load_dword v18, v[18:19], off
.LBB147_9:                              ;   in Loop: Header=BB147_6 Depth=1
	s_or_b32 exec_lo, exec_lo, s11
.LBB147_10:                             ;   in Loop: Header=BB147_6 Depth=1
	s_or_b32 exec_lo, exec_lo, s7
	v_add_nc_u32_e32 v2, s2, v8
	v_mov_b32_e32 v19, 0
	s_waitcnt vmcnt(0)
	ds_write_b32 v10, v18
	v_cmp_gt_u64_e32 vcc_lo, s[12:13], v[2:3]
	s_and_b32 s11, vcc_lo, s1
	s_and_saveexec_b32 s7, s11
	s_cbranch_execz .LBB147_5
; %bb.11:                               ;   in Loop: Header=BB147_6 Depth=1
	v_lshlrev_b64 v[18:19], 2, v[2:3]
	v_add_co_u32 v18, vcc_lo, v14, v18
	v_add_co_ci_u32_e64 v19, null, v15, v19, vcc_lo
	global_load_dword v19, v[18:19], off
	s_branch .LBB147_5
.LBB147_12:
	v_add_nc_u32_e32 v9, s6, v1
	s_mul_i32 s1, s43, s8
	s_mul_hi_u32 s2, s42, s8
	s_mul_i32 s0, s42, s8
	s_add_i32 s1, s2, s1
	v_ashrrev_i32_e32 v3, 31, v9
	v_mul_lo_u32 v8, s41, v9
	v_mad_u64_u32 v[1:2], null, s40, v9, 0
	v_add_nc_u32_e32 v0, s5, v0
	v_mul_lo_u32 v3, s40, v3
	s_lshl_b64 s[2:3], s[0:1], 2
	v_cmp_neq_f32_e64 s5, s9, 0
	s_add_u32 s2, s38, s2
	s_waitcnt lgkmcnt(0)
	v_cmp_gt_i32_e64 s0, s4, v9
	v_cmp_le_i32_e32 vcc_lo, v0, v9
	s_addc_u32 s3, s39, s3
	v_add3_u32 v2, v2, v3, v8
	v_cndmask_b32_e64 v8, 0, 1, s5
	s_and_b32 s6, s0, vcc_lo
	v_lshlrev_b64 v[2:3], 2, v[1:2]
	v_ashrrev_i32_e32 v1, 31, v0
	v_add_co_u32 v10, s1, s2, v2
	v_add_co_ci_u32_e64 v11, null, s3, v3, s1
	s_and_saveexec_b32 s1, s6
	s_cbranch_execz .LBB147_16
; %bb.13:
	v_lshlrev_b64 v[2:3], 2, v[0:1]
	v_mul_f32_e32 v5, s10, v5
	v_add_co_u32 v2, vcc_lo, v10, v2
	v_add_co_ci_u32_e64 v3, null, v11, v3, vcc_lo
	s_andn2_b32 vcc_lo, exec_lo, s5
	s_cbranch_vccnz .LBB147_15
; %bb.14:
	global_load_dword v12, v[2:3], off
	s_waitcnt vmcnt(0)
	v_fmac_f32_e32 v5, s9, v12
.LBB147_15:
	global_store_dword v[2:3], v5, off
.LBB147_16:
	s_or_b32 exec_lo, exec_lo, s1
	v_add_nc_u32_e32 v2, 16, v0
	v_cmp_le_i32_e32 vcc_lo, v2, v9
	v_ashrrev_i32_e32 v3, 31, v2
	s_and_b32 s0, s0, vcc_lo
	s_and_saveexec_b32 s1, s0
	s_cbranch_execz .LBB147_20
; %bb.17:
	v_lshlrev_b64 v[13:14], 2, v[2:3]
	v_mul_f32_e32 v12, s10, v4
	v_cmp_ne_u32_e32 vcc_lo, 1, v8
	v_add_co_u32 v4, s0, v10, v13
	v_add_co_ci_u32_e64 v5, null, v11, v14, s0
	s_cbranch_vccnz .LBB147_19
; %bb.18:
	global_load_dword v10, v[4:5], off
	s_waitcnt vmcnt(0)
	v_fmac_f32_e32 v12, s9, v10
.LBB147_19:
	global_store_dword v[4:5], v12, off
.LBB147_20:
	s_or_b32 exec_lo, exec_lo, s1
	v_add_nc_u32_e32 v9, 16, v9
	v_ashrrev_i32_e32 v10, 31, v9
	v_mul_lo_u32 v11, s41, v9
	v_mad_u64_u32 v[4:5], null, s40, v9, 0
	v_cmp_gt_i32_e64 s0, s4, v9
	v_mul_lo_u32 v10, s40, v10
	v_cmp_le_i32_e32 vcc_lo, v0, v9
	v_add3_u32 v5, v5, v10, v11
	v_lshlrev_b64 v[4:5], 2, v[4:5]
	v_add_co_u32 v4, s1, s2, v4
	v_add_co_ci_u32_e64 v5, null, s3, v5, s1
	s_and_b32 s1, s0, vcc_lo
	s_and_saveexec_b32 s2, s1
	s_cbranch_execz .LBB147_24
; %bb.21:
	v_lshlrev_b64 v[0:1], 2, v[0:1]
	v_cmp_ne_u32_e32 vcc_lo, 1, v8
	v_mul_f32_e32 v7, s10, v7
	v_add_co_u32 v0, s1, v4, v0
	v_add_co_ci_u32_e64 v1, null, v5, v1, s1
	s_cbranch_vccnz .LBB147_23
; %bb.22:
	global_load_dword v10, v[0:1], off
	s_waitcnt vmcnt(0)
	v_fmac_f32_e32 v7, s9, v10
.LBB147_23:
	global_store_dword v[0:1], v7, off
.LBB147_24:
	s_or_b32 exec_lo, exec_lo, s2
	v_cmp_le_i32_e32 vcc_lo, v2, v9
	s_and_b32 s0, s0, vcc_lo
	s_and_saveexec_b32 s1, s0
	s_cbranch_execz .LBB147_28
; %bb.25:
	v_lshlrev_b64 v[0:1], 2, v[2:3]
	v_cmp_ne_u32_e32 vcc_lo, 1, v8
	v_mul_f32_e32 v2, s10, v6
	v_add_co_u32 v0, s0, v4, v0
	v_add_co_ci_u32_e64 v1, null, v5, v1, s0
	s_cbranch_vccnz .LBB147_27
; %bb.26:
	global_load_dword v3, v[0:1], off
	s_waitcnt vmcnt(0)
	v_fmac_f32_e32 v2, s9, v3
.LBB147_27:
	global_store_dword v[0:1], v2, off
.LBB147_28:
	s_endpgm
	.section	.rodata,"a",@progbits
	.p2align	6, 0x0
	.amdhsa_kernel _ZL29rocblas_internal_gemmt_kernelIlLi16ELi32ELi8ELc84ELc78ELc85ELb0ELb0EfPKfS1_PfEviT_T9_T10_S3_lS5_S3_lS4_T11_S3_li
		.amdhsa_group_segment_fixed_size 2048
		.amdhsa_private_segment_fixed_size 0
		.amdhsa_kernarg_size 108
		.amdhsa_user_sgpr_count 6
		.amdhsa_user_sgpr_private_segment_buffer 1
		.amdhsa_user_sgpr_dispatch_ptr 0
		.amdhsa_user_sgpr_queue_ptr 0
		.amdhsa_user_sgpr_kernarg_segment_ptr 1
		.amdhsa_user_sgpr_dispatch_id 0
		.amdhsa_user_sgpr_flat_scratch_init 0
		.amdhsa_user_sgpr_private_segment_size 0
		.amdhsa_wavefront_size32 1
		.amdhsa_uses_dynamic_stack 0
		.amdhsa_system_sgpr_private_segment_wavefront_offset 0
		.amdhsa_system_sgpr_workgroup_id_x 1
		.amdhsa_system_sgpr_workgroup_id_y 1
		.amdhsa_system_sgpr_workgroup_id_z 1
		.amdhsa_system_sgpr_workgroup_info 0
		.amdhsa_system_vgpr_workitem_id 1
		.amdhsa_next_free_vgpr 46
		.amdhsa_next_free_sgpr 44
		.amdhsa_reserve_vcc 1
		.amdhsa_reserve_flat_scratch 0
		.amdhsa_float_round_mode_32 0
		.amdhsa_float_round_mode_16_64 0
		.amdhsa_float_denorm_mode_32 3
		.amdhsa_float_denorm_mode_16_64 3
		.amdhsa_dx10_clamp 1
		.amdhsa_ieee_mode 1
		.amdhsa_fp16_overflow 0
		.amdhsa_workgroup_processor_mode 1
		.amdhsa_memory_ordered 1
		.amdhsa_forward_progress 1
		.amdhsa_shared_vgpr_count 0
		.amdhsa_exception_fp_ieee_invalid_op 0
		.amdhsa_exception_fp_denorm_src 0
		.amdhsa_exception_fp_ieee_div_zero 0
		.amdhsa_exception_fp_ieee_overflow 0
		.amdhsa_exception_fp_ieee_underflow 0
		.amdhsa_exception_fp_ieee_inexact 0
		.amdhsa_exception_int_div_zero 0
	.end_amdhsa_kernel
	.section	.text._ZL29rocblas_internal_gemmt_kernelIlLi16ELi32ELi8ELc84ELc78ELc85ELb0ELb0EfPKfS1_PfEviT_T9_T10_S3_lS5_S3_lS4_T11_S3_li,"axG",@progbits,_ZL29rocblas_internal_gemmt_kernelIlLi16ELi32ELi8ELc84ELc78ELc85ELb0ELb0EfPKfS1_PfEviT_T9_T10_S3_lS5_S3_lS4_T11_S3_li,comdat
.Lfunc_end147:
	.size	_ZL29rocblas_internal_gemmt_kernelIlLi16ELi32ELi8ELc84ELc78ELc85ELb0ELb0EfPKfS1_PfEviT_T9_T10_S3_lS5_S3_lS4_T11_S3_li, .Lfunc_end147-_ZL29rocblas_internal_gemmt_kernelIlLi16ELi32ELi8ELc84ELc78ELc85ELb0ELb0EfPKfS1_PfEviT_T9_T10_S3_lS5_S3_lS4_T11_S3_li
                                        ; -- End function
	.set _ZL29rocblas_internal_gemmt_kernelIlLi16ELi32ELi8ELc84ELc78ELc85ELb0ELb0EfPKfS1_PfEviT_T9_T10_S3_lS5_S3_lS4_T11_S3_li.num_vgpr, 46
	.set _ZL29rocblas_internal_gemmt_kernelIlLi16ELi32ELi8ELc84ELc78ELc85ELb0ELb0EfPKfS1_PfEviT_T9_T10_S3_lS5_S3_lS4_T11_S3_li.num_agpr, 0
	.set _ZL29rocblas_internal_gemmt_kernelIlLi16ELi32ELi8ELc84ELc78ELc85ELb0ELb0EfPKfS1_PfEviT_T9_T10_S3_lS5_S3_lS4_T11_S3_li.numbered_sgpr, 44
	.set _ZL29rocblas_internal_gemmt_kernelIlLi16ELi32ELi8ELc84ELc78ELc85ELb0ELb0EfPKfS1_PfEviT_T9_T10_S3_lS5_S3_lS4_T11_S3_li.num_named_barrier, 0
	.set _ZL29rocblas_internal_gemmt_kernelIlLi16ELi32ELi8ELc84ELc78ELc85ELb0ELb0EfPKfS1_PfEviT_T9_T10_S3_lS5_S3_lS4_T11_S3_li.private_seg_size, 0
	.set _ZL29rocblas_internal_gemmt_kernelIlLi16ELi32ELi8ELc84ELc78ELc85ELb0ELb0EfPKfS1_PfEviT_T9_T10_S3_lS5_S3_lS4_T11_S3_li.uses_vcc, 1
	.set _ZL29rocblas_internal_gemmt_kernelIlLi16ELi32ELi8ELc84ELc78ELc85ELb0ELb0EfPKfS1_PfEviT_T9_T10_S3_lS5_S3_lS4_T11_S3_li.uses_flat_scratch, 0
	.set _ZL29rocblas_internal_gemmt_kernelIlLi16ELi32ELi8ELc84ELc78ELc85ELb0ELb0EfPKfS1_PfEviT_T9_T10_S3_lS5_S3_lS4_T11_S3_li.has_dyn_sized_stack, 0
	.set _ZL29rocblas_internal_gemmt_kernelIlLi16ELi32ELi8ELc84ELc78ELc85ELb0ELb0EfPKfS1_PfEviT_T9_T10_S3_lS5_S3_lS4_T11_S3_li.has_recursion, 0
	.set _ZL29rocblas_internal_gemmt_kernelIlLi16ELi32ELi8ELc84ELc78ELc85ELb0ELb0EfPKfS1_PfEviT_T9_T10_S3_lS5_S3_lS4_T11_S3_li.has_indirect_call, 0
	.section	.AMDGPU.csdata,"",@progbits
; Kernel info:
; codeLenInByte = 1436
; TotalNumSgprs: 46
; NumVgprs: 46
; ScratchSize: 0
; MemoryBound: 0
; FloatMode: 240
; IeeeMode: 1
; LDSByteSize: 2048 bytes/workgroup (compile time only)
; SGPRBlocks: 0
; VGPRBlocks: 5
; NumSGPRsForWavesPerEU: 46
; NumVGPRsForWavesPerEU: 46
; Occupancy: 16
; WaveLimiterHint : 0
; COMPUTE_PGM_RSRC2:SCRATCH_EN: 0
; COMPUTE_PGM_RSRC2:USER_SGPR: 6
; COMPUTE_PGM_RSRC2:TRAP_HANDLER: 0
; COMPUTE_PGM_RSRC2:TGID_X_EN: 1
; COMPUTE_PGM_RSRC2:TGID_Y_EN: 1
; COMPUTE_PGM_RSRC2:TGID_Z_EN: 1
; COMPUTE_PGM_RSRC2:TIDIG_COMP_CNT: 1
	.section	.text._ZL29rocblas_internal_gemmt_kernelIlLi16ELi32ELi8ELc84ELc84ELc85ELb0ELb0EfPKfS1_PfEviT_T9_T10_S3_lS5_S3_lS4_T11_S3_li,"axG",@progbits,_ZL29rocblas_internal_gemmt_kernelIlLi16ELi32ELi8ELc84ELc84ELc85ELb0ELb0EfPKfS1_PfEviT_T9_T10_S3_lS5_S3_lS4_T11_S3_li,comdat
	.globl	_ZL29rocblas_internal_gemmt_kernelIlLi16ELi32ELi8ELc84ELc84ELc85ELb0ELb0EfPKfS1_PfEviT_T9_T10_S3_lS5_S3_lS4_T11_S3_li ; -- Begin function _ZL29rocblas_internal_gemmt_kernelIlLi16ELi32ELi8ELc84ELc84ELc85ELb0ELb0EfPKfS1_PfEviT_T9_T10_S3_lS5_S3_lS4_T11_S3_li
	.p2align	8
	.type	_ZL29rocblas_internal_gemmt_kernelIlLi16ELi32ELi8ELc84ELc84ELc85ELb0ELb0EfPKfS1_PfEviT_T9_T10_S3_lS5_S3_lS4_T11_S3_li,@function
_ZL29rocblas_internal_gemmt_kernelIlLi16ELi32ELi8ELc84ELc84ELc85ELb0ELb0EfPKfS1_PfEviT_T9_T10_S3_lS5_S3_lS4_T11_S3_li: ; @_ZL29rocblas_internal_gemmt_kernelIlLi16ELi32ELi8ELc84ELc84ELc85ELb0ELb0EfPKfS1_PfEviT_T9_T10_S3_lS5_S3_lS4_T11_S3_li
; %bb.0:
	s_clause 0x1
	s_load_dwordx8 s[36:43], s[4:5], 0x48
	s_load_dwordx16 s[12:27], s[4:5], 0x8
	s_waitcnt lgkmcnt(0)
	s_load_dword s9, s[36:37], 0x0
	s_load_dword s10, s[14:15], 0x0
	s_waitcnt lgkmcnt(0)
	v_cmp_neq_f32_e64 s0, s9, 1.0
	s_and_b32 vcc_lo, exec_lo, s0
	s_cbranch_vccnz .LBB148_2
; %bb.1:
	v_cmp_neq_f32_e64 s0, s10, 0
	s_cmp_lg_u64 s[12:13], 0
	s_cselect_b32 s1, -1, 0
	s_and_b32 s0, s1, s0
.LBB148_2:
	s_andn2_b32 vcc_lo, exec_lo, s0
	s_cbranch_vccnz .LBB148_28
; %bb.3:
	s_load_dword s4, s[4:5], 0x0
	v_cmp_lt_i64_e64 s0, s[12:13], 1
	v_cmp_eq_f32_e64 s1, s10, 0
	v_mov_b32_e32 v5, 0
	v_mov_b32_e32 v4, 0
	;; [unrolled: 1-line block ×4, first 2 shown]
	s_or_b32 s0, s1, s0
	s_lshl_b32 s5, s6, 5
	s_and_b32 vcc_lo, exec_lo, s0
	s_lshl_b32 s6, s7, 5
	s_cbranch_vccnz .LBB148_12
; %bb.4:
	v_lshl_add_u32 v5, v1, 4, v0
	s_mul_i32 s1, s27, s8
	s_mul_hi_u32 s2, s26, s8
	s_mul_i32 s0, s26, s8
	s_add_i32 s1, s2, s1
	v_and_b32_e32 v6, 31, v5
	s_lshl_b64 s[0:1], s[0:1], 2
	s_mul_i32 s2, s21, s8
	s_add_u32 s3, s22, s0
	s_addc_u32 s7, s23, s1
	v_or_b32_e32 v7, s5, v6
	s_mul_hi_u32 s1, s20, s8
	s_mul_i32 s0, s20, s8
	s_add_i32 s1, s1, s2
	v_lshrrev_b32_e32 v11, 3, v5
	v_mul_lo_u32 v9, s19, v7
	v_mad_u64_u32 v[2:3], null, s18, v7, 0
	s_lshl_b64 s[0:1], s[0:1], 2
	v_add_nc_u32_e32 v4, s6, v11
	s_add_u32 s2, s16, s0
	s_addc_u32 s1, s17, s1
	s_ashr_i32 s0, s5, 31
	v_and_b32_e32 v8, 7, v0
	s_mul_i32 s0, s18, s0
	v_lshlrev_b32_e32 v6, 2, v6
	v_add3_u32 v3, v3, s0, v9
	v_lshrrev_b32_e32 v9, 5, v5
	v_ashrrev_i32_e32 v5, 31, v4
	v_lshlrev_b32_e32 v12, 2, v8
	s_waitcnt lgkmcnt(0)
	v_cmp_gt_i32_e64 s0, s4, v7
	v_lshlrev_b64 v[2:3], 2, v[2:3]
	v_lshl_or_b32 v10, v9, 7, v6
	v_lshlrev_b64 v[5:6], 2, v[4:5]
	v_lshl_or_b32 v7, v11, 5, v12
	v_lshlrev_b32_e32 v16, 2, v0
	v_lshl_add_u32 v17, v1, 5, 0x400
	v_add_co_u32 v11, vcc_lo, s2, v2
	v_add_co_ci_u32_e64 v12, null, s1, v3, vcc_lo
	v_add_co_u32 v14, vcc_lo, s3, v5
	v_cmp_gt_i32_e64 s1, s4, v4
	v_add_nc_u32_e32 v13, 0x400, v7
	v_add_co_ci_u32_e64 v15, null, s7, v6, vcc_lo
	v_mov_b32_e32 v3, 0
	v_mov_b32_e32 v6, 0
	;; [unrolled: 1-line block ×5, first 2 shown]
	s_mov_b64 s[2:3], 0
	s_branch .LBB148_6
.LBB148_5:                              ;   in Loop: Header=BB148_6 Depth=1
	s_or_b32 exec_lo, exec_lo, s7
	s_waitcnt vmcnt(0)
	ds_write_b32 v13, v19
	s_waitcnt lgkmcnt(0)
	s_barrier
	buffer_gl0_inv
	ds_read_b128 v[18:21], v17
	ds_read2_b32 v[34:35], v16 offset1:16
	ds_read_b128 v[22:25], v17 offset:512
	ds_read2_b32 v[36:37], v16 offset0:32 offset1:48
	ds_read2_b32 v[38:39], v16 offset0:64 offset1:80
	;; [unrolled: 1-line block ×3, first 2 shown]
	ds_read_b128 v[26:29], v17 offset:16
	ds_read2_b32 v[42:43], v16 offset0:128 offset1:144
	ds_read_b128 v[30:33], v17 offset:528
	ds_read2_b32 v[44:45], v16 offset0:160 offset1:176
	s_add_u32 s2, s2, 8
	s_addc_u32 s3, s3, 0
	v_cmp_gt_i64_e64 s7, s[12:13], s[2:3]
	s_and_b32 vcc_lo, exec_lo, s7
	s_waitcnt lgkmcnt(8)
	v_fmac_f32_e32 v5, v34, v18
	v_fmac_f32_e32 v4, v35, v18
	s_waitcnt lgkmcnt(7)
	v_fmac_f32_e32 v7, v34, v22
	v_fmac_f32_e32 v6, v35, v22
	ds_read2_b32 v[34:35], v16 offset0:192 offset1:208
	s_waitcnt lgkmcnt(7)
	v_fmac_f32_e32 v5, v36, v19
	v_fmac_f32_e32 v4, v37, v19
	;; [unrolled: 1-line block ×4, first 2 shown]
	ds_read2_b32 v[18:19], v16 offset0:224 offset1:240
	s_waitcnt lgkmcnt(7)
	v_fmac_f32_e32 v5, v38, v20
	v_fmac_f32_e32 v4, v39, v20
	v_fmac_f32_e32 v7, v38, v24
	v_fmac_f32_e32 v6, v39, v24
	s_waitcnt lgkmcnt(0)
	v_fmac_f32_e32 v5, v40, v21
	v_fmac_f32_e32 v4, v41, v21
	;; [unrolled: 1-line block ×4, first 2 shown]
	s_barrier
	v_fmac_f32_e32 v5, v42, v26
	v_fmac_f32_e32 v4, v43, v26
	;; [unrolled: 1-line block ×4, first 2 shown]
	buffer_gl0_inv
	v_fmac_f32_e32 v5, v44, v27
	v_fmac_f32_e32 v4, v45, v27
	;; [unrolled: 1-line block ×12, first 2 shown]
	s_cbranch_vccz .LBB148_12
.LBB148_6:                              ; =>This Inner Loop Header: Depth=1
	v_mov_b32_e32 v18, 0
	s_and_saveexec_b32 s7, s0
	s_cbranch_execz .LBB148_10
; %bb.7:                                ;   in Loop: Header=BB148_6 Depth=1
	v_add_nc_u32_e32 v2, s2, v9
	v_mov_b32_e32 v18, 0
	s_mov_b32 s11, exec_lo
	v_cmpx_gt_u64_e64 s[12:13], v[2:3]
	s_cbranch_execz .LBB148_9
; %bb.8:                                ;   in Loop: Header=BB148_6 Depth=1
	v_lshlrev_b64 v[18:19], 2, v[2:3]
	v_add_co_u32 v18, vcc_lo, v11, v18
	v_add_co_ci_u32_e64 v19, null, v12, v19, vcc_lo
	global_load_dword v18, v[18:19], off
.LBB148_9:                              ;   in Loop: Header=BB148_6 Depth=1
	s_or_b32 exec_lo, exec_lo, s11
.LBB148_10:                             ;   in Loop: Header=BB148_6 Depth=1
	s_or_b32 exec_lo, exec_lo, s7
	v_add_nc_u32_e32 v2, s2, v8
	v_mov_b32_e32 v19, 0
	s_waitcnt vmcnt(0)
	ds_write_b32 v10, v18
	v_cmp_gt_u64_e32 vcc_lo, s[12:13], v[2:3]
	s_and_b32 s11, vcc_lo, s1
	s_and_saveexec_b32 s7, s11
	s_cbranch_execz .LBB148_5
; %bb.11:                               ;   in Loop: Header=BB148_6 Depth=1
	v_mad_u64_u32 v[18:19], null, s24, v2, 0
	v_mad_u64_u32 v[19:20], null, s25, v2, v[19:20]
	v_lshlrev_b64 v[18:19], 2, v[18:19]
	v_add_co_u32 v18, vcc_lo, v14, v18
	v_add_co_ci_u32_e64 v19, null, v15, v19, vcc_lo
	global_load_dword v19, v[18:19], off
	s_branch .LBB148_5
.LBB148_12:
	v_add_nc_u32_e32 v9, s6, v1
	s_mul_i32 s1, s43, s8
	s_mul_hi_u32 s2, s42, s8
	s_mul_i32 s0, s42, s8
	s_add_i32 s1, s2, s1
	v_ashrrev_i32_e32 v3, 31, v9
	v_mul_lo_u32 v8, s41, v9
	v_mad_u64_u32 v[1:2], null, s40, v9, 0
	v_add_nc_u32_e32 v0, s5, v0
	v_mul_lo_u32 v3, s40, v3
	s_lshl_b64 s[2:3], s[0:1], 2
	v_cmp_neq_f32_e64 s5, s9, 0
	s_add_u32 s2, s38, s2
	s_waitcnt lgkmcnt(0)
	v_cmp_gt_i32_e64 s0, s4, v9
	v_cmp_le_i32_e32 vcc_lo, v0, v9
	s_addc_u32 s3, s39, s3
	v_add3_u32 v2, v2, v3, v8
	v_cndmask_b32_e64 v8, 0, 1, s5
	s_and_b32 s6, s0, vcc_lo
	v_lshlrev_b64 v[2:3], 2, v[1:2]
	v_ashrrev_i32_e32 v1, 31, v0
	v_add_co_u32 v10, s1, s2, v2
	v_add_co_ci_u32_e64 v11, null, s3, v3, s1
	s_and_saveexec_b32 s1, s6
	s_cbranch_execz .LBB148_16
; %bb.13:
	v_lshlrev_b64 v[2:3], 2, v[0:1]
	v_mul_f32_e32 v5, s10, v5
	v_add_co_u32 v2, vcc_lo, v10, v2
	v_add_co_ci_u32_e64 v3, null, v11, v3, vcc_lo
	s_andn2_b32 vcc_lo, exec_lo, s5
	s_cbranch_vccnz .LBB148_15
; %bb.14:
	global_load_dword v12, v[2:3], off
	s_waitcnt vmcnt(0)
	v_fmac_f32_e32 v5, s9, v12
.LBB148_15:
	global_store_dword v[2:3], v5, off
.LBB148_16:
	s_or_b32 exec_lo, exec_lo, s1
	v_add_nc_u32_e32 v2, 16, v0
	v_cmp_le_i32_e32 vcc_lo, v2, v9
	v_ashrrev_i32_e32 v3, 31, v2
	s_and_b32 s0, s0, vcc_lo
	s_and_saveexec_b32 s1, s0
	s_cbranch_execz .LBB148_20
; %bb.17:
	v_lshlrev_b64 v[13:14], 2, v[2:3]
	v_mul_f32_e32 v12, s10, v4
	v_cmp_ne_u32_e32 vcc_lo, 1, v8
	v_add_co_u32 v4, s0, v10, v13
	v_add_co_ci_u32_e64 v5, null, v11, v14, s0
	s_cbranch_vccnz .LBB148_19
; %bb.18:
	global_load_dword v10, v[4:5], off
	s_waitcnt vmcnt(0)
	v_fmac_f32_e32 v12, s9, v10
.LBB148_19:
	global_store_dword v[4:5], v12, off
.LBB148_20:
	s_or_b32 exec_lo, exec_lo, s1
	v_add_nc_u32_e32 v9, 16, v9
	v_ashrrev_i32_e32 v10, 31, v9
	v_mul_lo_u32 v11, s41, v9
	v_mad_u64_u32 v[4:5], null, s40, v9, 0
	v_cmp_gt_i32_e64 s0, s4, v9
	v_mul_lo_u32 v10, s40, v10
	v_cmp_le_i32_e32 vcc_lo, v0, v9
	v_add3_u32 v5, v5, v10, v11
	v_lshlrev_b64 v[4:5], 2, v[4:5]
	v_add_co_u32 v4, s1, s2, v4
	v_add_co_ci_u32_e64 v5, null, s3, v5, s1
	s_and_b32 s1, s0, vcc_lo
	s_and_saveexec_b32 s2, s1
	s_cbranch_execz .LBB148_24
; %bb.21:
	v_lshlrev_b64 v[0:1], 2, v[0:1]
	v_cmp_ne_u32_e32 vcc_lo, 1, v8
	v_mul_f32_e32 v7, s10, v7
	v_add_co_u32 v0, s1, v4, v0
	v_add_co_ci_u32_e64 v1, null, v5, v1, s1
	s_cbranch_vccnz .LBB148_23
; %bb.22:
	global_load_dword v10, v[0:1], off
	s_waitcnt vmcnt(0)
	v_fmac_f32_e32 v7, s9, v10
.LBB148_23:
	global_store_dword v[0:1], v7, off
.LBB148_24:
	s_or_b32 exec_lo, exec_lo, s2
	v_cmp_le_i32_e32 vcc_lo, v2, v9
	s_and_b32 s0, s0, vcc_lo
	s_and_saveexec_b32 s1, s0
	s_cbranch_execz .LBB148_28
; %bb.25:
	v_lshlrev_b64 v[0:1], 2, v[2:3]
	v_cmp_ne_u32_e32 vcc_lo, 1, v8
	v_mul_f32_e32 v2, s10, v6
	v_add_co_u32 v0, s0, v4, v0
	v_add_co_ci_u32_e64 v1, null, v5, v1, s0
	s_cbranch_vccnz .LBB148_27
; %bb.26:
	global_load_dword v3, v[0:1], off
	s_waitcnt vmcnt(0)
	v_fmac_f32_e32 v2, s9, v3
.LBB148_27:
	global_store_dword v[0:1], v2, off
.LBB148_28:
	s_endpgm
	.section	.rodata,"a",@progbits
	.p2align	6, 0x0
	.amdhsa_kernel _ZL29rocblas_internal_gemmt_kernelIlLi16ELi32ELi8ELc84ELc84ELc85ELb0ELb0EfPKfS1_PfEviT_T9_T10_S3_lS5_S3_lS4_T11_S3_li
		.amdhsa_group_segment_fixed_size 2048
		.amdhsa_private_segment_fixed_size 0
		.amdhsa_kernarg_size 108
		.amdhsa_user_sgpr_count 6
		.amdhsa_user_sgpr_private_segment_buffer 1
		.amdhsa_user_sgpr_dispatch_ptr 0
		.amdhsa_user_sgpr_queue_ptr 0
		.amdhsa_user_sgpr_kernarg_segment_ptr 1
		.amdhsa_user_sgpr_dispatch_id 0
		.amdhsa_user_sgpr_flat_scratch_init 0
		.amdhsa_user_sgpr_private_segment_size 0
		.amdhsa_wavefront_size32 1
		.amdhsa_uses_dynamic_stack 0
		.amdhsa_system_sgpr_private_segment_wavefront_offset 0
		.amdhsa_system_sgpr_workgroup_id_x 1
		.amdhsa_system_sgpr_workgroup_id_y 1
		.amdhsa_system_sgpr_workgroup_id_z 1
		.amdhsa_system_sgpr_workgroup_info 0
		.amdhsa_system_vgpr_workitem_id 1
		.amdhsa_next_free_vgpr 46
		.amdhsa_next_free_sgpr 44
		.amdhsa_reserve_vcc 1
		.amdhsa_reserve_flat_scratch 0
		.amdhsa_float_round_mode_32 0
		.amdhsa_float_round_mode_16_64 0
		.amdhsa_float_denorm_mode_32 3
		.amdhsa_float_denorm_mode_16_64 3
		.amdhsa_dx10_clamp 1
		.amdhsa_ieee_mode 1
		.amdhsa_fp16_overflow 0
		.amdhsa_workgroup_processor_mode 1
		.amdhsa_memory_ordered 1
		.amdhsa_forward_progress 1
		.amdhsa_shared_vgpr_count 0
		.amdhsa_exception_fp_ieee_invalid_op 0
		.amdhsa_exception_fp_denorm_src 0
		.amdhsa_exception_fp_ieee_div_zero 0
		.amdhsa_exception_fp_ieee_overflow 0
		.amdhsa_exception_fp_ieee_underflow 0
		.amdhsa_exception_fp_ieee_inexact 0
		.amdhsa_exception_int_div_zero 0
	.end_amdhsa_kernel
	.section	.text._ZL29rocblas_internal_gemmt_kernelIlLi16ELi32ELi8ELc84ELc84ELc85ELb0ELb0EfPKfS1_PfEviT_T9_T10_S3_lS5_S3_lS4_T11_S3_li,"axG",@progbits,_ZL29rocblas_internal_gemmt_kernelIlLi16ELi32ELi8ELc84ELc84ELc85ELb0ELb0EfPKfS1_PfEviT_T9_T10_S3_lS5_S3_lS4_T11_S3_li,comdat
.Lfunc_end148:
	.size	_ZL29rocblas_internal_gemmt_kernelIlLi16ELi32ELi8ELc84ELc84ELc85ELb0ELb0EfPKfS1_PfEviT_T9_T10_S3_lS5_S3_lS4_T11_S3_li, .Lfunc_end148-_ZL29rocblas_internal_gemmt_kernelIlLi16ELi32ELi8ELc84ELc84ELc85ELb0ELb0EfPKfS1_PfEviT_T9_T10_S3_lS5_S3_lS4_T11_S3_li
                                        ; -- End function
	.set _ZL29rocblas_internal_gemmt_kernelIlLi16ELi32ELi8ELc84ELc84ELc85ELb0ELb0EfPKfS1_PfEviT_T9_T10_S3_lS5_S3_lS4_T11_S3_li.num_vgpr, 46
	.set _ZL29rocblas_internal_gemmt_kernelIlLi16ELi32ELi8ELc84ELc84ELc85ELb0ELb0EfPKfS1_PfEviT_T9_T10_S3_lS5_S3_lS4_T11_S3_li.num_agpr, 0
	.set _ZL29rocblas_internal_gemmt_kernelIlLi16ELi32ELi8ELc84ELc84ELc85ELb0ELb0EfPKfS1_PfEviT_T9_T10_S3_lS5_S3_lS4_T11_S3_li.numbered_sgpr, 44
	.set _ZL29rocblas_internal_gemmt_kernelIlLi16ELi32ELi8ELc84ELc84ELc85ELb0ELb0EfPKfS1_PfEviT_T9_T10_S3_lS5_S3_lS4_T11_S3_li.num_named_barrier, 0
	.set _ZL29rocblas_internal_gemmt_kernelIlLi16ELi32ELi8ELc84ELc84ELc85ELb0ELb0EfPKfS1_PfEviT_T9_T10_S3_lS5_S3_lS4_T11_S3_li.private_seg_size, 0
	.set _ZL29rocblas_internal_gemmt_kernelIlLi16ELi32ELi8ELc84ELc84ELc85ELb0ELb0EfPKfS1_PfEviT_T9_T10_S3_lS5_S3_lS4_T11_S3_li.uses_vcc, 1
	.set _ZL29rocblas_internal_gemmt_kernelIlLi16ELi32ELi8ELc84ELc84ELc85ELb0ELb0EfPKfS1_PfEviT_T9_T10_S3_lS5_S3_lS4_T11_S3_li.uses_flat_scratch, 0
	.set _ZL29rocblas_internal_gemmt_kernelIlLi16ELi32ELi8ELc84ELc84ELc85ELb0ELb0EfPKfS1_PfEviT_T9_T10_S3_lS5_S3_lS4_T11_S3_li.has_dyn_sized_stack, 0
	.set _ZL29rocblas_internal_gemmt_kernelIlLi16ELi32ELi8ELc84ELc84ELc85ELb0ELb0EfPKfS1_PfEviT_T9_T10_S3_lS5_S3_lS4_T11_S3_li.has_recursion, 0
	.set _ZL29rocblas_internal_gemmt_kernelIlLi16ELi32ELi8ELc84ELc84ELc85ELb0ELb0EfPKfS1_PfEviT_T9_T10_S3_lS5_S3_lS4_T11_S3_li.has_indirect_call, 0
	.section	.AMDGPU.csdata,"",@progbits
; Kernel info:
; codeLenInByte = 1420
; TotalNumSgprs: 46
; NumVgprs: 46
; ScratchSize: 0
; MemoryBound: 0
; FloatMode: 240
; IeeeMode: 1
; LDSByteSize: 2048 bytes/workgroup (compile time only)
; SGPRBlocks: 0
; VGPRBlocks: 5
; NumSGPRsForWavesPerEU: 46
; NumVGPRsForWavesPerEU: 46
; Occupancy: 16
; WaveLimiterHint : 0
; COMPUTE_PGM_RSRC2:SCRATCH_EN: 0
; COMPUTE_PGM_RSRC2:USER_SGPR: 6
; COMPUTE_PGM_RSRC2:TRAP_HANDLER: 0
; COMPUTE_PGM_RSRC2:TGID_X_EN: 1
; COMPUTE_PGM_RSRC2:TGID_Y_EN: 1
; COMPUTE_PGM_RSRC2:TGID_Z_EN: 1
; COMPUTE_PGM_RSRC2:TIDIG_COMP_CNT: 1
	.section	.text._ZL29rocblas_internal_gemmt_kernelIlLi16ELi32ELi8ELc84ELc67ELc85ELb0ELb0EfPKfS1_PfEviT_T9_T10_S3_lS5_S3_lS4_T11_S3_li,"axG",@progbits,_ZL29rocblas_internal_gemmt_kernelIlLi16ELi32ELi8ELc84ELc67ELc85ELb0ELb0EfPKfS1_PfEviT_T9_T10_S3_lS5_S3_lS4_T11_S3_li,comdat
	.globl	_ZL29rocblas_internal_gemmt_kernelIlLi16ELi32ELi8ELc84ELc67ELc85ELb0ELb0EfPKfS1_PfEviT_T9_T10_S3_lS5_S3_lS4_T11_S3_li ; -- Begin function _ZL29rocblas_internal_gemmt_kernelIlLi16ELi32ELi8ELc84ELc67ELc85ELb0ELb0EfPKfS1_PfEviT_T9_T10_S3_lS5_S3_lS4_T11_S3_li
	.p2align	8
	.type	_ZL29rocblas_internal_gemmt_kernelIlLi16ELi32ELi8ELc84ELc67ELc85ELb0ELb0EfPKfS1_PfEviT_T9_T10_S3_lS5_S3_lS4_T11_S3_li,@function
_ZL29rocblas_internal_gemmt_kernelIlLi16ELi32ELi8ELc84ELc67ELc85ELb0ELb0EfPKfS1_PfEviT_T9_T10_S3_lS5_S3_lS4_T11_S3_li: ; @_ZL29rocblas_internal_gemmt_kernelIlLi16ELi32ELi8ELc84ELc67ELc85ELb0ELb0EfPKfS1_PfEviT_T9_T10_S3_lS5_S3_lS4_T11_S3_li
; %bb.0:
	s_clause 0x1
	s_load_dwordx8 s[36:43], s[4:5], 0x48
	s_load_dwordx16 s[12:27], s[4:5], 0x8
	s_waitcnt lgkmcnt(0)
	s_load_dword s9, s[36:37], 0x0
	s_load_dword s10, s[14:15], 0x0
	s_waitcnt lgkmcnt(0)
	v_cmp_neq_f32_e64 s0, s9, 1.0
	s_and_b32 vcc_lo, exec_lo, s0
	s_cbranch_vccnz .LBB149_2
; %bb.1:
	v_cmp_neq_f32_e64 s0, s10, 0
	s_cmp_lg_u64 s[12:13], 0
	s_cselect_b32 s1, -1, 0
	s_and_b32 s0, s1, s0
.LBB149_2:
	s_andn2_b32 vcc_lo, exec_lo, s0
	s_cbranch_vccnz .LBB149_28
; %bb.3:
	s_load_dword s4, s[4:5], 0x0
	v_cmp_lt_i64_e64 s0, s[12:13], 1
	v_cmp_eq_f32_e64 s1, s10, 0
	v_mov_b32_e32 v5, 0
	v_mov_b32_e32 v4, 0
	;; [unrolled: 1-line block ×4, first 2 shown]
	s_or_b32 s0, s1, s0
	s_lshl_b32 s5, s6, 5
	s_and_b32 vcc_lo, exec_lo, s0
	s_lshl_b32 s6, s7, 5
	s_cbranch_vccnz .LBB149_12
; %bb.4:
	v_lshl_add_u32 v5, v1, 4, v0
	s_mul_i32 s1, s27, s8
	s_mul_hi_u32 s2, s26, s8
	s_mul_i32 s0, s26, s8
	s_add_i32 s1, s2, s1
	v_and_b32_e32 v6, 31, v5
	s_lshl_b64 s[0:1], s[0:1], 2
	s_mul_i32 s2, s21, s8
	s_add_u32 s3, s22, s0
	s_addc_u32 s7, s23, s1
	v_or_b32_e32 v7, s5, v6
	s_mul_hi_u32 s1, s20, s8
	s_mul_i32 s0, s20, s8
	s_add_i32 s1, s1, s2
	v_lshrrev_b32_e32 v11, 3, v5
	v_mul_lo_u32 v9, s19, v7
	v_mad_u64_u32 v[2:3], null, s18, v7, 0
	s_lshl_b64 s[0:1], s[0:1], 2
	v_add_nc_u32_e32 v4, s6, v11
	s_add_u32 s2, s16, s0
	s_addc_u32 s1, s17, s1
	s_ashr_i32 s0, s5, 31
	v_and_b32_e32 v8, 7, v0
	s_mul_i32 s0, s18, s0
	v_lshlrev_b32_e32 v6, 2, v6
	v_add3_u32 v3, v3, s0, v9
	v_lshrrev_b32_e32 v9, 5, v5
	v_ashrrev_i32_e32 v5, 31, v4
	v_lshlrev_b32_e32 v12, 2, v8
	s_waitcnt lgkmcnt(0)
	v_cmp_gt_i32_e64 s0, s4, v7
	v_lshlrev_b64 v[2:3], 2, v[2:3]
	v_lshl_or_b32 v10, v9, 7, v6
	v_lshlrev_b64 v[5:6], 2, v[4:5]
	v_lshl_or_b32 v7, v11, 5, v12
	v_lshlrev_b32_e32 v16, 2, v0
	v_lshl_add_u32 v17, v1, 5, 0x400
	v_add_co_u32 v11, vcc_lo, s2, v2
	v_add_co_ci_u32_e64 v12, null, s1, v3, vcc_lo
	v_add_co_u32 v14, vcc_lo, s3, v5
	v_cmp_gt_i32_e64 s1, s4, v4
	v_add_nc_u32_e32 v13, 0x400, v7
	v_add_co_ci_u32_e64 v15, null, s7, v6, vcc_lo
	v_mov_b32_e32 v3, 0
	v_mov_b32_e32 v6, 0
	;; [unrolled: 1-line block ×5, first 2 shown]
	s_mov_b64 s[2:3], 0
	s_branch .LBB149_6
.LBB149_5:                              ;   in Loop: Header=BB149_6 Depth=1
	s_or_b32 exec_lo, exec_lo, s7
	s_waitcnt vmcnt(0)
	ds_write_b32 v13, v19
	s_waitcnt lgkmcnt(0)
	s_barrier
	buffer_gl0_inv
	ds_read_b128 v[18:21], v17
	ds_read2_b32 v[34:35], v16 offset1:16
	ds_read_b128 v[22:25], v17 offset:512
	ds_read2_b32 v[36:37], v16 offset0:32 offset1:48
	ds_read2_b32 v[38:39], v16 offset0:64 offset1:80
	;; [unrolled: 1-line block ×3, first 2 shown]
	ds_read_b128 v[26:29], v17 offset:16
	ds_read2_b32 v[42:43], v16 offset0:128 offset1:144
	ds_read_b128 v[30:33], v17 offset:528
	ds_read2_b32 v[44:45], v16 offset0:160 offset1:176
	s_add_u32 s2, s2, 8
	s_addc_u32 s3, s3, 0
	v_cmp_gt_i64_e64 s7, s[12:13], s[2:3]
	s_and_b32 vcc_lo, exec_lo, s7
	s_waitcnt lgkmcnt(8)
	v_fmac_f32_e32 v5, v34, v18
	v_fmac_f32_e32 v4, v35, v18
	s_waitcnt lgkmcnt(7)
	v_fmac_f32_e32 v7, v34, v22
	v_fmac_f32_e32 v6, v35, v22
	ds_read2_b32 v[34:35], v16 offset0:192 offset1:208
	s_waitcnt lgkmcnt(7)
	v_fmac_f32_e32 v5, v36, v19
	v_fmac_f32_e32 v4, v37, v19
	;; [unrolled: 1-line block ×4, first 2 shown]
	ds_read2_b32 v[18:19], v16 offset0:224 offset1:240
	s_waitcnt lgkmcnt(7)
	v_fmac_f32_e32 v5, v38, v20
	v_fmac_f32_e32 v4, v39, v20
	;; [unrolled: 1-line block ×4, first 2 shown]
	s_waitcnt lgkmcnt(0)
	v_fmac_f32_e32 v5, v40, v21
	v_fmac_f32_e32 v4, v41, v21
	;; [unrolled: 1-line block ×4, first 2 shown]
	s_barrier
	v_fmac_f32_e32 v5, v42, v26
	v_fmac_f32_e32 v4, v43, v26
	;; [unrolled: 1-line block ×4, first 2 shown]
	buffer_gl0_inv
	v_fmac_f32_e32 v5, v44, v27
	v_fmac_f32_e32 v4, v45, v27
	;; [unrolled: 1-line block ×12, first 2 shown]
	s_cbranch_vccz .LBB149_12
.LBB149_6:                              ; =>This Inner Loop Header: Depth=1
	v_mov_b32_e32 v18, 0
	s_and_saveexec_b32 s7, s0
	s_cbranch_execz .LBB149_10
; %bb.7:                                ;   in Loop: Header=BB149_6 Depth=1
	v_add_nc_u32_e32 v2, s2, v9
	v_mov_b32_e32 v18, 0
	s_mov_b32 s11, exec_lo
	v_cmpx_gt_u64_e64 s[12:13], v[2:3]
	s_cbranch_execz .LBB149_9
; %bb.8:                                ;   in Loop: Header=BB149_6 Depth=1
	v_lshlrev_b64 v[18:19], 2, v[2:3]
	v_add_co_u32 v18, vcc_lo, v11, v18
	v_add_co_ci_u32_e64 v19, null, v12, v19, vcc_lo
	global_load_dword v18, v[18:19], off
.LBB149_9:                              ;   in Loop: Header=BB149_6 Depth=1
	s_or_b32 exec_lo, exec_lo, s11
.LBB149_10:                             ;   in Loop: Header=BB149_6 Depth=1
	s_or_b32 exec_lo, exec_lo, s7
	v_add_nc_u32_e32 v2, s2, v8
	v_mov_b32_e32 v19, 0
	s_waitcnt vmcnt(0)
	ds_write_b32 v10, v18
	v_cmp_gt_u64_e32 vcc_lo, s[12:13], v[2:3]
	s_and_b32 s11, vcc_lo, s1
	s_and_saveexec_b32 s7, s11
	s_cbranch_execz .LBB149_5
; %bb.11:                               ;   in Loop: Header=BB149_6 Depth=1
	v_mad_u64_u32 v[18:19], null, s24, v2, 0
	v_mad_u64_u32 v[19:20], null, s25, v2, v[19:20]
	v_lshlrev_b64 v[18:19], 2, v[18:19]
	v_add_co_u32 v18, vcc_lo, v14, v18
	v_add_co_ci_u32_e64 v19, null, v15, v19, vcc_lo
	global_load_dword v19, v[18:19], off
	s_branch .LBB149_5
.LBB149_12:
	v_add_nc_u32_e32 v9, s6, v1
	s_mul_i32 s1, s43, s8
	s_mul_hi_u32 s2, s42, s8
	s_mul_i32 s0, s42, s8
	s_add_i32 s1, s2, s1
	v_ashrrev_i32_e32 v3, 31, v9
	v_mul_lo_u32 v8, s41, v9
	v_mad_u64_u32 v[1:2], null, s40, v9, 0
	v_add_nc_u32_e32 v0, s5, v0
	v_mul_lo_u32 v3, s40, v3
	s_lshl_b64 s[2:3], s[0:1], 2
	v_cmp_neq_f32_e64 s5, s9, 0
	s_add_u32 s2, s38, s2
	s_waitcnt lgkmcnt(0)
	v_cmp_gt_i32_e64 s0, s4, v9
	v_cmp_le_i32_e32 vcc_lo, v0, v9
	s_addc_u32 s3, s39, s3
	v_add3_u32 v2, v2, v3, v8
	v_cndmask_b32_e64 v8, 0, 1, s5
	s_and_b32 s6, s0, vcc_lo
	v_lshlrev_b64 v[2:3], 2, v[1:2]
	v_ashrrev_i32_e32 v1, 31, v0
	v_add_co_u32 v10, s1, s2, v2
	v_add_co_ci_u32_e64 v11, null, s3, v3, s1
	s_and_saveexec_b32 s1, s6
	s_cbranch_execz .LBB149_16
; %bb.13:
	v_lshlrev_b64 v[2:3], 2, v[0:1]
	v_mul_f32_e32 v5, s10, v5
	v_add_co_u32 v2, vcc_lo, v10, v2
	v_add_co_ci_u32_e64 v3, null, v11, v3, vcc_lo
	s_andn2_b32 vcc_lo, exec_lo, s5
	s_cbranch_vccnz .LBB149_15
; %bb.14:
	global_load_dword v12, v[2:3], off
	s_waitcnt vmcnt(0)
	v_fmac_f32_e32 v5, s9, v12
.LBB149_15:
	global_store_dword v[2:3], v5, off
.LBB149_16:
	s_or_b32 exec_lo, exec_lo, s1
	v_add_nc_u32_e32 v2, 16, v0
	v_cmp_le_i32_e32 vcc_lo, v2, v9
	v_ashrrev_i32_e32 v3, 31, v2
	s_and_b32 s0, s0, vcc_lo
	s_and_saveexec_b32 s1, s0
	s_cbranch_execz .LBB149_20
; %bb.17:
	v_lshlrev_b64 v[13:14], 2, v[2:3]
	v_mul_f32_e32 v12, s10, v4
	v_cmp_ne_u32_e32 vcc_lo, 1, v8
	v_add_co_u32 v4, s0, v10, v13
	v_add_co_ci_u32_e64 v5, null, v11, v14, s0
	s_cbranch_vccnz .LBB149_19
; %bb.18:
	global_load_dword v10, v[4:5], off
	s_waitcnt vmcnt(0)
	v_fmac_f32_e32 v12, s9, v10
.LBB149_19:
	global_store_dword v[4:5], v12, off
.LBB149_20:
	s_or_b32 exec_lo, exec_lo, s1
	v_add_nc_u32_e32 v9, 16, v9
	v_ashrrev_i32_e32 v10, 31, v9
	v_mul_lo_u32 v11, s41, v9
	v_mad_u64_u32 v[4:5], null, s40, v9, 0
	v_cmp_gt_i32_e64 s0, s4, v9
	v_mul_lo_u32 v10, s40, v10
	v_cmp_le_i32_e32 vcc_lo, v0, v9
	v_add3_u32 v5, v5, v10, v11
	v_lshlrev_b64 v[4:5], 2, v[4:5]
	v_add_co_u32 v4, s1, s2, v4
	v_add_co_ci_u32_e64 v5, null, s3, v5, s1
	s_and_b32 s1, s0, vcc_lo
	s_and_saveexec_b32 s2, s1
	s_cbranch_execz .LBB149_24
; %bb.21:
	v_lshlrev_b64 v[0:1], 2, v[0:1]
	v_cmp_ne_u32_e32 vcc_lo, 1, v8
	v_mul_f32_e32 v7, s10, v7
	v_add_co_u32 v0, s1, v4, v0
	v_add_co_ci_u32_e64 v1, null, v5, v1, s1
	s_cbranch_vccnz .LBB149_23
; %bb.22:
	global_load_dword v10, v[0:1], off
	s_waitcnt vmcnt(0)
	v_fmac_f32_e32 v7, s9, v10
.LBB149_23:
	global_store_dword v[0:1], v7, off
.LBB149_24:
	s_or_b32 exec_lo, exec_lo, s2
	v_cmp_le_i32_e32 vcc_lo, v2, v9
	s_and_b32 s0, s0, vcc_lo
	s_and_saveexec_b32 s1, s0
	s_cbranch_execz .LBB149_28
; %bb.25:
	v_lshlrev_b64 v[0:1], 2, v[2:3]
	v_cmp_ne_u32_e32 vcc_lo, 1, v8
	v_mul_f32_e32 v2, s10, v6
	v_add_co_u32 v0, s0, v4, v0
	v_add_co_ci_u32_e64 v1, null, v5, v1, s0
	s_cbranch_vccnz .LBB149_27
; %bb.26:
	global_load_dword v3, v[0:1], off
	s_waitcnt vmcnt(0)
	v_fmac_f32_e32 v2, s9, v3
.LBB149_27:
	global_store_dword v[0:1], v2, off
.LBB149_28:
	s_endpgm
	.section	.rodata,"a",@progbits
	.p2align	6, 0x0
	.amdhsa_kernel _ZL29rocblas_internal_gemmt_kernelIlLi16ELi32ELi8ELc84ELc67ELc85ELb0ELb0EfPKfS1_PfEviT_T9_T10_S3_lS5_S3_lS4_T11_S3_li
		.amdhsa_group_segment_fixed_size 2048
		.amdhsa_private_segment_fixed_size 0
		.amdhsa_kernarg_size 108
		.amdhsa_user_sgpr_count 6
		.amdhsa_user_sgpr_private_segment_buffer 1
		.amdhsa_user_sgpr_dispatch_ptr 0
		.amdhsa_user_sgpr_queue_ptr 0
		.amdhsa_user_sgpr_kernarg_segment_ptr 1
		.amdhsa_user_sgpr_dispatch_id 0
		.amdhsa_user_sgpr_flat_scratch_init 0
		.amdhsa_user_sgpr_private_segment_size 0
		.amdhsa_wavefront_size32 1
		.amdhsa_uses_dynamic_stack 0
		.amdhsa_system_sgpr_private_segment_wavefront_offset 0
		.amdhsa_system_sgpr_workgroup_id_x 1
		.amdhsa_system_sgpr_workgroup_id_y 1
		.amdhsa_system_sgpr_workgroup_id_z 1
		.amdhsa_system_sgpr_workgroup_info 0
		.amdhsa_system_vgpr_workitem_id 1
		.amdhsa_next_free_vgpr 46
		.amdhsa_next_free_sgpr 44
		.amdhsa_reserve_vcc 1
		.amdhsa_reserve_flat_scratch 0
		.amdhsa_float_round_mode_32 0
		.amdhsa_float_round_mode_16_64 0
		.amdhsa_float_denorm_mode_32 3
		.amdhsa_float_denorm_mode_16_64 3
		.amdhsa_dx10_clamp 1
		.amdhsa_ieee_mode 1
		.amdhsa_fp16_overflow 0
		.amdhsa_workgroup_processor_mode 1
		.amdhsa_memory_ordered 1
		.amdhsa_forward_progress 1
		.amdhsa_shared_vgpr_count 0
		.amdhsa_exception_fp_ieee_invalid_op 0
		.amdhsa_exception_fp_denorm_src 0
		.amdhsa_exception_fp_ieee_div_zero 0
		.amdhsa_exception_fp_ieee_overflow 0
		.amdhsa_exception_fp_ieee_underflow 0
		.amdhsa_exception_fp_ieee_inexact 0
		.amdhsa_exception_int_div_zero 0
	.end_amdhsa_kernel
	.section	.text._ZL29rocblas_internal_gemmt_kernelIlLi16ELi32ELi8ELc84ELc67ELc85ELb0ELb0EfPKfS1_PfEviT_T9_T10_S3_lS5_S3_lS4_T11_S3_li,"axG",@progbits,_ZL29rocblas_internal_gemmt_kernelIlLi16ELi32ELi8ELc84ELc67ELc85ELb0ELb0EfPKfS1_PfEviT_T9_T10_S3_lS5_S3_lS4_T11_S3_li,comdat
.Lfunc_end149:
	.size	_ZL29rocblas_internal_gemmt_kernelIlLi16ELi32ELi8ELc84ELc67ELc85ELb0ELb0EfPKfS1_PfEviT_T9_T10_S3_lS5_S3_lS4_T11_S3_li, .Lfunc_end149-_ZL29rocblas_internal_gemmt_kernelIlLi16ELi32ELi8ELc84ELc67ELc85ELb0ELb0EfPKfS1_PfEviT_T9_T10_S3_lS5_S3_lS4_T11_S3_li
                                        ; -- End function
	.set _ZL29rocblas_internal_gemmt_kernelIlLi16ELi32ELi8ELc84ELc67ELc85ELb0ELb0EfPKfS1_PfEviT_T9_T10_S3_lS5_S3_lS4_T11_S3_li.num_vgpr, 46
	.set _ZL29rocblas_internal_gemmt_kernelIlLi16ELi32ELi8ELc84ELc67ELc85ELb0ELb0EfPKfS1_PfEviT_T9_T10_S3_lS5_S3_lS4_T11_S3_li.num_agpr, 0
	.set _ZL29rocblas_internal_gemmt_kernelIlLi16ELi32ELi8ELc84ELc67ELc85ELb0ELb0EfPKfS1_PfEviT_T9_T10_S3_lS5_S3_lS4_T11_S3_li.numbered_sgpr, 44
	.set _ZL29rocblas_internal_gemmt_kernelIlLi16ELi32ELi8ELc84ELc67ELc85ELb0ELb0EfPKfS1_PfEviT_T9_T10_S3_lS5_S3_lS4_T11_S3_li.num_named_barrier, 0
	.set _ZL29rocblas_internal_gemmt_kernelIlLi16ELi32ELi8ELc84ELc67ELc85ELb0ELb0EfPKfS1_PfEviT_T9_T10_S3_lS5_S3_lS4_T11_S3_li.private_seg_size, 0
	.set _ZL29rocblas_internal_gemmt_kernelIlLi16ELi32ELi8ELc84ELc67ELc85ELb0ELb0EfPKfS1_PfEviT_T9_T10_S3_lS5_S3_lS4_T11_S3_li.uses_vcc, 1
	.set _ZL29rocblas_internal_gemmt_kernelIlLi16ELi32ELi8ELc84ELc67ELc85ELb0ELb0EfPKfS1_PfEviT_T9_T10_S3_lS5_S3_lS4_T11_S3_li.uses_flat_scratch, 0
	.set _ZL29rocblas_internal_gemmt_kernelIlLi16ELi32ELi8ELc84ELc67ELc85ELb0ELb0EfPKfS1_PfEviT_T9_T10_S3_lS5_S3_lS4_T11_S3_li.has_dyn_sized_stack, 0
	.set _ZL29rocblas_internal_gemmt_kernelIlLi16ELi32ELi8ELc84ELc67ELc85ELb0ELb0EfPKfS1_PfEviT_T9_T10_S3_lS5_S3_lS4_T11_S3_li.has_recursion, 0
	.set _ZL29rocblas_internal_gemmt_kernelIlLi16ELi32ELi8ELc84ELc67ELc85ELb0ELb0EfPKfS1_PfEviT_T9_T10_S3_lS5_S3_lS4_T11_S3_li.has_indirect_call, 0
	.section	.AMDGPU.csdata,"",@progbits
; Kernel info:
; codeLenInByte = 1420
; TotalNumSgprs: 46
; NumVgprs: 46
; ScratchSize: 0
; MemoryBound: 0
; FloatMode: 240
; IeeeMode: 1
; LDSByteSize: 2048 bytes/workgroup (compile time only)
; SGPRBlocks: 0
; VGPRBlocks: 5
; NumSGPRsForWavesPerEU: 46
; NumVGPRsForWavesPerEU: 46
; Occupancy: 16
; WaveLimiterHint : 0
; COMPUTE_PGM_RSRC2:SCRATCH_EN: 0
; COMPUTE_PGM_RSRC2:USER_SGPR: 6
; COMPUTE_PGM_RSRC2:TRAP_HANDLER: 0
; COMPUTE_PGM_RSRC2:TGID_X_EN: 1
; COMPUTE_PGM_RSRC2:TGID_Y_EN: 1
; COMPUTE_PGM_RSRC2:TGID_Z_EN: 1
; COMPUTE_PGM_RSRC2:TIDIG_COMP_CNT: 1
	.section	.text._ZL29rocblas_internal_gemmt_kernelIlLi16ELi32ELi8ELc67ELc78ELc85ELb0ELb0EfPKfS1_PfEviT_T9_T10_S3_lS5_S3_lS4_T11_S3_li,"axG",@progbits,_ZL29rocblas_internal_gemmt_kernelIlLi16ELi32ELi8ELc67ELc78ELc85ELb0ELb0EfPKfS1_PfEviT_T9_T10_S3_lS5_S3_lS4_T11_S3_li,comdat
	.globl	_ZL29rocblas_internal_gemmt_kernelIlLi16ELi32ELi8ELc67ELc78ELc85ELb0ELb0EfPKfS1_PfEviT_T9_T10_S3_lS5_S3_lS4_T11_S3_li ; -- Begin function _ZL29rocblas_internal_gemmt_kernelIlLi16ELi32ELi8ELc67ELc78ELc85ELb0ELb0EfPKfS1_PfEviT_T9_T10_S3_lS5_S3_lS4_T11_S3_li
	.p2align	8
	.type	_ZL29rocblas_internal_gemmt_kernelIlLi16ELi32ELi8ELc67ELc78ELc85ELb0ELb0EfPKfS1_PfEviT_T9_T10_S3_lS5_S3_lS4_T11_S3_li,@function
_ZL29rocblas_internal_gemmt_kernelIlLi16ELi32ELi8ELc67ELc78ELc85ELb0ELb0EfPKfS1_PfEviT_T9_T10_S3_lS5_S3_lS4_T11_S3_li: ; @_ZL29rocblas_internal_gemmt_kernelIlLi16ELi32ELi8ELc67ELc78ELc85ELb0ELb0EfPKfS1_PfEviT_T9_T10_S3_lS5_S3_lS4_T11_S3_li
; %bb.0:
	s_clause 0x1
	s_load_dwordx8 s[36:43], s[4:5], 0x48
	s_load_dwordx16 s[12:27], s[4:5], 0x8
	s_waitcnt lgkmcnt(0)
	s_load_dword s9, s[36:37], 0x0
	s_load_dword s10, s[14:15], 0x0
	s_waitcnt lgkmcnt(0)
	v_cmp_neq_f32_e64 s0, s9, 1.0
	s_and_b32 vcc_lo, exec_lo, s0
	s_cbranch_vccnz .LBB150_2
; %bb.1:
	v_cmp_neq_f32_e64 s0, s10, 0
	s_cmp_lg_u64 s[12:13], 0
	s_cselect_b32 s1, -1, 0
	s_and_b32 s0, s1, s0
.LBB150_2:
	s_andn2_b32 vcc_lo, exec_lo, s0
	s_cbranch_vccnz .LBB150_28
; %bb.3:
	s_load_dword s4, s[4:5], 0x0
	v_cmp_lt_i64_e64 s0, s[12:13], 1
	v_cmp_eq_f32_e64 s1, s10, 0
	v_mov_b32_e32 v5, 0
	v_mov_b32_e32 v4, 0
	;; [unrolled: 1-line block ×4, first 2 shown]
	s_or_b32 s0, s1, s0
	s_lshl_b32 s5, s6, 5
	s_and_b32 vcc_lo, exec_lo, s0
	s_lshl_b32 s6, s7, 5
	s_cbranch_vccnz .LBB150_12
; %bb.4:
	v_lshl_add_u32 v6, v1, 4, v0
	s_mul_i32 s1, s27, s8
	s_mul_hi_u32 s2, s26, s8
	s_mul_i32 s0, s26, s8
	s_add_i32 s1, s2, s1
	v_lshrrev_b32_e32 v7, 3, v6
	v_and_b32_e32 v10, 31, v6
	s_lshl_b64 s[0:1], s[0:1], 2
	s_mul_hi_u32 s3, s20, s8
	s_add_u32 s2, s22, s0
	v_add_nc_u32_e32 v13, s6, v7
	v_or_b32_e32 v11, s5, v10
	s_mul_i32 s0, s21, s8
	s_addc_u32 s7, s23, s1
	s_add_i32 s1, s3, s0
	v_ashrrev_i32_e32 v4, 31, v13
	s_mul_i32 s0, s20, s8
	v_mul_lo_u32 v9, s19, v11
	v_mad_u64_u32 v[2:3], null, s18, v11, 0
	s_lshl_b64 s[0:1], s[0:1], 2
	v_mul_lo_u32 v12, s24, v4
	v_mul_lo_u32 v14, s25, v13
	v_mad_u64_u32 v[4:5], null, s24, v13, 0
	s_add_u32 s3, s16, s0
	s_addc_u32 s1, s17, s1
	s_ashr_i32 s0, s5, 31
	v_and_b32_e32 v8, 7, v0
	s_mul_i32 s0, s18, s0
	v_lshlrev_b32_e32 v16, 2, v0
	v_add3_u32 v3, v3, s0, v9
	v_add3_u32 v5, v5, v12, v14
	v_lshrrev_b32_e32 v9, 5, v6
	v_lshlrev_b32_e32 v6, 2, v10
	v_lshlrev_b32_e32 v15, 2, v8
	v_lshlrev_b64 v[2:3], 2, v[2:3]
	v_lshlrev_b64 v[4:5], 2, v[4:5]
	s_waitcnt lgkmcnt(0)
	v_cmp_gt_i32_e64 s0, s4, v11
	v_lshl_or_b32 v10, v9, 7, v6
	v_lshl_or_b32 v6, v7, 5, v15
	v_lshl_add_u32 v17, v1, 5, 0x400
	v_add_co_u32 v11, vcc_lo, s3, v2
	v_add_co_ci_u32_e64 v12, null, s1, v3, vcc_lo
	v_add_co_u32 v14, vcc_lo, s2, v4
	v_cmp_gt_i32_e64 s1, s4, v13
	v_add_nc_u32_e32 v13, 0x400, v6
	v_add_co_ci_u32_e64 v15, null, s7, v5, vcc_lo
	v_mov_b32_e32 v3, 0
	v_mov_b32_e32 v6, 0
	;; [unrolled: 1-line block ×5, first 2 shown]
	s_mov_b64 s[2:3], 0
	s_branch .LBB150_6
.LBB150_5:                              ;   in Loop: Header=BB150_6 Depth=1
	s_or_b32 exec_lo, exec_lo, s7
	s_waitcnt vmcnt(0)
	ds_write_b32 v13, v19
	s_waitcnt lgkmcnt(0)
	s_barrier
	buffer_gl0_inv
	ds_read_b128 v[18:21], v17
	ds_read2_b32 v[34:35], v16 offset1:16
	ds_read_b128 v[22:25], v17 offset:512
	ds_read2_b32 v[36:37], v16 offset0:32 offset1:48
	ds_read2_b32 v[38:39], v16 offset0:64 offset1:80
	;; [unrolled: 1-line block ×3, first 2 shown]
	ds_read_b128 v[26:29], v17 offset:16
	ds_read2_b32 v[42:43], v16 offset0:128 offset1:144
	ds_read_b128 v[30:33], v17 offset:528
	ds_read2_b32 v[44:45], v16 offset0:160 offset1:176
	s_add_u32 s2, s2, 8
	s_addc_u32 s3, s3, 0
	v_cmp_gt_i64_e64 s7, s[12:13], s[2:3]
	s_and_b32 vcc_lo, exec_lo, s7
	s_waitcnt lgkmcnt(8)
	v_fmac_f32_e32 v5, v34, v18
	v_fmac_f32_e32 v4, v35, v18
	s_waitcnt lgkmcnt(7)
	v_fmac_f32_e32 v7, v34, v22
	v_fmac_f32_e32 v6, v35, v22
	ds_read2_b32 v[34:35], v16 offset0:192 offset1:208
	s_waitcnt lgkmcnt(7)
	v_fmac_f32_e32 v5, v36, v19
	v_fmac_f32_e32 v4, v37, v19
	;; [unrolled: 1-line block ×4, first 2 shown]
	ds_read2_b32 v[18:19], v16 offset0:224 offset1:240
	s_waitcnt lgkmcnt(7)
	v_fmac_f32_e32 v5, v38, v20
	v_fmac_f32_e32 v4, v39, v20
	;; [unrolled: 1-line block ×4, first 2 shown]
	s_waitcnt lgkmcnt(0)
	v_fmac_f32_e32 v5, v40, v21
	v_fmac_f32_e32 v4, v41, v21
	;; [unrolled: 1-line block ×4, first 2 shown]
	s_barrier
	v_fmac_f32_e32 v5, v42, v26
	v_fmac_f32_e32 v4, v43, v26
	;; [unrolled: 1-line block ×4, first 2 shown]
	buffer_gl0_inv
	v_fmac_f32_e32 v5, v44, v27
	v_fmac_f32_e32 v4, v45, v27
	;; [unrolled: 1-line block ×12, first 2 shown]
	s_cbranch_vccz .LBB150_12
.LBB150_6:                              ; =>This Inner Loop Header: Depth=1
	v_mov_b32_e32 v18, 0
	s_and_saveexec_b32 s7, s0
	s_cbranch_execz .LBB150_10
; %bb.7:                                ;   in Loop: Header=BB150_6 Depth=1
	v_add_nc_u32_e32 v2, s2, v9
	v_mov_b32_e32 v18, 0
	s_mov_b32 s11, exec_lo
	v_cmpx_gt_u64_e64 s[12:13], v[2:3]
	s_cbranch_execz .LBB150_9
; %bb.8:                                ;   in Loop: Header=BB150_6 Depth=1
	v_lshlrev_b64 v[18:19], 2, v[2:3]
	v_add_co_u32 v18, vcc_lo, v11, v18
	v_add_co_ci_u32_e64 v19, null, v12, v19, vcc_lo
	global_load_dword v18, v[18:19], off
.LBB150_9:                              ;   in Loop: Header=BB150_6 Depth=1
	s_or_b32 exec_lo, exec_lo, s11
.LBB150_10:                             ;   in Loop: Header=BB150_6 Depth=1
	s_or_b32 exec_lo, exec_lo, s7
	v_add_nc_u32_e32 v2, s2, v8
	v_mov_b32_e32 v19, 0
	s_waitcnt vmcnt(0)
	ds_write_b32 v10, v18
	v_cmp_gt_u64_e32 vcc_lo, s[12:13], v[2:3]
	s_and_b32 s11, vcc_lo, s1
	s_and_saveexec_b32 s7, s11
	s_cbranch_execz .LBB150_5
; %bb.11:                               ;   in Loop: Header=BB150_6 Depth=1
	v_lshlrev_b64 v[18:19], 2, v[2:3]
	v_add_co_u32 v18, vcc_lo, v14, v18
	v_add_co_ci_u32_e64 v19, null, v15, v19, vcc_lo
	global_load_dword v19, v[18:19], off
	s_branch .LBB150_5
.LBB150_12:
	v_add_nc_u32_e32 v9, s6, v1
	s_mul_i32 s1, s43, s8
	s_mul_hi_u32 s2, s42, s8
	s_mul_i32 s0, s42, s8
	s_add_i32 s1, s2, s1
	v_ashrrev_i32_e32 v3, 31, v9
	v_mul_lo_u32 v8, s41, v9
	v_mad_u64_u32 v[1:2], null, s40, v9, 0
	v_add_nc_u32_e32 v0, s5, v0
	v_mul_lo_u32 v3, s40, v3
	s_lshl_b64 s[2:3], s[0:1], 2
	v_cmp_neq_f32_e64 s5, s9, 0
	s_add_u32 s2, s38, s2
	s_waitcnt lgkmcnt(0)
	v_cmp_gt_i32_e64 s0, s4, v9
	v_cmp_le_i32_e32 vcc_lo, v0, v9
	s_addc_u32 s3, s39, s3
	v_add3_u32 v2, v2, v3, v8
	v_cndmask_b32_e64 v8, 0, 1, s5
	s_and_b32 s6, s0, vcc_lo
	v_lshlrev_b64 v[2:3], 2, v[1:2]
	v_ashrrev_i32_e32 v1, 31, v0
	v_add_co_u32 v10, s1, s2, v2
	v_add_co_ci_u32_e64 v11, null, s3, v3, s1
	s_and_saveexec_b32 s1, s6
	s_cbranch_execz .LBB150_16
; %bb.13:
	v_lshlrev_b64 v[2:3], 2, v[0:1]
	v_mul_f32_e32 v5, s10, v5
	v_add_co_u32 v2, vcc_lo, v10, v2
	v_add_co_ci_u32_e64 v3, null, v11, v3, vcc_lo
	s_andn2_b32 vcc_lo, exec_lo, s5
	s_cbranch_vccnz .LBB150_15
; %bb.14:
	global_load_dword v12, v[2:3], off
	s_waitcnt vmcnt(0)
	v_fmac_f32_e32 v5, s9, v12
.LBB150_15:
	global_store_dword v[2:3], v5, off
.LBB150_16:
	s_or_b32 exec_lo, exec_lo, s1
	v_add_nc_u32_e32 v2, 16, v0
	v_cmp_le_i32_e32 vcc_lo, v2, v9
	v_ashrrev_i32_e32 v3, 31, v2
	s_and_b32 s0, s0, vcc_lo
	s_and_saveexec_b32 s1, s0
	s_cbranch_execz .LBB150_20
; %bb.17:
	v_lshlrev_b64 v[13:14], 2, v[2:3]
	v_mul_f32_e32 v12, s10, v4
	v_cmp_ne_u32_e32 vcc_lo, 1, v8
	v_add_co_u32 v4, s0, v10, v13
	v_add_co_ci_u32_e64 v5, null, v11, v14, s0
	s_cbranch_vccnz .LBB150_19
; %bb.18:
	global_load_dword v10, v[4:5], off
	s_waitcnt vmcnt(0)
	v_fmac_f32_e32 v12, s9, v10
.LBB150_19:
	global_store_dword v[4:5], v12, off
.LBB150_20:
	s_or_b32 exec_lo, exec_lo, s1
	v_add_nc_u32_e32 v9, 16, v9
	v_ashrrev_i32_e32 v10, 31, v9
	v_mul_lo_u32 v11, s41, v9
	v_mad_u64_u32 v[4:5], null, s40, v9, 0
	v_cmp_gt_i32_e64 s0, s4, v9
	v_mul_lo_u32 v10, s40, v10
	v_cmp_le_i32_e32 vcc_lo, v0, v9
	v_add3_u32 v5, v5, v10, v11
	v_lshlrev_b64 v[4:5], 2, v[4:5]
	v_add_co_u32 v4, s1, s2, v4
	v_add_co_ci_u32_e64 v5, null, s3, v5, s1
	s_and_b32 s1, s0, vcc_lo
	s_and_saveexec_b32 s2, s1
	s_cbranch_execz .LBB150_24
; %bb.21:
	v_lshlrev_b64 v[0:1], 2, v[0:1]
	v_cmp_ne_u32_e32 vcc_lo, 1, v8
	v_mul_f32_e32 v7, s10, v7
	v_add_co_u32 v0, s1, v4, v0
	v_add_co_ci_u32_e64 v1, null, v5, v1, s1
	s_cbranch_vccnz .LBB150_23
; %bb.22:
	global_load_dword v10, v[0:1], off
	s_waitcnt vmcnt(0)
	v_fmac_f32_e32 v7, s9, v10
.LBB150_23:
	global_store_dword v[0:1], v7, off
.LBB150_24:
	s_or_b32 exec_lo, exec_lo, s2
	v_cmp_le_i32_e32 vcc_lo, v2, v9
	s_and_b32 s0, s0, vcc_lo
	s_and_saveexec_b32 s1, s0
	s_cbranch_execz .LBB150_28
; %bb.25:
	v_lshlrev_b64 v[0:1], 2, v[2:3]
	v_cmp_ne_u32_e32 vcc_lo, 1, v8
	v_mul_f32_e32 v2, s10, v6
	v_add_co_u32 v0, s0, v4, v0
	v_add_co_ci_u32_e64 v1, null, v5, v1, s0
	s_cbranch_vccnz .LBB150_27
; %bb.26:
	global_load_dword v3, v[0:1], off
	s_waitcnt vmcnt(0)
	v_fmac_f32_e32 v2, s9, v3
.LBB150_27:
	global_store_dword v[0:1], v2, off
.LBB150_28:
	s_endpgm
	.section	.rodata,"a",@progbits
	.p2align	6, 0x0
	.amdhsa_kernel _ZL29rocblas_internal_gemmt_kernelIlLi16ELi32ELi8ELc67ELc78ELc85ELb0ELb0EfPKfS1_PfEviT_T9_T10_S3_lS5_S3_lS4_T11_S3_li
		.amdhsa_group_segment_fixed_size 2048
		.amdhsa_private_segment_fixed_size 0
		.amdhsa_kernarg_size 108
		.amdhsa_user_sgpr_count 6
		.amdhsa_user_sgpr_private_segment_buffer 1
		.amdhsa_user_sgpr_dispatch_ptr 0
		.amdhsa_user_sgpr_queue_ptr 0
		.amdhsa_user_sgpr_kernarg_segment_ptr 1
		.amdhsa_user_sgpr_dispatch_id 0
		.amdhsa_user_sgpr_flat_scratch_init 0
		.amdhsa_user_sgpr_private_segment_size 0
		.amdhsa_wavefront_size32 1
		.amdhsa_uses_dynamic_stack 0
		.amdhsa_system_sgpr_private_segment_wavefront_offset 0
		.amdhsa_system_sgpr_workgroup_id_x 1
		.amdhsa_system_sgpr_workgroup_id_y 1
		.amdhsa_system_sgpr_workgroup_id_z 1
		.amdhsa_system_sgpr_workgroup_info 0
		.amdhsa_system_vgpr_workitem_id 1
		.amdhsa_next_free_vgpr 46
		.amdhsa_next_free_sgpr 44
		.amdhsa_reserve_vcc 1
		.amdhsa_reserve_flat_scratch 0
		.amdhsa_float_round_mode_32 0
		.amdhsa_float_round_mode_16_64 0
		.amdhsa_float_denorm_mode_32 3
		.amdhsa_float_denorm_mode_16_64 3
		.amdhsa_dx10_clamp 1
		.amdhsa_ieee_mode 1
		.amdhsa_fp16_overflow 0
		.amdhsa_workgroup_processor_mode 1
		.amdhsa_memory_ordered 1
		.amdhsa_forward_progress 1
		.amdhsa_shared_vgpr_count 0
		.amdhsa_exception_fp_ieee_invalid_op 0
		.amdhsa_exception_fp_denorm_src 0
		.amdhsa_exception_fp_ieee_div_zero 0
		.amdhsa_exception_fp_ieee_overflow 0
		.amdhsa_exception_fp_ieee_underflow 0
		.amdhsa_exception_fp_ieee_inexact 0
		.amdhsa_exception_int_div_zero 0
	.end_amdhsa_kernel
	.section	.text._ZL29rocblas_internal_gemmt_kernelIlLi16ELi32ELi8ELc67ELc78ELc85ELb0ELb0EfPKfS1_PfEviT_T9_T10_S3_lS5_S3_lS4_T11_S3_li,"axG",@progbits,_ZL29rocblas_internal_gemmt_kernelIlLi16ELi32ELi8ELc67ELc78ELc85ELb0ELb0EfPKfS1_PfEviT_T9_T10_S3_lS5_S3_lS4_T11_S3_li,comdat
.Lfunc_end150:
	.size	_ZL29rocblas_internal_gemmt_kernelIlLi16ELi32ELi8ELc67ELc78ELc85ELb0ELb0EfPKfS1_PfEviT_T9_T10_S3_lS5_S3_lS4_T11_S3_li, .Lfunc_end150-_ZL29rocblas_internal_gemmt_kernelIlLi16ELi32ELi8ELc67ELc78ELc85ELb0ELb0EfPKfS1_PfEviT_T9_T10_S3_lS5_S3_lS4_T11_S3_li
                                        ; -- End function
	.set _ZL29rocblas_internal_gemmt_kernelIlLi16ELi32ELi8ELc67ELc78ELc85ELb0ELb0EfPKfS1_PfEviT_T9_T10_S3_lS5_S3_lS4_T11_S3_li.num_vgpr, 46
	.set _ZL29rocblas_internal_gemmt_kernelIlLi16ELi32ELi8ELc67ELc78ELc85ELb0ELb0EfPKfS1_PfEviT_T9_T10_S3_lS5_S3_lS4_T11_S3_li.num_agpr, 0
	.set _ZL29rocblas_internal_gemmt_kernelIlLi16ELi32ELi8ELc67ELc78ELc85ELb0ELb0EfPKfS1_PfEviT_T9_T10_S3_lS5_S3_lS4_T11_S3_li.numbered_sgpr, 44
	.set _ZL29rocblas_internal_gemmt_kernelIlLi16ELi32ELi8ELc67ELc78ELc85ELb0ELb0EfPKfS1_PfEviT_T9_T10_S3_lS5_S3_lS4_T11_S3_li.num_named_barrier, 0
	.set _ZL29rocblas_internal_gemmt_kernelIlLi16ELi32ELi8ELc67ELc78ELc85ELb0ELb0EfPKfS1_PfEviT_T9_T10_S3_lS5_S3_lS4_T11_S3_li.private_seg_size, 0
	.set _ZL29rocblas_internal_gemmt_kernelIlLi16ELi32ELi8ELc67ELc78ELc85ELb0ELb0EfPKfS1_PfEviT_T9_T10_S3_lS5_S3_lS4_T11_S3_li.uses_vcc, 1
	.set _ZL29rocblas_internal_gemmt_kernelIlLi16ELi32ELi8ELc67ELc78ELc85ELb0ELb0EfPKfS1_PfEviT_T9_T10_S3_lS5_S3_lS4_T11_S3_li.uses_flat_scratch, 0
	.set _ZL29rocblas_internal_gemmt_kernelIlLi16ELi32ELi8ELc67ELc78ELc85ELb0ELb0EfPKfS1_PfEviT_T9_T10_S3_lS5_S3_lS4_T11_S3_li.has_dyn_sized_stack, 0
	.set _ZL29rocblas_internal_gemmt_kernelIlLi16ELi32ELi8ELc67ELc78ELc85ELb0ELb0EfPKfS1_PfEviT_T9_T10_S3_lS5_S3_lS4_T11_S3_li.has_recursion, 0
	.set _ZL29rocblas_internal_gemmt_kernelIlLi16ELi32ELi8ELc67ELc78ELc85ELb0ELb0EfPKfS1_PfEviT_T9_T10_S3_lS5_S3_lS4_T11_S3_li.has_indirect_call, 0
	.section	.AMDGPU.csdata,"",@progbits
; Kernel info:
; codeLenInByte = 1436
; TotalNumSgprs: 46
; NumVgprs: 46
; ScratchSize: 0
; MemoryBound: 0
; FloatMode: 240
; IeeeMode: 1
; LDSByteSize: 2048 bytes/workgroup (compile time only)
; SGPRBlocks: 0
; VGPRBlocks: 5
; NumSGPRsForWavesPerEU: 46
; NumVGPRsForWavesPerEU: 46
; Occupancy: 16
; WaveLimiterHint : 0
; COMPUTE_PGM_RSRC2:SCRATCH_EN: 0
; COMPUTE_PGM_RSRC2:USER_SGPR: 6
; COMPUTE_PGM_RSRC2:TRAP_HANDLER: 0
; COMPUTE_PGM_RSRC2:TGID_X_EN: 1
; COMPUTE_PGM_RSRC2:TGID_Y_EN: 1
; COMPUTE_PGM_RSRC2:TGID_Z_EN: 1
; COMPUTE_PGM_RSRC2:TIDIG_COMP_CNT: 1
	.section	.text._ZL29rocblas_internal_gemmt_kernelIlLi16ELi32ELi8ELc67ELc84ELc85ELb0ELb0EfPKfS1_PfEviT_T9_T10_S3_lS5_S3_lS4_T11_S3_li,"axG",@progbits,_ZL29rocblas_internal_gemmt_kernelIlLi16ELi32ELi8ELc67ELc84ELc85ELb0ELb0EfPKfS1_PfEviT_T9_T10_S3_lS5_S3_lS4_T11_S3_li,comdat
	.globl	_ZL29rocblas_internal_gemmt_kernelIlLi16ELi32ELi8ELc67ELc84ELc85ELb0ELb0EfPKfS1_PfEviT_T9_T10_S3_lS5_S3_lS4_T11_S3_li ; -- Begin function _ZL29rocblas_internal_gemmt_kernelIlLi16ELi32ELi8ELc67ELc84ELc85ELb0ELb0EfPKfS1_PfEviT_T9_T10_S3_lS5_S3_lS4_T11_S3_li
	.p2align	8
	.type	_ZL29rocblas_internal_gemmt_kernelIlLi16ELi32ELi8ELc67ELc84ELc85ELb0ELb0EfPKfS1_PfEviT_T9_T10_S3_lS5_S3_lS4_T11_S3_li,@function
_ZL29rocblas_internal_gemmt_kernelIlLi16ELi32ELi8ELc67ELc84ELc85ELb0ELb0EfPKfS1_PfEviT_T9_T10_S3_lS5_S3_lS4_T11_S3_li: ; @_ZL29rocblas_internal_gemmt_kernelIlLi16ELi32ELi8ELc67ELc84ELc85ELb0ELb0EfPKfS1_PfEviT_T9_T10_S3_lS5_S3_lS4_T11_S3_li
; %bb.0:
	s_clause 0x1
	s_load_dwordx8 s[36:43], s[4:5], 0x48
	s_load_dwordx16 s[12:27], s[4:5], 0x8
	s_waitcnt lgkmcnt(0)
	s_load_dword s9, s[36:37], 0x0
	s_load_dword s10, s[14:15], 0x0
	s_waitcnt lgkmcnt(0)
	v_cmp_neq_f32_e64 s0, s9, 1.0
	s_and_b32 vcc_lo, exec_lo, s0
	s_cbranch_vccnz .LBB151_2
; %bb.1:
	v_cmp_neq_f32_e64 s0, s10, 0
	s_cmp_lg_u64 s[12:13], 0
	s_cselect_b32 s1, -1, 0
	s_and_b32 s0, s1, s0
.LBB151_2:
	s_andn2_b32 vcc_lo, exec_lo, s0
	s_cbranch_vccnz .LBB151_28
; %bb.3:
	s_load_dword s4, s[4:5], 0x0
	v_cmp_lt_i64_e64 s0, s[12:13], 1
	v_cmp_eq_f32_e64 s1, s10, 0
	v_mov_b32_e32 v5, 0
	v_mov_b32_e32 v4, 0
	;; [unrolled: 1-line block ×4, first 2 shown]
	s_or_b32 s0, s1, s0
	s_lshl_b32 s5, s6, 5
	s_and_b32 vcc_lo, exec_lo, s0
	s_lshl_b32 s6, s7, 5
	s_cbranch_vccnz .LBB151_12
; %bb.4:
	v_lshl_add_u32 v5, v1, 4, v0
	s_mul_i32 s1, s27, s8
	s_mul_hi_u32 s2, s26, s8
	s_mul_i32 s0, s26, s8
	s_add_i32 s1, s2, s1
	v_and_b32_e32 v6, 31, v5
	s_lshl_b64 s[0:1], s[0:1], 2
	s_mul_i32 s2, s21, s8
	s_add_u32 s3, s22, s0
	s_addc_u32 s7, s23, s1
	v_or_b32_e32 v7, s5, v6
	s_mul_hi_u32 s1, s20, s8
	s_mul_i32 s0, s20, s8
	s_add_i32 s1, s1, s2
	v_lshrrev_b32_e32 v11, 3, v5
	v_mul_lo_u32 v9, s19, v7
	v_mad_u64_u32 v[2:3], null, s18, v7, 0
	s_lshl_b64 s[0:1], s[0:1], 2
	v_add_nc_u32_e32 v4, s6, v11
	s_add_u32 s2, s16, s0
	s_addc_u32 s1, s17, s1
	s_ashr_i32 s0, s5, 31
	v_and_b32_e32 v8, 7, v0
	s_mul_i32 s0, s18, s0
	v_lshlrev_b32_e32 v6, 2, v6
	v_add3_u32 v3, v3, s0, v9
	v_lshrrev_b32_e32 v9, 5, v5
	v_ashrrev_i32_e32 v5, 31, v4
	v_lshlrev_b32_e32 v12, 2, v8
	s_waitcnt lgkmcnt(0)
	v_cmp_gt_i32_e64 s0, s4, v7
	v_lshlrev_b64 v[2:3], 2, v[2:3]
	v_lshl_or_b32 v10, v9, 7, v6
	v_lshlrev_b64 v[5:6], 2, v[4:5]
	v_lshl_or_b32 v7, v11, 5, v12
	v_lshlrev_b32_e32 v16, 2, v0
	v_lshl_add_u32 v17, v1, 5, 0x400
	v_add_co_u32 v11, vcc_lo, s2, v2
	v_add_co_ci_u32_e64 v12, null, s1, v3, vcc_lo
	v_add_co_u32 v14, vcc_lo, s3, v5
	v_cmp_gt_i32_e64 s1, s4, v4
	v_add_nc_u32_e32 v13, 0x400, v7
	v_add_co_ci_u32_e64 v15, null, s7, v6, vcc_lo
	v_mov_b32_e32 v3, 0
	v_mov_b32_e32 v6, 0
	;; [unrolled: 1-line block ×5, first 2 shown]
	s_mov_b64 s[2:3], 0
	s_branch .LBB151_6
.LBB151_5:                              ;   in Loop: Header=BB151_6 Depth=1
	s_or_b32 exec_lo, exec_lo, s7
	s_waitcnt vmcnt(0)
	ds_write_b32 v13, v19
	s_waitcnt lgkmcnt(0)
	s_barrier
	buffer_gl0_inv
	ds_read_b128 v[18:21], v17
	ds_read2_b32 v[34:35], v16 offset1:16
	ds_read_b128 v[22:25], v17 offset:512
	ds_read2_b32 v[36:37], v16 offset0:32 offset1:48
	ds_read2_b32 v[38:39], v16 offset0:64 offset1:80
	;; [unrolled: 1-line block ×3, first 2 shown]
	ds_read_b128 v[26:29], v17 offset:16
	ds_read2_b32 v[42:43], v16 offset0:128 offset1:144
	ds_read_b128 v[30:33], v17 offset:528
	ds_read2_b32 v[44:45], v16 offset0:160 offset1:176
	s_add_u32 s2, s2, 8
	s_addc_u32 s3, s3, 0
	v_cmp_gt_i64_e64 s7, s[12:13], s[2:3]
	s_and_b32 vcc_lo, exec_lo, s7
	s_waitcnt lgkmcnt(8)
	v_fmac_f32_e32 v5, v34, v18
	v_fmac_f32_e32 v4, v35, v18
	s_waitcnt lgkmcnt(7)
	v_fmac_f32_e32 v7, v34, v22
	v_fmac_f32_e32 v6, v35, v22
	ds_read2_b32 v[34:35], v16 offset0:192 offset1:208
	s_waitcnt lgkmcnt(7)
	v_fmac_f32_e32 v5, v36, v19
	v_fmac_f32_e32 v4, v37, v19
	;; [unrolled: 1-line block ×4, first 2 shown]
	ds_read2_b32 v[18:19], v16 offset0:224 offset1:240
	s_waitcnt lgkmcnt(7)
	v_fmac_f32_e32 v5, v38, v20
	v_fmac_f32_e32 v4, v39, v20
	;; [unrolled: 1-line block ×4, first 2 shown]
	s_waitcnt lgkmcnt(0)
	v_fmac_f32_e32 v5, v40, v21
	v_fmac_f32_e32 v4, v41, v21
	;; [unrolled: 1-line block ×4, first 2 shown]
	s_barrier
	v_fmac_f32_e32 v5, v42, v26
	v_fmac_f32_e32 v4, v43, v26
	;; [unrolled: 1-line block ×4, first 2 shown]
	buffer_gl0_inv
	v_fmac_f32_e32 v5, v44, v27
	v_fmac_f32_e32 v4, v45, v27
	;; [unrolled: 1-line block ×12, first 2 shown]
	s_cbranch_vccz .LBB151_12
.LBB151_6:                              ; =>This Inner Loop Header: Depth=1
	v_mov_b32_e32 v18, 0
	s_and_saveexec_b32 s7, s0
	s_cbranch_execz .LBB151_10
; %bb.7:                                ;   in Loop: Header=BB151_6 Depth=1
	v_add_nc_u32_e32 v2, s2, v9
	v_mov_b32_e32 v18, 0
	s_mov_b32 s11, exec_lo
	v_cmpx_gt_u64_e64 s[12:13], v[2:3]
	s_cbranch_execz .LBB151_9
; %bb.8:                                ;   in Loop: Header=BB151_6 Depth=1
	v_lshlrev_b64 v[18:19], 2, v[2:3]
	v_add_co_u32 v18, vcc_lo, v11, v18
	v_add_co_ci_u32_e64 v19, null, v12, v19, vcc_lo
	global_load_dword v18, v[18:19], off
.LBB151_9:                              ;   in Loop: Header=BB151_6 Depth=1
	s_or_b32 exec_lo, exec_lo, s11
.LBB151_10:                             ;   in Loop: Header=BB151_6 Depth=1
	s_or_b32 exec_lo, exec_lo, s7
	v_add_nc_u32_e32 v2, s2, v8
	v_mov_b32_e32 v19, 0
	s_waitcnt vmcnt(0)
	ds_write_b32 v10, v18
	v_cmp_gt_u64_e32 vcc_lo, s[12:13], v[2:3]
	s_and_b32 s11, vcc_lo, s1
	s_and_saveexec_b32 s7, s11
	s_cbranch_execz .LBB151_5
; %bb.11:                               ;   in Loop: Header=BB151_6 Depth=1
	v_mad_u64_u32 v[18:19], null, s24, v2, 0
	v_mad_u64_u32 v[19:20], null, s25, v2, v[19:20]
	v_lshlrev_b64 v[18:19], 2, v[18:19]
	v_add_co_u32 v18, vcc_lo, v14, v18
	v_add_co_ci_u32_e64 v19, null, v15, v19, vcc_lo
	global_load_dword v19, v[18:19], off
	s_branch .LBB151_5
.LBB151_12:
	v_add_nc_u32_e32 v9, s6, v1
	s_mul_i32 s1, s43, s8
	s_mul_hi_u32 s2, s42, s8
	s_mul_i32 s0, s42, s8
	s_add_i32 s1, s2, s1
	v_ashrrev_i32_e32 v3, 31, v9
	v_mul_lo_u32 v8, s41, v9
	v_mad_u64_u32 v[1:2], null, s40, v9, 0
	v_add_nc_u32_e32 v0, s5, v0
	v_mul_lo_u32 v3, s40, v3
	s_lshl_b64 s[2:3], s[0:1], 2
	v_cmp_neq_f32_e64 s5, s9, 0
	s_add_u32 s2, s38, s2
	s_waitcnt lgkmcnt(0)
	v_cmp_gt_i32_e64 s0, s4, v9
	v_cmp_le_i32_e32 vcc_lo, v0, v9
	s_addc_u32 s3, s39, s3
	v_add3_u32 v2, v2, v3, v8
	v_cndmask_b32_e64 v8, 0, 1, s5
	s_and_b32 s6, s0, vcc_lo
	v_lshlrev_b64 v[2:3], 2, v[1:2]
	v_ashrrev_i32_e32 v1, 31, v0
	v_add_co_u32 v10, s1, s2, v2
	v_add_co_ci_u32_e64 v11, null, s3, v3, s1
	s_and_saveexec_b32 s1, s6
	s_cbranch_execz .LBB151_16
; %bb.13:
	v_lshlrev_b64 v[2:3], 2, v[0:1]
	v_mul_f32_e32 v5, s10, v5
	v_add_co_u32 v2, vcc_lo, v10, v2
	v_add_co_ci_u32_e64 v3, null, v11, v3, vcc_lo
	s_andn2_b32 vcc_lo, exec_lo, s5
	s_cbranch_vccnz .LBB151_15
; %bb.14:
	global_load_dword v12, v[2:3], off
	s_waitcnt vmcnt(0)
	v_fmac_f32_e32 v5, s9, v12
.LBB151_15:
	global_store_dword v[2:3], v5, off
.LBB151_16:
	s_or_b32 exec_lo, exec_lo, s1
	v_add_nc_u32_e32 v2, 16, v0
	v_cmp_le_i32_e32 vcc_lo, v2, v9
	v_ashrrev_i32_e32 v3, 31, v2
	s_and_b32 s0, s0, vcc_lo
	s_and_saveexec_b32 s1, s0
	s_cbranch_execz .LBB151_20
; %bb.17:
	v_lshlrev_b64 v[13:14], 2, v[2:3]
	v_mul_f32_e32 v12, s10, v4
	v_cmp_ne_u32_e32 vcc_lo, 1, v8
	v_add_co_u32 v4, s0, v10, v13
	v_add_co_ci_u32_e64 v5, null, v11, v14, s0
	s_cbranch_vccnz .LBB151_19
; %bb.18:
	global_load_dword v10, v[4:5], off
	s_waitcnt vmcnt(0)
	v_fmac_f32_e32 v12, s9, v10
.LBB151_19:
	global_store_dword v[4:5], v12, off
.LBB151_20:
	s_or_b32 exec_lo, exec_lo, s1
	v_add_nc_u32_e32 v9, 16, v9
	v_ashrrev_i32_e32 v10, 31, v9
	v_mul_lo_u32 v11, s41, v9
	v_mad_u64_u32 v[4:5], null, s40, v9, 0
	v_cmp_gt_i32_e64 s0, s4, v9
	v_mul_lo_u32 v10, s40, v10
	v_cmp_le_i32_e32 vcc_lo, v0, v9
	v_add3_u32 v5, v5, v10, v11
	v_lshlrev_b64 v[4:5], 2, v[4:5]
	v_add_co_u32 v4, s1, s2, v4
	v_add_co_ci_u32_e64 v5, null, s3, v5, s1
	s_and_b32 s1, s0, vcc_lo
	s_and_saveexec_b32 s2, s1
	s_cbranch_execz .LBB151_24
; %bb.21:
	v_lshlrev_b64 v[0:1], 2, v[0:1]
	v_cmp_ne_u32_e32 vcc_lo, 1, v8
	v_mul_f32_e32 v7, s10, v7
	v_add_co_u32 v0, s1, v4, v0
	v_add_co_ci_u32_e64 v1, null, v5, v1, s1
	s_cbranch_vccnz .LBB151_23
; %bb.22:
	global_load_dword v10, v[0:1], off
	s_waitcnt vmcnt(0)
	v_fmac_f32_e32 v7, s9, v10
.LBB151_23:
	global_store_dword v[0:1], v7, off
.LBB151_24:
	s_or_b32 exec_lo, exec_lo, s2
	v_cmp_le_i32_e32 vcc_lo, v2, v9
	s_and_b32 s0, s0, vcc_lo
	s_and_saveexec_b32 s1, s0
	s_cbranch_execz .LBB151_28
; %bb.25:
	v_lshlrev_b64 v[0:1], 2, v[2:3]
	v_cmp_ne_u32_e32 vcc_lo, 1, v8
	v_mul_f32_e32 v2, s10, v6
	v_add_co_u32 v0, s0, v4, v0
	v_add_co_ci_u32_e64 v1, null, v5, v1, s0
	s_cbranch_vccnz .LBB151_27
; %bb.26:
	global_load_dword v3, v[0:1], off
	s_waitcnt vmcnt(0)
	v_fmac_f32_e32 v2, s9, v3
.LBB151_27:
	global_store_dword v[0:1], v2, off
.LBB151_28:
	s_endpgm
	.section	.rodata,"a",@progbits
	.p2align	6, 0x0
	.amdhsa_kernel _ZL29rocblas_internal_gemmt_kernelIlLi16ELi32ELi8ELc67ELc84ELc85ELb0ELb0EfPKfS1_PfEviT_T9_T10_S3_lS5_S3_lS4_T11_S3_li
		.amdhsa_group_segment_fixed_size 2048
		.amdhsa_private_segment_fixed_size 0
		.amdhsa_kernarg_size 108
		.amdhsa_user_sgpr_count 6
		.amdhsa_user_sgpr_private_segment_buffer 1
		.amdhsa_user_sgpr_dispatch_ptr 0
		.amdhsa_user_sgpr_queue_ptr 0
		.amdhsa_user_sgpr_kernarg_segment_ptr 1
		.amdhsa_user_sgpr_dispatch_id 0
		.amdhsa_user_sgpr_flat_scratch_init 0
		.amdhsa_user_sgpr_private_segment_size 0
		.amdhsa_wavefront_size32 1
		.amdhsa_uses_dynamic_stack 0
		.amdhsa_system_sgpr_private_segment_wavefront_offset 0
		.amdhsa_system_sgpr_workgroup_id_x 1
		.amdhsa_system_sgpr_workgroup_id_y 1
		.amdhsa_system_sgpr_workgroup_id_z 1
		.amdhsa_system_sgpr_workgroup_info 0
		.amdhsa_system_vgpr_workitem_id 1
		.amdhsa_next_free_vgpr 46
		.amdhsa_next_free_sgpr 44
		.amdhsa_reserve_vcc 1
		.amdhsa_reserve_flat_scratch 0
		.amdhsa_float_round_mode_32 0
		.amdhsa_float_round_mode_16_64 0
		.amdhsa_float_denorm_mode_32 3
		.amdhsa_float_denorm_mode_16_64 3
		.amdhsa_dx10_clamp 1
		.amdhsa_ieee_mode 1
		.amdhsa_fp16_overflow 0
		.amdhsa_workgroup_processor_mode 1
		.amdhsa_memory_ordered 1
		.amdhsa_forward_progress 1
		.amdhsa_shared_vgpr_count 0
		.amdhsa_exception_fp_ieee_invalid_op 0
		.amdhsa_exception_fp_denorm_src 0
		.amdhsa_exception_fp_ieee_div_zero 0
		.amdhsa_exception_fp_ieee_overflow 0
		.amdhsa_exception_fp_ieee_underflow 0
		.amdhsa_exception_fp_ieee_inexact 0
		.amdhsa_exception_int_div_zero 0
	.end_amdhsa_kernel
	.section	.text._ZL29rocblas_internal_gemmt_kernelIlLi16ELi32ELi8ELc67ELc84ELc85ELb0ELb0EfPKfS1_PfEviT_T9_T10_S3_lS5_S3_lS4_T11_S3_li,"axG",@progbits,_ZL29rocblas_internal_gemmt_kernelIlLi16ELi32ELi8ELc67ELc84ELc85ELb0ELb0EfPKfS1_PfEviT_T9_T10_S3_lS5_S3_lS4_T11_S3_li,comdat
.Lfunc_end151:
	.size	_ZL29rocblas_internal_gemmt_kernelIlLi16ELi32ELi8ELc67ELc84ELc85ELb0ELb0EfPKfS1_PfEviT_T9_T10_S3_lS5_S3_lS4_T11_S3_li, .Lfunc_end151-_ZL29rocblas_internal_gemmt_kernelIlLi16ELi32ELi8ELc67ELc84ELc85ELb0ELb0EfPKfS1_PfEviT_T9_T10_S3_lS5_S3_lS4_T11_S3_li
                                        ; -- End function
	.set _ZL29rocblas_internal_gemmt_kernelIlLi16ELi32ELi8ELc67ELc84ELc85ELb0ELb0EfPKfS1_PfEviT_T9_T10_S3_lS5_S3_lS4_T11_S3_li.num_vgpr, 46
	.set _ZL29rocblas_internal_gemmt_kernelIlLi16ELi32ELi8ELc67ELc84ELc85ELb0ELb0EfPKfS1_PfEviT_T9_T10_S3_lS5_S3_lS4_T11_S3_li.num_agpr, 0
	.set _ZL29rocblas_internal_gemmt_kernelIlLi16ELi32ELi8ELc67ELc84ELc85ELb0ELb0EfPKfS1_PfEviT_T9_T10_S3_lS5_S3_lS4_T11_S3_li.numbered_sgpr, 44
	.set _ZL29rocblas_internal_gemmt_kernelIlLi16ELi32ELi8ELc67ELc84ELc85ELb0ELb0EfPKfS1_PfEviT_T9_T10_S3_lS5_S3_lS4_T11_S3_li.num_named_barrier, 0
	.set _ZL29rocblas_internal_gemmt_kernelIlLi16ELi32ELi8ELc67ELc84ELc85ELb0ELb0EfPKfS1_PfEviT_T9_T10_S3_lS5_S3_lS4_T11_S3_li.private_seg_size, 0
	.set _ZL29rocblas_internal_gemmt_kernelIlLi16ELi32ELi8ELc67ELc84ELc85ELb0ELb0EfPKfS1_PfEviT_T9_T10_S3_lS5_S3_lS4_T11_S3_li.uses_vcc, 1
	.set _ZL29rocblas_internal_gemmt_kernelIlLi16ELi32ELi8ELc67ELc84ELc85ELb0ELb0EfPKfS1_PfEviT_T9_T10_S3_lS5_S3_lS4_T11_S3_li.uses_flat_scratch, 0
	.set _ZL29rocblas_internal_gemmt_kernelIlLi16ELi32ELi8ELc67ELc84ELc85ELb0ELb0EfPKfS1_PfEviT_T9_T10_S3_lS5_S3_lS4_T11_S3_li.has_dyn_sized_stack, 0
	.set _ZL29rocblas_internal_gemmt_kernelIlLi16ELi32ELi8ELc67ELc84ELc85ELb0ELb0EfPKfS1_PfEviT_T9_T10_S3_lS5_S3_lS4_T11_S3_li.has_recursion, 0
	.set _ZL29rocblas_internal_gemmt_kernelIlLi16ELi32ELi8ELc67ELc84ELc85ELb0ELb0EfPKfS1_PfEviT_T9_T10_S3_lS5_S3_lS4_T11_S3_li.has_indirect_call, 0
	.section	.AMDGPU.csdata,"",@progbits
; Kernel info:
; codeLenInByte = 1420
; TotalNumSgprs: 46
; NumVgprs: 46
; ScratchSize: 0
; MemoryBound: 0
; FloatMode: 240
; IeeeMode: 1
; LDSByteSize: 2048 bytes/workgroup (compile time only)
; SGPRBlocks: 0
; VGPRBlocks: 5
; NumSGPRsForWavesPerEU: 46
; NumVGPRsForWavesPerEU: 46
; Occupancy: 16
; WaveLimiterHint : 0
; COMPUTE_PGM_RSRC2:SCRATCH_EN: 0
; COMPUTE_PGM_RSRC2:USER_SGPR: 6
; COMPUTE_PGM_RSRC2:TRAP_HANDLER: 0
; COMPUTE_PGM_RSRC2:TGID_X_EN: 1
; COMPUTE_PGM_RSRC2:TGID_Y_EN: 1
; COMPUTE_PGM_RSRC2:TGID_Z_EN: 1
; COMPUTE_PGM_RSRC2:TIDIG_COMP_CNT: 1
	.section	.text._ZL29rocblas_internal_gemmt_kernelIlLi16ELi32ELi8ELc67ELc67ELc85ELb0ELb0EfPKfS1_PfEviT_T9_T10_S3_lS5_S3_lS4_T11_S3_li,"axG",@progbits,_ZL29rocblas_internal_gemmt_kernelIlLi16ELi32ELi8ELc67ELc67ELc85ELb0ELb0EfPKfS1_PfEviT_T9_T10_S3_lS5_S3_lS4_T11_S3_li,comdat
	.globl	_ZL29rocblas_internal_gemmt_kernelIlLi16ELi32ELi8ELc67ELc67ELc85ELb0ELb0EfPKfS1_PfEviT_T9_T10_S3_lS5_S3_lS4_T11_S3_li ; -- Begin function _ZL29rocblas_internal_gemmt_kernelIlLi16ELi32ELi8ELc67ELc67ELc85ELb0ELb0EfPKfS1_PfEviT_T9_T10_S3_lS5_S3_lS4_T11_S3_li
	.p2align	8
	.type	_ZL29rocblas_internal_gemmt_kernelIlLi16ELi32ELi8ELc67ELc67ELc85ELb0ELb0EfPKfS1_PfEviT_T9_T10_S3_lS5_S3_lS4_T11_S3_li,@function
_ZL29rocblas_internal_gemmt_kernelIlLi16ELi32ELi8ELc67ELc67ELc85ELb0ELb0EfPKfS1_PfEviT_T9_T10_S3_lS5_S3_lS4_T11_S3_li: ; @_ZL29rocblas_internal_gemmt_kernelIlLi16ELi32ELi8ELc67ELc67ELc85ELb0ELb0EfPKfS1_PfEviT_T9_T10_S3_lS5_S3_lS4_T11_S3_li
; %bb.0:
	s_clause 0x1
	s_load_dwordx8 s[36:43], s[4:5], 0x48
	s_load_dwordx16 s[12:27], s[4:5], 0x8
	s_waitcnt lgkmcnt(0)
	s_load_dword s9, s[36:37], 0x0
	s_load_dword s10, s[14:15], 0x0
	s_waitcnt lgkmcnt(0)
	v_cmp_neq_f32_e64 s0, s9, 1.0
	s_and_b32 vcc_lo, exec_lo, s0
	s_cbranch_vccnz .LBB152_2
; %bb.1:
	v_cmp_neq_f32_e64 s0, s10, 0
	s_cmp_lg_u64 s[12:13], 0
	s_cselect_b32 s1, -1, 0
	s_and_b32 s0, s1, s0
.LBB152_2:
	s_andn2_b32 vcc_lo, exec_lo, s0
	s_cbranch_vccnz .LBB152_28
; %bb.3:
	s_load_dword s4, s[4:5], 0x0
	v_cmp_lt_i64_e64 s0, s[12:13], 1
	v_cmp_eq_f32_e64 s1, s10, 0
	v_mov_b32_e32 v5, 0
	v_mov_b32_e32 v4, 0
	;; [unrolled: 1-line block ×4, first 2 shown]
	s_or_b32 s0, s1, s0
	s_lshl_b32 s5, s6, 5
	s_and_b32 vcc_lo, exec_lo, s0
	s_lshl_b32 s6, s7, 5
	s_cbranch_vccnz .LBB152_12
; %bb.4:
	v_lshl_add_u32 v5, v1, 4, v0
	s_mul_i32 s1, s27, s8
	s_mul_hi_u32 s2, s26, s8
	s_mul_i32 s0, s26, s8
	s_add_i32 s1, s2, s1
	v_and_b32_e32 v6, 31, v5
	s_lshl_b64 s[0:1], s[0:1], 2
	s_mul_i32 s2, s21, s8
	s_add_u32 s3, s22, s0
	s_addc_u32 s7, s23, s1
	v_or_b32_e32 v7, s5, v6
	s_mul_hi_u32 s1, s20, s8
	s_mul_i32 s0, s20, s8
	s_add_i32 s1, s1, s2
	v_lshrrev_b32_e32 v11, 3, v5
	v_mul_lo_u32 v9, s19, v7
	v_mad_u64_u32 v[2:3], null, s18, v7, 0
	s_lshl_b64 s[0:1], s[0:1], 2
	v_add_nc_u32_e32 v4, s6, v11
	s_add_u32 s2, s16, s0
	s_addc_u32 s1, s17, s1
	s_ashr_i32 s0, s5, 31
	v_and_b32_e32 v8, 7, v0
	s_mul_i32 s0, s18, s0
	v_lshlrev_b32_e32 v6, 2, v6
	v_add3_u32 v3, v3, s0, v9
	v_lshrrev_b32_e32 v9, 5, v5
	v_ashrrev_i32_e32 v5, 31, v4
	v_lshlrev_b32_e32 v12, 2, v8
	s_waitcnt lgkmcnt(0)
	v_cmp_gt_i32_e64 s0, s4, v7
	v_lshlrev_b64 v[2:3], 2, v[2:3]
	v_lshl_or_b32 v10, v9, 7, v6
	v_lshlrev_b64 v[5:6], 2, v[4:5]
	v_lshl_or_b32 v7, v11, 5, v12
	v_lshlrev_b32_e32 v16, 2, v0
	v_lshl_add_u32 v17, v1, 5, 0x400
	v_add_co_u32 v11, vcc_lo, s2, v2
	v_add_co_ci_u32_e64 v12, null, s1, v3, vcc_lo
	v_add_co_u32 v14, vcc_lo, s3, v5
	v_cmp_gt_i32_e64 s1, s4, v4
	v_add_nc_u32_e32 v13, 0x400, v7
	v_add_co_ci_u32_e64 v15, null, s7, v6, vcc_lo
	v_mov_b32_e32 v3, 0
	v_mov_b32_e32 v6, 0
	;; [unrolled: 1-line block ×5, first 2 shown]
	s_mov_b64 s[2:3], 0
	s_branch .LBB152_6
.LBB152_5:                              ;   in Loop: Header=BB152_6 Depth=1
	s_or_b32 exec_lo, exec_lo, s7
	s_waitcnt vmcnt(0)
	ds_write_b32 v13, v19
	s_waitcnt lgkmcnt(0)
	s_barrier
	buffer_gl0_inv
	ds_read_b128 v[18:21], v17
	ds_read2_b32 v[34:35], v16 offset1:16
	ds_read_b128 v[22:25], v17 offset:512
	ds_read2_b32 v[36:37], v16 offset0:32 offset1:48
	ds_read2_b32 v[38:39], v16 offset0:64 offset1:80
	;; [unrolled: 1-line block ×3, first 2 shown]
	ds_read_b128 v[26:29], v17 offset:16
	ds_read2_b32 v[42:43], v16 offset0:128 offset1:144
	ds_read_b128 v[30:33], v17 offset:528
	ds_read2_b32 v[44:45], v16 offset0:160 offset1:176
	s_add_u32 s2, s2, 8
	s_addc_u32 s3, s3, 0
	v_cmp_gt_i64_e64 s7, s[12:13], s[2:3]
	s_and_b32 vcc_lo, exec_lo, s7
	s_waitcnt lgkmcnt(8)
	v_fmac_f32_e32 v5, v34, v18
	v_fmac_f32_e32 v4, v35, v18
	s_waitcnt lgkmcnt(7)
	v_fmac_f32_e32 v7, v34, v22
	v_fmac_f32_e32 v6, v35, v22
	ds_read2_b32 v[34:35], v16 offset0:192 offset1:208
	s_waitcnt lgkmcnt(7)
	v_fmac_f32_e32 v5, v36, v19
	v_fmac_f32_e32 v4, v37, v19
	;; [unrolled: 1-line block ×4, first 2 shown]
	ds_read2_b32 v[18:19], v16 offset0:224 offset1:240
	s_waitcnt lgkmcnt(7)
	v_fmac_f32_e32 v5, v38, v20
	v_fmac_f32_e32 v4, v39, v20
	;; [unrolled: 1-line block ×4, first 2 shown]
	s_waitcnt lgkmcnt(0)
	v_fmac_f32_e32 v5, v40, v21
	v_fmac_f32_e32 v4, v41, v21
	;; [unrolled: 1-line block ×4, first 2 shown]
	s_barrier
	v_fmac_f32_e32 v5, v42, v26
	v_fmac_f32_e32 v4, v43, v26
	;; [unrolled: 1-line block ×4, first 2 shown]
	buffer_gl0_inv
	v_fmac_f32_e32 v5, v44, v27
	v_fmac_f32_e32 v4, v45, v27
	;; [unrolled: 1-line block ×12, first 2 shown]
	s_cbranch_vccz .LBB152_12
.LBB152_6:                              ; =>This Inner Loop Header: Depth=1
	v_mov_b32_e32 v18, 0
	s_and_saveexec_b32 s7, s0
	s_cbranch_execz .LBB152_10
; %bb.7:                                ;   in Loop: Header=BB152_6 Depth=1
	v_add_nc_u32_e32 v2, s2, v9
	v_mov_b32_e32 v18, 0
	s_mov_b32 s11, exec_lo
	v_cmpx_gt_u64_e64 s[12:13], v[2:3]
	s_cbranch_execz .LBB152_9
; %bb.8:                                ;   in Loop: Header=BB152_6 Depth=1
	v_lshlrev_b64 v[18:19], 2, v[2:3]
	v_add_co_u32 v18, vcc_lo, v11, v18
	v_add_co_ci_u32_e64 v19, null, v12, v19, vcc_lo
	global_load_dword v18, v[18:19], off
.LBB152_9:                              ;   in Loop: Header=BB152_6 Depth=1
	s_or_b32 exec_lo, exec_lo, s11
.LBB152_10:                             ;   in Loop: Header=BB152_6 Depth=1
	s_or_b32 exec_lo, exec_lo, s7
	v_add_nc_u32_e32 v2, s2, v8
	v_mov_b32_e32 v19, 0
	s_waitcnt vmcnt(0)
	ds_write_b32 v10, v18
	v_cmp_gt_u64_e32 vcc_lo, s[12:13], v[2:3]
	s_and_b32 s11, vcc_lo, s1
	s_and_saveexec_b32 s7, s11
	s_cbranch_execz .LBB152_5
; %bb.11:                               ;   in Loop: Header=BB152_6 Depth=1
	v_mad_u64_u32 v[18:19], null, s24, v2, 0
	v_mad_u64_u32 v[19:20], null, s25, v2, v[19:20]
	v_lshlrev_b64 v[18:19], 2, v[18:19]
	v_add_co_u32 v18, vcc_lo, v14, v18
	v_add_co_ci_u32_e64 v19, null, v15, v19, vcc_lo
	global_load_dword v19, v[18:19], off
	s_branch .LBB152_5
.LBB152_12:
	v_add_nc_u32_e32 v9, s6, v1
	s_mul_i32 s1, s43, s8
	s_mul_hi_u32 s2, s42, s8
	s_mul_i32 s0, s42, s8
	s_add_i32 s1, s2, s1
	v_ashrrev_i32_e32 v3, 31, v9
	v_mul_lo_u32 v8, s41, v9
	v_mad_u64_u32 v[1:2], null, s40, v9, 0
	v_add_nc_u32_e32 v0, s5, v0
	v_mul_lo_u32 v3, s40, v3
	s_lshl_b64 s[2:3], s[0:1], 2
	v_cmp_neq_f32_e64 s5, s9, 0
	s_add_u32 s2, s38, s2
	s_waitcnt lgkmcnt(0)
	v_cmp_gt_i32_e64 s0, s4, v9
	v_cmp_le_i32_e32 vcc_lo, v0, v9
	s_addc_u32 s3, s39, s3
	v_add3_u32 v2, v2, v3, v8
	v_cndmask_b32_e64 v8, 0, 1, s5
	s_and_b32 s6, s0, vcc_lo
	v_lshlrev_b64 v[2:3], 2, v[1:2]
	v_ashrrev_i32_e32 v1, 31, v0
	v_add_co_u32 v10, s1, s2, v2
	v_add_co_ci_u32_e64 v11, null, s3, v3, s1
	s_and_saveexec_b32 s1, s6
	s_cbranch_execz .LBB152_16
; %bb.13:
	v_lshlrev_b64 v[2:3], 2, v[0:1]
	v_mul_f32_e32 v5, s10, v5
	v_add_co_u32 v2, vcc_lo, v10, v2
	v_add_co_ci_u32_e64 v3, null, v11, v3, vcc_lo
	s_andn2_b32 vcc_lo, exec_lo, s5
	s_cbranch_vccnz .LBB152_15
; %bb.14:
	global_load_dword v12, v[2:3], off
	s_waitcnt vmcnt(0)
	v_fmac_f32_e32 v5, s9, v12
.LBB152_15:
	global_store_dword v[2:3], v5, off
.LBB152_16:
	s_or_b32 exec_lo, exec_lo, s1
	v_add_nc_u32_e32 v2, 16, v0
	v_cmp_le_i32_e32 vcc_lo, v2, v9
	v_ashrrev_i32_e32 v3, 31, v2
	s_and_b32 s0, s0, vcc_lo
	s_and_saveexec_b32 s1, s0
	s_cbranch_execz .LBB152_20
; %bb.17:
	v_lshlrev_b64 v[13:14], 2, v[2:3]
	v_mul_f32_e32 v12, s10, v4
	v_cmp_ne_u32_e32 vcc_lo, 1, v8
	v_add_co_u32 v4, s0, v10, v13
	v_add_co_ci_u32_e64 v5, null, v11, v14, s0
	s_cbranch_vccnz .LBB152_19
; %bb.18:
	global_load_dword v10, v[4:5], off
	s_waitcnt vmcnt(0)
	v_fmac_f32_e32 v12, s9, v10
.LBB152_19:
	global_store_dword v[4:5], v12, off
.LBB152_20:
	s_or_b32 exec_lo, exec_lo, s1
	v_add_nc_u32_e32 v9, 16, v9
	v_ashrrev_i32_e32 v10, 31, v9
	v_mul_lo_u32 v11, s41, v9
	v_mad_u64_u32 v[4:5], null, s40, v9, 0
	v_cmp_gt_i32_e64 s0, s4, v9
	v_mul_lo_u32 v10, s40, v10
	v_cmp_le_i32_e32 vcc_lo, v0, v9
	v_add3_u32 v5, v5, v10, v11
	v_lshlrev_b64 v[4:5], 2, v[4:5]
	v_add_co_u32 v4, s1, s2, v4
	v_add_co_ci_u32_e64 v5, null, s3, v5, s1
	s_and_b32 s1, s0, vcc_lo
	s_and_saveexec_b32 s2, s1
	s_cbranch_execz .LBB152_24
; %bb.21:
	v_lshlrev_b64 v[0:1], 2, v[0:1]
	v_cmp_ne_u32_e32 vcc_lo, 1, v8
	v_mul_f32_e32 v7, s10, v7
	v_add_co_u32 v0, s1, v4, v0
	v_add_co_ci_u32_e64 v1, null, v5, v1, s1
	s_cbranch_vccnz .LBB152_23
; %bb.22:
	global_load_dword v10, v[0:1], off
	s_waitcnt vmcnt(0)
	v_fmac_f32_e32 v7, s9, v10
.LBB152_23:
	global_store_dword v[0:1], v7, off
.LBB152_24:
	s_or_b32 exec_lo, exec_lo, s2
	v_cmp_le_i32_e32 vcc_lo, v2, v9
	s_and_b32 s0, s0, vcc_lo
	s_and_saveexec_b32 s1, s0
	s_cbranch_execz .LBB152_28
; %bb.25:
	v_lshlrev_b64 v[0:1], 2, v[2:3]
	v_cmp_ne_u32_e32 vcc_lo, 1, v8
	v_mul_f32_e32 v2, s10, v6
	v_add_co_u32 v0, s0, v4, v0
	v_add_co_ci_u32_e64 v1, null, v5, v1, s0
	s_cbranch_vccnz .LBB152_27
; %bb.26:
	global_load_dword v3, v[0:1], off
	s_waitcnt vmcnt(0)
	v_fmac_f32_e32 v2, s9, v3
.LBB152_27:
	global_store_dword v[0:1], v2, off
.LBB152_28:
	s_endpgm
	.section	.rodata,"a",@progbits
	.p2align	6, 0x0
	.amdhsa_kernel _ZL29rocblas_internal_gemmt_kernelIlLi16ELi32ELi8ELc67ELc67ELc85ELb0ELb0EfPKfS1_PfEviT_T9_T10_S3_lS5_S3_lS4_T11_S3_li
		.amdhsa_group_segment_fixed_size 2048
		.amdhsa_private_segment_fixed_size 0
		.amdhsa_kernarg_size 108
		.amdhsa_user_sgpr_count 6
		.amdhsa_user_sgpr_private_segment_buffer 1
		.amdhsa_user_sgpr_dispatch_ptr 0
		.amdhsa_user_sgpr_queue_ptr 0
		.amdhsa_user_sgpr_kernarg_segment_ptr 1
		.amdhsa_user_sgpr_dispatch_id 0
		.amdhsa_user_sgpr_flat_scratch_init 0
		.amdhsa_user_sgpr_private_segment_size 0
		.amdhsa_wavefront_size32 1
		.amdhsa_uses_dynamic_stack 0
		.amdhsa_system_sgpr_private_segment_wavefront_offset 0
		.amdhsa_system_sgpr_workgroup_id_x 1
		.amdhsa_system_sgpr_workgroup_id_y 1
		.amdhsa_system_sgpr_workgroup_id_z 1
		.amdhsa_system_sgpr_workgroup_info 0
		.amdhsa_system_vgpr_workitem_id 1
		.amdhsa_next_free_vgpr 46
		.amdhsa_next_free_sgpr 44
		.amdhsa_reserve_vcc 1
		.amdhsa_reserve_flat_scratch 0
		.amdhsa_float_round_mode_32 0
		.amdhsa_float_round_mode_16_64 0
		.amdhsa_float_denorm_mode_32 3
		.amdhsa_float_denorm_mode_16_64 3
		.amdhsa_dx10_clamp 1
		.amdhsa_ieee_mode 1
		.amdhsa_fp16_overflow 0
		.amdhsa_workgroup_processor_mode 1
		.amdhsa_memory_ordered 1
		.amdhsa_forward_progress 1
		.amdhsa_shared_vgpr_count 0
		.amdhsa_exception_fp_ieee_invalid_op 0
		.amdhsa_exception_fp_denorm_src 0
		.amdhsa_exception_fp_ieee_div_zero 0
		.amdhsa_exception_fp_ieee_overflow 0
		.amdhsa_exception_fp_ieee_underflow 0
		.amdhsa_exception_fp_ieee_inexact 0
		.amdhsa_exception_int_div_zero 0
	.end_amdhsa_kernel
	.section	.text._ZL29rocblas_internal_gemmt_kernelIlLi16ELi32ELi8ELc67ELc67ELc85ELb0ELb0EfPKfS1_PfEviT_T9_T10_S3_lS5_S3_lS4_T11_S3_li,"axG",@progbits,_ZL29rocblas_internal_gemmt_kernelIlLi16ELi32ELi8ELc67ELc67ELc85ELb0ELb0EfPKfS1_PfEviT_T9_T10_S3_lS5_S3_lS4_T11_S3_li,comdat
.Lfunc_end152:
	.size	_ZL29rocblas_internal_gemmt_kernelIlLi16ELi32ELi8ELc67ELc67ELc85ELb0ELb0EfPKfS1_PfEviT_T9_T10_S3_lS5_S3_lS4_T11_S3_li, .Lfunc_end152-_ZL29rocblas_internal_gemmt_kernelIlLi16ELi32ELi8ELc67ELc67ELc85ELb0ELb0EfPKfS1_PfEviT_T9_T10_S3_lS5_S3_lS4_T11_S3_li
                                        ; -- End function
	.set _ZL29rocblas_internal_gemmt_kernelIlLi16ELi32ELi8ELc67ELc67ELc85ELb0ELb0EfPKfS1_PfEviT_T9_T10_S3_lS5_S3_lS4_T11_S3_li.num_vgpr, 46
	.set _ZL29rocblas_internal_gemmt_kernelIlLi16ELi32ELi8ELc67ELc67ELc85ELb0ELb0EfPKfS1_PfEviT_T9_T10_S3_lS5_S3_lS4_T11_S3_li.num_agpr, 0
	.set _ZL29rocblas_internal_gemmt_kernelIlLi16ELi32ELi8ELc67ELc67ELc85ELb0ELb0EfPKfS1_PfEviT_T9_T10_S3_lS5_S3_lS4_T11_S3_li.numbered_sgpr, 44
	.set _ZL29rocblas_internal_gemmt_kernelIlLi16ELi32ELi8ELc67ELc67ELc85ELb0ELb0EfPKfS1_PfEviT_T9_T10_S3_lS5_S3_lS4_T11_S3_li.num_named_barrier, 0
	.set _ZL29rocblas_internal_gemmt_kernelIlLi16ELi32ELi8ELc67ELc67ELc85ELb0ELb0EfPKfS1_PfEviT_T9_T10_S3_lS5_S3_lS4_T11_S3_li.private_seg_size, 0
	.set _ZL29rocblas_internal_gemmt_kernelIlLi16ELi32ELi8ELc67ELc67ELc85ELb0ELb0EfPKfS1_PfEviT_T9_T10_S3_lS5_S3_lS4_T11_S3_li.uses_vcc, 1
	.set _ZL29rocblas_internal_gemmt_kernelIlLi16ELi32ELi8ELc67ELc67ELc85ELb0ELb0EfPKfS1_PfEviT_T9_T10_S3_lS5_S3_lS4_T11_S3_li.uses_flat_scratch, 0
	.set _ZL29rocblas_internal_gemmt_kernelIlLi16ELi32ELi8ELc67ELc67ELc85ELb0ELb0EfPKfS1_PfEviT_T9_T10_S3_lS5_S3_lS4_T11_S3_li.has_dyn_sized_stack, 0
	.set _ZL29rocblas_internal_gemmt_kernelIlLi16ELi32ELi8ELc67ELc67ELc85ELb0ELb0EfPKfS1_PfEviT_T9_T10_S3_lS5_S3_lS4_T11_S3_li.has_recursion, 0
	.set _ZL29rocblas_internal_gemmt_kernelIlLi16ELi32ELi8ELc67ELc67ELc85ELb0ELb0EfPKfS1_PfEviT_T9_T10_S3_lS5_S3_lS4_T11_S3_li.has_indirect_call, 0
	.section	.AMDGPU.csdata,"",@progbits
; Kernel info:
; codeLenInByte = 1420
; TotalNumSgprs: 46
; NumVgprs: 46
; ScratchSize: 0
; MemoryBound: 0
; FloatMode: 240
; IeeeMode: 1
; LDSByteSize: 2048 bytes/workgroup (compile time only)
; SGPRBlocks: 0
; VGPRBlocks: 5
; NumSGPRsForWavesPerEU: 46
; NumVGPRsForWavesPerEU: 46
; Occupancy: 16
; WaveLimiterHint : 0
; COMPUTE_PGM_RSRC2:SCRATCH_EN: 0
; COMPUTE_PGM_RSRC2:USER_SGPR: 6
; COMPUTE_PGM_RSRC2:TRAP_HANDLER: 0
; COMPUTE_PGM_RSRC2:TGID_X_EN: 1
; COMPUTE_PGM_RSRC2:TGID_Y_EN: 1
; COMPUTE_PGM_RSRC2:TGID_Z_EN: 1
; COMPUTE_PGM_RSRC2:TIDIG_COMP_CNT: 1
	.section	.text._ZL29rocblas_internal_gemmt_kernelIlLi16ELi32ELi8ELc78ELc78ELc76ELb0ELb0EfPKfS1_PfEviT_T9_T10_S3_lS5_S3_lS4_T11_S3_li,"axG",@progbits,_ZL29rocblas_internal_gemmt_kernelIlLi16ELi32ELi8ELc78ELc78ELc76ELb0ELb0EfPKfS1_PfEviT_T9_T10_S3_lS5_S3_lS4_T11_S3_li,comdat
	.globl	_ZL29rocblas_internal_gemmt_kernelIlLi16ELi32ELi8ELc78ELc78ELc76ELb0ELb0EfPKfS1_PfEviT_T9_T10_S3_lS5_S3_lS4_T11_S3_li ; -- Begin function _ZL29rocblas_internal_gemmt_kernelIlLi16ELi32ELi8ELc78ELc78ELc76ELb0ELb0EfPKfS1_PfEviT_T9_T10_S3_lS5_S3_lS4_T11_S3_li
	.p2align	8
	.type	_ZL29rocblas_internal_gemmt_kernelIlLi16ELi32ELi8ELc78ELc78ELc76ELb0ELb0EfPKfS1_PfEviT_T9_T10_S3_lS5_S3_lS4_T11_S3_li,@function
_ZL29rocblas_internal_gemmt_kernelIlLi16ELi32ELi8ELc78ELc78ELc76ELb0ELb0EfPKfS1_PfEviT_T9_T10_S3_lS5_S3_lS4_T11_S3_li: ; @_ZL29rocblas_internal_gemmt_kernelIlLi16ELi32ELi8ELc78ELc78ELc76ELb0ELb0EfPKfS1_PfEviT_T9_T10_S3_lS5_S3_lS4_T11_S3_li
; %bb.0:
	s_clause 0x1
	s_load_dwordx8 s[36:43], s[4:5], 0x48
	s_load_dwordx16 s[12:27], s[4:5], 0x8
	s_waitcnt lgkmcnt(0)
	s_load_dword s9, s[36:37], 0x0
	s_load_dword s10, s[14:15], 0x0
	s_waitcnt lgkmcnt(0)
	v_cmp_neq_f32_e64 s0, s9, 1.0
	s_and_b32 vcc_lo, exec_lo, s0
	s_cbranch_vccnz .LBB153_2
; %bb.1:
	v_cmp_neq_f32_e64 s0, s10, 0
	s_cmp_lg_u64 s[12:13], 0
	s_cselect_b32 s1, -1, 0
	s_and_b32 s0, s1, s0
.LBB153_2:
	s_andn2_b32 vcc_lo, exec_lo, s0
	s_cbranch_vccnz .LBB153_28
; %bb.3:
	s_load_dword s4, s[4:5], 0x0
	v_cmp_lt_i64_e64 s0, s[12:13], 1
	v_cmp_eq_f32_e64 s1, s10, 0
	v_mov_b32_e32 v8, 0
	v_mov_b32_e32 v4, 0
	;; [unrolled: 1-line block ×4, first 2 shown]
	s_or_b32 s0, s1, s0
	s_lshl_b32 s5, s6, 5
	s_and_b32 vcc_lo, exec_lo, s0
	s_lshl_b32 s6, s7, 5
	s_cbranch_vccnz .LBB153_12
; %bb.4:
	v_lshl_add_u32 v3, v1, 4, v0
	s_mul_i32 s1, s27, s8
	s_mul_hi_u32 s2, s26, s8
	v_and_b32_e32 v5, 7, v0
	s_mul_i32 s0, s26, s8
	v_lshrrev_b32_e32 v8, 3, v3
	v_and_b32_e32 v4, 31, v3
	s_add_i32 s1, s2, s1
	v_lshrrev_b32_e32 v9, 5, v3
	s_lshl_b64 s[0:1], s[0:1], 2
	v_add_nc_u32_e32 v13, s6, v8
	v_or_b32_e32 v2, s5, v4
	s_mul_i32 s3, s21, s8
	s_mul_hi_u32 s7, s20, s8
	s_add_u32 s11, s22, s0
	v_ashrrev_i32_e32 v6, 31, v13
	v_mul_lo_u32 v10, s25, v13
	v_ashrrev_i32_e32 v3, 31, v2
	s_mul_i32 s2, s20, s8
	s_addc_u32 s14, s23, s1
	v_mul_lo_u32 v11, s24, v6
	v_mad_u64_u32 v[6:7], null, s24, v13, 0
	s_add_i32 s3, s7, s3
	v_lshlrev_b32_e32 v12, 2, v4
	v_lshlrev_b32_e32 v14, 2, v5
	v_lshlrev_b64 v[3:4], 2, v[2:3]
	s_lshl_b64 s[0:1], s[2:3], 2
	v_lshlrev_b32_e32 v16, 2, v0
	v_add3_u32 v7, v7, v11, v10
	s_add_u32 s2, s16, s0
	s_waitcnt lgkmcnt(0)
	v_cmp_gt_i32_e64 s0, s4, v2
	v_lshl_or_b32 v2, v8, 5, v14
	s_addc_u32 s1, s17, s1
	v_lshlrev_b64 v[6:7], 2, v[6:7]
	v_add_co_u32 v11, vcc_lo, s2, v3
	v_lshl_or_b32 v10, v9, 7, v12
	v_add_co_ci_u32_e64 v12, null, s1, v4, vcc_lo
	v_add_co_u32 v14, vcc_lo, s11, v6
	v_cmp_gt_i32_e64 s1, s4, v13
	v_add_nc_u32_e32 v13, 0x400, v2
	v_add_co_ci_u32_e64 v15, null, s14, v7, vcc_lo
	v_lshl_add_u32 v17, v1, 5, 0x400
	v_mov_b32_e32 v3, 0
	v_mov_b32_e32 v6, 0
	;; [unrolled: 1-line block ×5, first 2 shown]
	s_mov_b64 s[2:3], 0
	s_branch .LBB153_6
.LBB153_5:                              ;   in Loop: Header=BB153_6 Depth=1
	s_or_b32 exec_lo, exec_lo, s7
	s_waitcnt vmcnt(0)
	ds_write_b32 v13, v19
	s_waitcnt lgkmcnt(0)
	s_barrier
	buffer_gl0_inv
	ds_read_b128 v[18:21], v17
	ds_read2_b32 v[34:35], v16 offset1:16
	ds_read_b128 v[22:25], v17 offset:512
	ds_read2_b32 v[36:37], v16 offset0:32 offset1:48
	ds_read2_b32 v[38:39], v16 offset0:64 offset1:80
	;; [unrolled: 1-line block ×3, first 2 shown]
	ds_read_b128 v[26:29], v17 offset:16
	ds_read2_b32 v[42:43], v16 offset0:128 offset1:144
	ds_read_b128 v[30:33], v17 offset:528
	ds_read2_b32 v[44:45], v16 offset0:160 offset1:176
	s_add_u32 s2, s2, 8
	s_addc_u32 s3, s3, 0
	v_cmp_gt_i64_e64 s7, s[12:13], s[2:3]
	s_and_b32 vcc_lo, exec_lo, s7
	s_waitcnt lgkmcnt(8)
	v_fmac_f32_e32 v8, v34, v18
	v_fmac_f32_e32 v4, v35, v18
	s_waitcnt lgkmcnt(7)
	v_fmac_f32_e32 v7, v34, v22
	v_fmac_f32_e32 v6, v35, v22
	ds_read2_b32 v[34:35], v16 offset0:192 offset1:208
	s_waitcnt lgkmcnt(7)
	v_fmac_f32_e32 v8, v36, v19
	v_fmac_f32_e32 v4, v37, v19
	;; [unrolled: 1-line block ×4, first 2 shown]
	ds_read2_b32 v[18:19], v16 offset0:224 offset1:240
	s_waitcnt lgkmcnt(7)
	v_fmac_f32_e32 v8, v38, v20
	v_fmac_f32_e32 v4, v39, v20
	;; [unrolled: 1-line block ×4, first 2 shown]
	s_waitcnt lgkmcnt(0)
	v_fmac_f32_e32 v8, v40, v21
	v_fmac_f32_e32 v4, v41, v21
	;; [unrolled: 1-line block ×4, first 2 shown]
	s_barrier
	v_fmac_f32_e32 v8, v42, v26
	v_fmac_f32_e32 v4, v43, v26
	;; [unrolled: 1-line block ×4, first 2 shown]
	buffer_gl0_inv
	v_fmac_f32_e32 v8, v44, v27
	v_fmac_f32_e32 v4, v45, v27
	;; [unrolled: 1-line block ×12, first 2 shown]
	s_cbranch_vccz .LBB153_12
.LBB153_6:                              ; =>This Inner Loop Header: Depth=1
	v_mov_b32_e32 v18, 0
	s_and_saveexec_b32 s7, s0
	s_cbranch_execz .LBB153_10
; %bb.7:                                ;   in Loop: Header=BB153_6 Depth=1
	v_add_nc_u32_e32 v2, s2, v9
	v_mov_b32_e32 v18, 0
	s_mov_b32 s11, exec_lo
	v_cmpx_gt_u64_e64 s[12:13], v[2:3]
	s_cbranch_execz .LBB153_9
; %bb.8:                                ;   in Loop: Header=BB153_6 Depth=1
	v_mad_u64_u32 v[18:19], null, s18, v2, 0
	v_mad_u64_u32 v[19:20], null, s19, v2, v[19:20]
	v_lshlrev_b64 v[18:19], 2, v[18:19]
	v_add_co_u32 v18, vcc_lo, v11, v18
	v_add_co_ci_u32_e64 v19, null, v12, v19, vcc_lo
	global_load_dword v18, v[18:19], off
.LBB153_9:                              ;   in Loop: Header=BB153_6 Depth=1
	s_or_b32 exec_lo, exec_lo, s11
.LBB153_10:                             ;   in Loop: Header=BB153_6 Depth=1
	s_or_b32 exec_lo, exec_lo, s7
	v_add_nc_u32_e32 v2, s2, v5
	v_mov_b32_e32 v19, 0
	s_waitcnt vmcnt(0)
	ds_write_b32 v10, v18
	v_cmp_gt_u64_e32 vcc_lo, s[12:13], v[2:3]
	s_and_b32 s11, vcc_lo, s1
	s_and_saveexec_b32 s7, s11
	s_cbranch_execz .LBB153_5
; %bb.11:                               ;   in Loop: Header=BB153_6 Depth=1
	v_lshlrev_b64 v[18:19], 2, v[2:3]
	v_add_co_u32 v18, vcc_lo, v14, v18
	v_add_co_ci_u32_e64 v19, null, v15, v19, vcc_lo
	global_load_dword v19, v[18:19], off
	s_branch .LBB153_5
.LBB153_12:
	v_add_nc_u32_e32 v10, s6, v1
	s_mul_i32 s1, s43, s8
	s_mul_hi_u32 s2, s42, s8
	s_mul_i32 s0, s42, s8
	s_add_i32 s1, s2, s1
	v_ashrrev_i32_e32 v3, 31, v10
	v_mul_lo_u32 v5, s41, v10
	v_mad_u64_u32 v[1:2], null, s40, v10, 0
	v_add_nc_u32_e32 v0, s5, v0
	v_mul_lo_u32 v3, s40, v3
	s_lshl_b64 s[6:7], s[0:1], 2
	v_cmp_neq_f32_e64 s2, s9, 0
	s_add_u32 s3, s38, s6
	v_cmp_le_i32_e32 vcc_lo, v10, v0
	s_waitcnt lgkmcnt(0)
	v_cmp_gt_i32_e64 s0, s4, v0
	s_addc_u32 s5, s39, s7
	v_cndmask_b32_e64 v9, 0, 1, s2
	v_add3_u32 v2, v2, v3, v5
	s_and_b32 s6, vcc_lo, s0
	v_lshlrev_b64 v[2:3], 2, v[1:2]
	v_ashrrev_i32_e32 v1, 31, v0
	v_add_co_u32 v5, s1, s3, v2
	v_add_co_ci_u32_e64 v11, null, s5, v3, s1
	s_and_saveexec_b32 s1, s6
	s_cbranch_execz .LBB153_16
; %bb.13:
	v_lshlrev_b64 v[2:3], 2, v[0:1]
	v_mul_f32_e32 v8, s10, v8
	v_add_co_u32 v2, vcc_lo, v5, v2
	v_add_co_ci_u32_e64 v3, null, v11, v3, vcc_lo
	s_andn2_b32 vcc_lo, exec_lo, s2
	s_cbranch_vccnz .LBB153_15
; %bb.14:
	global_load_dword v12, v[2:3], off
	s_waitcnt vmcnt(0)
	v_fmac_f32_e32 v8, s9, v12
.LBB153_15:
	global_store_dword v[2:3], v8, off
.LBB153_16:
	s_or_b32 exec_lo, exec_lo, s1
	v_add_nc_u32_e32 v2, 16, v0
	v_cmp_le_i32_e32 vcc_lo, v10, v2
	v_cmp_gt_i32_e64 s1, s4, v2
	v_ashrrev_i32_e32 v3, 31, v2
	s_and_b32 s2, vcc_lo, s1
	s_and_saveexec_b32 s4, s2
	s_cbranch_execz .LBB153_20
; %bb.17:
	v_lshlrev_b64 v[12:13], 2, v[2:3]
	v_mul_f32_e32 v8, s10, v4
	v_cmp_ne_u32_e32 vcc_lo, 1, v9
	v_add_co_u32 v4, s2, v5, v12
	v_add_co_ci_u32_e64 v5, null, v11, v13, s2
	s_cbranch_vccnz .LBB153_19
; %bb.18:
	global_load_dword v11, v[4:5], off
	s_waitcnt vmcnt(0)
	v_fmac_f32_e32 v8, s9, v11
.LBB153_19:
	global_store_dword v[4:5], v8, off
.LBB153_20:
	s_or_b32 exec_lo, exec_lo, s4
	v_add_nc_u32_e32 v8, 16, v10
	v_ashrrev_i32_e32 v10, 31, v8
	v_mul_lo_u32 v11, s41, v8
	v_mad_u64_u32 v[4:5], null, s40, v8, 0
	v_cmp_le_i32_e32 vcc_lo, v8, v0
	v_mul_lo_u32 v10, s40, v10
	s_and_b32 s0, vcc_lo, s0
	v_add3_u32 v5, v5, v10, v11
	v_lshlrev_b64 v[4:5], 2, v[4:5]
	v_add_co_u32 v4, s2, s3, v4
	v_add_co_ci_u32_e64 v5, null, s5, v5, s2
	s_and_saveexec_b32 s2, s0
	s_cbranch_execz .LBB153_24
; %bb.21:
	v_lshlrev_b64 v[0:1], 2, v[0:1]
	v_cmp_ne_u32_e32 vcc_lo, 1, v9
	v_mul_f32_e32 v7, s10, v7
	v_add_co_u32 v0, s0, v4, v0
	v_add_co_ci_u32_e64 v1, null, v5, v1, s0
	s_cbranch_vccnz .LBB153_23
; %bb.22:
	global_load_dword v10, v[0:1], off
	s_waitcnt vmcnt(0)
	v_fmac_f32_e32 v7, s9, v10
.LBB153_23:
	global_store_dword v[0:1], v7, off
.LBB153_24:
	s_or_b32 exec_lo, exec_lo, s2
	v_cmp_le_i32_e32 vcc_lo, v8, v2
	s_and_b32 s0, vcc_lo, s1
	s_and_saveexec_b32 s1, s0
	s_cbranch_execz .LBB153_28
; %bb.25:
	v_lshlrev_b64 v[0:1], 2, v[2:3]
	v_cmp_ne_u32_e32 vcc_lo, 1, v9
	v_mul_f32_e32 v2, s10, v6
	v_add_co_u32 v0, s0, v4, v0
	v_add_co_ci_u32_e64 v1, null, v5, v1, s0
	s_cbranch_vccnz .LBB153_27
; %bb.26:
	global_load_dword v3, v[0:1], off
	s_waitcnt vmcnt(0)
	v_fmac_f32_e32 v2, s9, v3
.LBB153_27:
	global_store_dword v[0:1], v2, off
.LBB153_28:
	s_endpgm
	.section	.rodata,"a",@progbits
	.p2align	6, 0x0
	.amdhsa_kernel _ZL29rocblas_internal_gemmt_kernelIlLi16ELi32ELi8ELc78ELc78ELc76ELb0ELb0EfPKfS1_PfEviT_T9_T10_S3_lS5_S3_lS4_T11_S3_li
		.amdhsa_group_segment_fixed_size 2048
		.amdhsa_private_segment_fixed_size 0
		.amdhsa_kernarg_size 108
		.amdhsa_user_sgpr_count 6
		.amdhsa_user_sgpr_private_segment_buffer 1
		.amdhsa_user_sgpr_dispatch_ptr 0
		.amdhsa_user_sgpr_queue_ptr 0
		.amdhsa_user_sgpr_kernarg_segment_ptr 1
		.amdhsa_user_sgpr_dispatch_id 0
		.amdhsa_user_sgpr_flat_scratch_init 0
		.amdhsa_user_sgpr_private_segment_size 0
		.amdhsa_wavefront_size32 1
		.amdhsa_uses_dynamic_stack 0
		.amdhsa_system_sgpr_private_segment_wavefront_offset 0
		.amdhsa_system_sgpr_workgroup_id_x 1
		.amdhsa_system_sgpr_workgroup_id_y 1
		.amdhsa_system_sgpr_workgroup_id_z 1
		.amdhsa_system_sgpr_workgroup_info 0
		.amdhsa_system_vgpr_workitem_id 1
		.amdhsa_next_free_vgpr 46
		.amdhsa_next_free_sgpr 44
		.amdhsa_reserve_vcc 1
		.amdhsa_reserve_flat_scratch 0
		.amdhsa_float_round_mode_32 0
		.amdhsa_float_round_mode_16_64 0
		.amdhsa_float_denorm_mode_32 3
		.amdhsa_float_denorm_mode_16_64 3
		.amdhsa_dx10_clamp 1
		.amdhsa_ieee_mode 1
		.amdhsa_fp16_overflow 0
		.amdhsa_workgroup_processor_mode 1
		.amdhsa_memory_ordered 1
		.amdhsa_forward_progress 1
		.amdhsa_shared_vgpr_count 0
		.amdhsa_exception_fp_ieee_invalid_op 0
		.amdhsa_exception_fp_denorm_src 0
		.amdhsa_exception_fp_ieee_div_zero 0
		.amdhsa_exception_fp_ieee_overflow 0
		.amdhsa_exception_fp_ieee_underflow 0
		.amdhsa_exception_fp_ieee_inexact 0
		.amdhsa_exception_int_div_zero 0
	.end_amdhsa_kernel
	.section	.text._ZL29rocblas_internal_gemmt_kernelIlLi16ELi32ELi8ELc78ELc78ELc76ELb0ELb0EfPKfS1_PfEviT_T9_T10_S3_lS5_S3_lS4_T11_S3_li,"axG",@progbits,_ZL29rocblas_internal_gemmt_kernelIlLi16ELi32ELi8ELc78ELc78ELc76ELb0ELb0EfPKfS1_PfEviT_T9_T10_S3_lS5_S3_lS4_T11_S3_li,comdat
.Lfunc_end153:
	.size	_ZL29rocblas_internal_gemmt_kernelIlLi16ELi32ELi8ELc78ELc78ELc76ELb0ELb0EfPKfS1_PfEviT_T9_T10_S3_lS5_S3_lS4_T11_S3_li, .Lfunc_end153-_ZL29rocblas_internal_gemmt_kernelIlLi16ELi32ELi8ELc78ELc78ELc76ELb0ELb0EfPKfS1_PfEviT_T9_T10_S3_lS5_S3_lS4_T11_S3_li
                                        ; -- End function
	.set _ZL29rocblas_internal_gemmt_kernelIlLi16ELi32ELi8ELc78ELc78ELc76ELb0ELb0EfPKfS1_PfEviT_T9_T10_S3_lS5_S3_lS4_T11_S3_li.num_vgpr, 46
	.set _ZL29rocblas_internal_gemmt_kernelIlLi16ELi32ELi8ELc78ELc78ELc76ELb0ELb0EfPKfS1_PfEviT_T9_T10_S3_lS5_S3_lS4_T11_S3_li.num_agpr, 0
	.set _ZL29rocblas_internal_gemmt_kernelIlLi16ELi32ELi8ELc78ELc78ELc76ELb0ELb0EfPKfS1_PfEviT_T9_T10_S3_lS5_S3_lS4_T11_S3_li.numbered_sgpr, 44
	.set _ZL29rocblas_internal_gemmt_kernelIlLi16ELi32ELi8ELc78ELc78ELc76ELb0ELb0EfPKfS1_PfEviT_T9_T10_S3_lS5_S3_lS4_T11_S3_li.num_named_barrier, 0
	.set _ZL29rocblas_internal_gemmt_kernelIlLi16ELi32ELi8ELc78ELc78ELc76ELb0ELb0EfPKfS1_PfEviT_T9_T10_S3_lS5_S3_lS4_T11_S3_li.private_seg_size, 0
	.set _ZL29rocblas_internal_gemmt_kernelIlLi16ELi32ELi8ELc78ELc78ELc76ELb0ELb0EfPKfS1_PfEviT_T9_T10_S3_lS5_S3_lS4_T11_S3_li.uses_vcc, 1
	.set _ZL29rocblas_internal_gemmt_kernelIlLi16ELi32ELi8ELc78ELc78ELc76ELb0ELb0EfPKfS1_PfEviT_T9_T10_S3_lS5_S3_lS4_T11_S3_li.uses_flat_scratch, 0
	.set _ZL29rocblas_internal_gemmt_kernelIlLi16ELi32ELi8ELc78ELc78ELc76ELb0ELb0EfPKfS1_PfEviT_T9_T10_S3_lS5_S3_lS4_T11_S3_li.has_dyn_sized_stack, 0
	.set _ZL29rocblas_internal_gemmt_kernelIlLi16ELi32ELi8ELc78ELc78ELc76ELb0ELb0EfPKfS1_PfEviT_T9_T10_S3_lS5_S3_lS4_T11_S3_li.has_recursion, 0
	.set _ZL29rocblas_internal_gemmt_kernelIlLi16ELi32ELi8ELc78ELc78ELc76ELb0ELb0EfPKfS1_PfEviT_T9_T10_S3_lS5_S3_lS4_T11_S3_li.has_indirect_call, 0
	.section	.AMDGPU.csdata,"",@progbits
; Kernel info:
; codeLenInByte = 1424
; TotalNumSgprs: 46
; NumVgprs: 46
; ScratchSize: 0
; MemoryBound: 0
; FloatMode: 240
; IeeeMode: 1
; LDSByteSize: 2048 bytes/workgroup (compile time only)
; SGPRBlocks: 0
; VGPRBlocks: 5
; NumSGPRsForWavesPerEU: 46
; NumVGPRsForWavesPerEU: 46
; Occupancy: 16
; WaveLimiterHint : 0
; COMPUTE_PGM_RSRC2:SCRATCH_EN: 0
; COMPUTE_PGM_RSRC2:USER_SGPR: 6
; COMPUTE_PGM_RSRC2:TRAP_HANDLER: 0
; COMPUTE_PGM_RSRC2:TGID_X_EN: 1
; COMPUTE_PGM_RSRC2:TGID_Y_EN: 1
; COMPUTE_PGM_RSRC2:TGID_Z_EN: 1
; COMPUTE_PGM_RSRC2:TIDIG_COMP_CNT: 1
	.section	.text._ZL29rocblas_internal_gemmt_kernelIlLi16ELi32ELi8ELc78ELc84ELc76ELb0ELb0EfPKfS1_PfEviT_T9_T10_S3_lS5_S3_lS4_T11_S3_li,"axG",@progbits,_ZL29rocblas_internal_gemmt_kernelIlLi16ELi32ELi8ELc78ELc84ELc76ELb0ELb0EfPKfS1_PfEviT_T9_T10_S3_lS5_S3_lS4_T11_S3_li,comdat
	.globl	_ZL29rocblas_internal_gemmt_kernelIlLi16ELi32ELi8ELc78ELc84ELc76ELb0ELb0EfPKfS1_PfEviT_T9_T10_S3_lS5_S3_lS4_T11_S3_li ; -- Begin function _ZL29rocblas_internal_gemmt_kernelIlLi16ELi32ELi8ELc78ELc84ELc76ELb0ELb0EfPKfS1_PfEviT_T9_T10_S3_lS5_S3_lS4_T11_S3_li
	.p2align	8
	.type	_ZL29rocblas_internal_gemmt_kernelIlLi16ELi32ELi8ELc78ELc84ELc76ELb0ELb0EfPKfS1_PfEviT_T9_T10_S3_lS5_S3_lS4_T11_S3_li,@function
_ZL29rocblas_internal_gemmt_kernelIlLi16ELi32ELi8ELc78ELc84ELc76ELb0ELb0EfPKfS1_PfEviT_T9_T10_S3_lS5_S3_lS4_T11_S3_li: ; @_ZL29rocblas_internal_gemmt_kernelIlLi16ELi32ELi8ELc78ELc84ELc76ELb0ELb0EfPKfS1_PfEviT_T9_T10_S3_lS5_S3_lS4_T11_S3_li
; %bb.0:
	s_clause 0x1
	s_load_dwordx8 s[36:43], s[4:5], 0x48
	s_load_dwordx16 s[12:27], s[4:5], 0x8
	s_waitcnt lgkmcnt(0)
	s_load_dword s9, s[36:37], 0x0
	s_load_dword s10, s[14:15], 0x0
	s_waitcnt lgkmcnt(0)
	v_cmp_neq_f32_e64 s0, s9, 1.0
	s_and_b32 vcc_lo, exec_lo, s0
	s_cbranch_vccnz .LBB154_2
; %bb.1:
	v_cmp_neq_f32_e64 s0, s10, 0
	s_cmp_lg_u64 s[12:13], 0
	s_cselect_b32 s1, -1, 0
	s_and_b32 s0, s1, s0
.LBB154_2:
	s_andn2_b32 vcc_lo, exec_lo, s0
	s_cbranch_vccnz .LBB154_28
; %bb.3:
	s_load_dword s4, s[4:5], 0x0
	v_cmp_lt_i64_e64 s0, s[12:13], 1
	v_cmp_eq_f32_e64 s1, s10, 0
	v_mov_b32_e32 v5, 0
	v_mov_b32_e32 v4, 0
	;; [unrolled: 1-line block ×4, first 2 shown]
	s_or_b32 s0, s1, s0
	s_lshl_b32 s5, s6, 5
	s_and_b32 vcc_lo, exec_lo, s0
	s_lshl_b32 s6, s7, 5
	s_cbranch_vccnz .LBB154_12
; %bb.4:
	v_lshl_add_u32 v3, v1, 4, v0
	s_mul_i32 s1, s27, s8
	s_mul_hi_u32 s2, s26, s8
	s_mul_i32 s0, s26, s8
	s_add_i32 s1, s2, s1
	v_and_b32_e32 v5, 31, v3
	v_lshrrev_b32_e32 v11, 3, v3
	s_lshl_b64 s[0:1], s[0:1], 2
	v_and_b32_e32 v8, 7, v0
	v_lshrrev_b32_e32 v9, 5, v3
	v_or_b32_e32 v2, s5, v5
	v_add_nc_u32_e32 v4, s6, v11
	s_add_u32 s2, s22, s0
	s_mul_i32 s0, s21, s8
	s_mul_hi_u32 s3, s20, s8
	v_ashrrev_i32_e32 v3, 31, v2
	v_lshlrev_b32_e32 v10, 2, v5
	v_ashrrev_i32_e32 v5, 31, v4
	s_addc_u32 s7, s23, s1
	s_add_i32 s1, s3, s0
	s_mul_i32 s0, s20, s8
	v_lshlrev_b32_e32 v12, 2, v8
	s_lshl_b64 s[0:1], s[0:1], 2
	v_lshlrev_b64 v[6:7], 2, v[2:3]
	s_add_u32 s3, s16, s0
	s_waitcnt lgkmcnt(0)
	v_cmp_gt_i32_e64 s0, s4, v2
	v_lshlrev_b64 v[2:3], 2, v[4:5]
	v_lshl_or_b32 v13, v11, 5, v12
	s_addc_u32 s1, s17, s1
	v_add_co_u32 v11, vcc_lo, s3, v6
	v_add_co_ci_u32_e64 v12, null, s1, v7, vcc_lo
	v_add_co_u32 v14, vcc_lo, s2, v2
	v_lshl_or_b32 v10, v9, 7, v10
	v_cmp_gt_i32_e64 s1, s4, v4
	v_add_nc_u32_e32 v13, 0x400, v13
	v_add_co_ci_u32_e64 v15, null, s7, v3, vcc_lo
	v_lshlrev_b32_e32 v16, 2, v0
	v_lshl_add_u32 v17, v1, 5, 0x400
	v_mov_b32_e32 v3, 0
	v_mov_b32_e32 v6, 0
	;; [unrolled: 1-line block ×5, first 2 shown]
	s_mov_b64 s[2:3], 0
	s_branch .LBB154_6
.LBB154_5:                              ;   in Loop: Header=BB154_6 Depth=1
	s_or_b32 exec_lo, exec_lo, s7
	s_waitcnt vmcnt(0)
	ds_write_b32 v13, v19
	s_waitcnt lgkmcnt(0)
	s_barrier
	buffer_gl0_inv
	ds_read_b128 v[18:21], v17
	ds_read2_b32 v[34:35], v16 offset1:16
	ds_read_b128 v[22:25], v17 offset:512
	ds_read2_b32 v[36:37], v16 offset0:32 offset1:48
	ds_read2_b32 v[38:39], v16 offset0:64 offset1:80
	;; [unrolled: 1-line block ×3, first 2 shown]
	ds_read_b128 v[26:29], v17 offset:16
	ds_read2_b32 v[42:43], v16 offset0:128 offset1:144
	ds_read_b128 v[30:33], v17 offset:528
	ds_read2_b32 v[44:45], v16 offset0:160 offset1:176
	s_add_u32 s2, s2, 8
	s_addc_u32 s3, s3, 0
	v_cmp_gt_i64_e64 s7, s[12:13], s[2:3]
	s_and_b32 vcc_lo, exec_lo, s7
	s_waitcnt lgkmcnt(8)
	v_fmac_f32_e32 v5, v34, v18
	v_fmac_f32_e32 v4, v35, v18
	s_waitcnt lgkmcnt(7)
	v_fmac_f32_e32 v7, v34, v22
	v_fmac_f32_e32 v6, v35, v22
	ds_read2_b32 v[34:35], v16 offset0:192 offset1:208
	s_waitcnt lgkmcnt(7)
	v_fmac_f32_e32 v5, v36, v19
	v_fmac_f32_e32 v4, v37, v19
	;; [unrolled: 1-line block ×4, first 2 shown]
	ds_read2_b32 v[18:19], v16 offset0:224 offset1:240
	s_waitcnt lgkmcnt(7)
	v_fmac_f32_e32 v5, v38, v20
	v_fmac_f32_e32 v4, v39, v20
	;; [unrolled: 1-line block ×4, first 2 shown]
	s_waitcnt lgkmcnt(0)
	v_fmac_f32_e32 v5, v40, v21
	v_fmac_f32_e32 v4, v41, v21
	;; [unrolled: 1-line block ×4, first 2 shown]
	s_barrier
	v_fmac_f32_e32 v5, v42, v26
	v_fmac_f32_e32 v4, v43, v26
	;; [unrolled: 1-line block ×4, first 2 shown]
	buffer_gl0_inv
	v_fmac_f32_e32 v5, v44, v27
	v_fmac_f32_e32 v4, v45, v27
	;; [unrolled: 1-line block ×12, first 2 shown]
	s_cbranch_vccz .LBB154_12
.LBB154_6:                              ; =>This Inner Loop Header: Depth=1
	v_mov_b32_e32 v18, 0
	s_and_saveexec_b32 s7, s0
	s_cbranch_execz .LBB154_10
; %bb.7:                                ;   in Loop: Header=BB154_6 Depth=1
	v_add_nc_u32_e32 v2, s2, v9
	v_mov_b32_e32 v18, 0
	s_mov_b32 s11, exec_lo
	v_cmpx_gt_u64_e64 s[12:13], v[2:3]
	s_cbranch_execz .LBB154_9
; %bb.8:                                ;   in Loop: Header=BB154_6 Depth=1
	v_mad_u64_u32 v[18:19], null, s18, v2, 0
	v_mad_u64_u32 v[19:20], null, s19, v2, v[19:20]
	v_lshlrev_b64 v[18:19], 2, v[18:19]
	v_add_co_u32 v18, vcc_lo, v11, v18
	v_add_co_ci_u32_e64 v19, null, v12, v19, vcc_lo
	global_load_dword v18, v[18:19], off
.LBB154_9:                              ;   in Loop: Header=BB154_6 Depth=1
	s_or_b32 exec_lo, exec_lo, s11
.LBB154_10:                             ;   in Loop: Header=BB154_6 Depth=1
	s_or_b32 exec_lo, exec_lo, s7
	v_add_nc_u32_e32 v2, s2, v8
	v_mov_b32_e32 v19, 0
	s_waitcnt vmcnt(0)
	ds_write_b32 v10, v18
	v_cmp_gt_u64_e32 vcc_lo, s[12:13], v[2:3]
	s_and_b32 s11, vcc_lo, s1
	s_and_saveexec_b32 s7, s11
	s_cbranch_execz .LBB154_5
; %bb.11:                               ;   in Loop: Header=BB154_6 Depth=1
	v_mad_u64_u32 v[18:19], null, s24, v2, 0
	v_mad_u64_u32 v[19:20], null, s25, v2, v[19:20]
	v_lshlrev_b64 v[18:19], 2, v[18:19]
	v_add_co_u32 v18, vcc_lo, v14, v18
	v_add_co_ci_u32_e64 v19, null, v15, v19, vcc_lo
	global_load_dword v19, v[18:19], off
	s_branch .LBB154_5
.LBB154_12:
	v_add_nc_u32_e32 v9, s6, v1
	s_mul_i32 s1, s43, s8
	s_mul_hi_u32 s2, s42, s8
	s_mul_i32 s0, s42, s8
	s_add_i32 s1, s2, s1
	v_ashrrev_i32_e32 v3, 31, v9
	v_mul_lo_u32 v8, s41, v9
	v_mad_u64_u32 v[1:2], null, s40, v9, 0
	v_add_nc_u32_e32 v0, s5, v0
	v_mul_lo_u32 v3, s40, v3
	s_lshl_b64 s[6:7], s[0:1], 2
	v_cmp_neq_f32_e64 s2, s9, 0
	s_add_u32 s3, s38, s6
	v_cmp_le_i32_e32 vcc_lo, v9, v0
	s_waitcnt lgkmcnt(0)
	v_cmp_gt_i32_e64 s0, s4, v0
	s_addc_u32 s5, s39, s7
	v_add3_u32 v2, v2, v3, v8
	v_cndmask_b32_e64 v8, 0, 1, s2
	s_and_b32 s6, vcc_lo, s0
	v_lshlrev_b64 v[2:3], 2, v[1:2]
	v_ashrrev_i32_e32 v1, 31, v0
	v_add_co_u32 v10, s1, s3, v2
	v_add_co_ci_u32_e64 v11, null, s5, v3, s1
	s_and_saveexec_b32 s1, s6
	s_cbranch_execz .LBB154_16
; %bb.13:
	v_lshlrev_b64 v[2:3], 2, v[0:1]
	v_mul_f32_e32 v5, s10, v5
	v_add_co_u32 v2, vcc_lo, v10, v2
	v_add_co_ci_u32_e64 v3, null, v11, v3, vcc_lo
	s_andn2_b32 vcc_lo, exec_lo, s2
	s_cbranch_vccnz .LBB154_15
; %bb.14:
	global_load_dword v12, v[2:3], off
	s_waitcnt vmcnt(0)
	v_fmac_f32_e32 v5, s9, v12
.LBB154_15:
	global_store_dword v[2:3], v5, off
.LBB154_16:
	s_or_b32 exec_lo, exec_lo, s1
	v_add_nc_u32_e32 v2, 16, v0
	v_cmp_le_i32_e32 vcc_lo, v9, v2
	v_cmp_gt_i32_e64 s1, s4, v2
	v_ashrrev_i32_e32 v3, 31, v2
	s_and_b32 s2, vcc_lo, s1
	s_and_saveexec_b32 s4, s2
	s_cbranch_execz .LBB154_20
; %bb.17:
	v_lshlrev_b64 v[13:14], 2, v[2:3]
	v_mul_f32_e32 v12, s10, v4
	v_cmp_ne_u32_e32 vcc_lo, 1, v8
	v_add_co_u32 v4, s2, v10, v13
	v_add_co_ci_u32_e64 v5, null, v11, v14, s2
	s_cbranch_vccnz .LBB154_19
; %bb.18:
	global_load_dword v10, v[4:5], off
	s_waitcnt vmcnt(0)
	v_fmac_f32_e32 v12, s9, v10
.LBB154_19:
	global_store_dword v[4:5], v12, off
.LBB154_20:
	s_or_b32 exec_lo, exec_lo, s4
	v_add_nc_u32_e32 v9, 16, v9
	v_ashrrev_i32_e32 v10, 31, v9
	v_mul_lo_u32 v11, s41, v9
	v_mad_u64_u32 v[4:5], null, s40, v9, 0
	v_cmp_le_i32_e32 vcc_lo, v9, v0
	v_mul_lo_u32 v10, s40, v10
	s_and_b32 s0, vcc_lo, s0
	v_add3_u32 v5, v5, v10, v11
	v_lshlrev_b64 v[4:5], 2, v[4:5]
	v_add_co_u32 v4, s2, s3, v4
	v_add_co_ci_u32_e64 v5, null, s5, v5, s2
	s_and_saveexec_b32 s2, s0
	s_cbranch_execz .LBB154_24
; %bb.21:
	v_lshlrev_b64 v[0:1], 2, v[0:1]
	v_cmp_ne_u32_e32 vcc_lo, 1, v8
	v_mul_f32_e32 v7, s10, v7
	v_add_co_u32 v0, s0, v4, v0
	v_add_co_ci_u32_e64 v1, null, v5, v1, s0
	s_cbranch_vccnz .LBB154_23
; %bb.22:
	global_load_dword v10, v[0:1], off
	s_waitcnt vmcnt(0)
	v_fmac_f32_e32 v7, s9, v10
.LBB154_23:
	global_store_dword v[0:1], v7, off
.LBB154_24:
	s_or_b32 exec_lo, exec_lo, s2
	v_cmp_le_i32_e32 vcc_lo, v9, v2
	s_and_b32 s0, vcc_lo, s1
	s_and_saveexec_b32 s1, s0
	s_cbranch_execz .LBB154_28
; %bb.25:
	v_lshlrev_b64 v[0:1], 2, v[2:3]
	v_cmp_ne_u32_e32 vcc_lo, 1, v8
	v_mul_f32_e32 v2, s10, v6
	v_add_co_u32 v0, s0, v4, v0
	v_add_co_ci_u32_e64 v1, null, v5, v1, s0
	s_cbranch_vccnz .LBB154_27
; %bb.26:
	global_load_dword v3, v[0:1], off
	s_waitcnt vmcnt(0)
	v_fmac_f32_e32 v2, s9, v3
.LBB154_27:
	global_store_dword v[0:1], v2, off
.LBB154_28:
	s_endpgm
	.section	.rodata,"a",@progbits
	.p2align	6, 0x0
	.amdhsa_kernel _ZL29rocblas_internal_gemmt_kernelIlLi16ELi32ELi8ELc78ELc84ELc76ELb0ELb0EfPKfS1_PfEviT_T9_T10_S3_lS5_S3_lS4_T11_S3_li
		.amdhsa_group_segment_fixed_size 2048
		.amdhsa_private_segment_fixed_size 0
		.amdhsa_kernarg_size 108
		.amdhsa_user_sgpr_count 6
		.amdhsa_user_sgpr_private_segment_buffer 1
		.amdhsa_user_sgpr_dispatch_ptr 0
		.amdhsa_user_sgpr_queue_ptr 0
		.amdhsa_user_sgpr_kernarg_segment_ptr 1
		.amdhsa_user_sgpr_dispatch_id 0
		.amdhsa_user_sgpr_flat_scratch_init 0
		.amdhsa_user_sgpr_private_segment_size 0
		.amdhsa_wavefront_size32 1
		.amdhsa_uses_dynamic_stack 0
		.amdhsa_system_sgpr_private_segment_wavefront_offset 0
		.amdhsa_system_sgpr_workgroup_id_x 1
		.amdhsa_system_sgpr_workgroup_id_y 1
		.amdhsa_system_sgpr_workgroup_id_z 1
		.amdhsa_system_sgpr_workgroup_info 0
		.amdhsa_system_vgpr_workitem_id 1
		.amdhsa_next_free_vgpr 46
		.amdhsa_next_free_sgpr 44
		.amdhsa_reserve_vcc 1
		.amdhsa_reserve_flat_scratch 0
		.amdhsa_float_round_mode_32 0
		.amdhsa_float_round_mode_16_64 0
		.amdhsa_float_denorm_mode_32 3
		.amdhsa_float_denorm_mode_16_64 3
		.amdhsa_dx10_clamp 1
		.amdhsa_ieee_mode 1
		.amdhsa_fp16_overflow 0
		.amdhsa_workgroup_processor_mode 1
		.amdhsa_memory_ordered 1
		.amdhsa_forward_progress 1
		.amdhsa_shared_vgpr_count 0
		.amdhsa_exception_fp_ieee_invalid_op 0
		.amdhsa_exception_fp_denorm_src 0
		.amdhsa_exception_fp_ieee_div_zero 0
		.amdhsa_exception_fp_ieee_overflow 0
		.amdhsa_exception_fp_ieee_underflow 0
		.amdhsa_exception_fp_ieee_inexact 0
		.amdhsa_exception_int_div_zero 0
	.end_amdhsa_kernel
	.section	.text._ZL29rocblas_internal_gemmt_kernelIlLi16ELi32ELi8ELc78ELc84ELc76ELb0ELb0EfPKfS1_PfEviT_T9_T10_S3_lS5_S3_lS4_T11_S3_li,"axG",@progbits,_ZL29rocblas_internal_gemmt_kernelIlLi16ELi32ELi8ELc78ELc84ELc76ELb0ELb0EfPKfS1_PfEviT_T9_T10_S3_lS5_S3_lS4_T11_S3_li,comdat
.Lfunc_end154:
	.size	_ZL29rocblas_internal_gemmt_kernelIlLi16ELi32ELi8ELc78ELc84ELc76ELb0ELb0EfPKfS1_PfEviT_T9_T10_S3_lS5_S3_lS4_T11_S3_li, .Lfunc_end154-_ZL29rocblas_internal_gemmt_kernelIlLi16ELi32ELi8ELc78ELc84ELc76ELb0ELb0EfPKfS1_PfEviT_T9_T10_S3_lS5_S3_lS4_T11_S3_li
                                        ; -- End function
	.set _ZL29rocblas_internal_gemmt_kernelIlLi16ELi32ELi8ELc78ELc84ELc76ELb0ELb0EfPKfS1_PfEviT_T9_T10_S3_lS5_S3_lS4_T11_S3_li.num_vgpr, 46
	.set _ZL29rocblas_internal_gemmt_kernelIlLi16ELi32ELi8ELc78ELc84ELc76ELb0ELb0EfPKfS1_PfEviT_T9_T10_S3_lS5_S3_lS4_T11_S3_li.num_agpr, 0
	.set _ZL29rocblas_internal_gemmt_kernelIlLi16ELi32ELi8ELc78ELc84ELc76ELb0ELb0EfPKfS1_PfEviT_T9_T10_S3_lS5_S3_lS4_T11_S3_li.numbered_sgpr, 44
	.set _ZL29rocblas_internal_gemmt_kernelIlLi16ELi32ELi8ELc78ELc84ELc76ELb0ELb0EfPKfS1_PfEviT_T9_T10_S3_lS5_S3_lS4_T11_S3_li.num_named_barrier, 0
	.set _ZL29rocblas_internal_gemmt_kernelIlLi16ELi32ELi8ELc78ELc84ELc76ELb0ELb0EfPKfS1_PfEviT_T9_T10_S3_lS5_S3_lS4_T11_S3_li.private_seg_size, 0
	.set _ZL29rocblas_internal_gemmt_kernelIlLi16ELi32ELi8ELc78ELc84ELc76ELb0ELb0EfPKfS1_PfEviT_T9_T10_S3_lS5_S3_lS4_T11_S3_li.uses_vcc, 1
	.set _ZL29rocblas_internal_gemmt_kernelIlLi16ELi32ELi8ELc78ELc84ELc76ELb0ELb0EfPKfS1_PfEviT_T9_T10_S3_lS5_S3_lS4_T11_S3_li.uses_flat_scratch, 0
	.set _ZL29rocblas_internal_gemmt_kernelIlLi16ELi32ELi8ELc78ELc84ELc76ELb0ELb0EfPKfS1_PfEviT_T9_T10_S3_lS5_S3_lS4_T11_S3_li.has_dyn_sized_stack, 0
	.set _ZL29rocblas_internal_gemmt_kernelIlLi16ELi32ELi8ELc78ELc84ELc76ELb0ELb0EfPKfS1_PfEviT_T9_T10_S3_lS5_S3_lS4_T11_S3_li.has_recursion, 0
	.set _ZL29rocblas_internal_gemmt_kernelIlLi16ELi32ELi8ELc78ELc84ELc76ELb0ELb0EfPKfS1_PfEviT_T9_T10_S3_lS5_S3_lS4_T11_S3_li.has_indirect_call, 0
	.section	.AMDGPU.csdata,"",@progbits
; Kernel info:
; codeLenInByte = 1408
; TotalNumSgprs: 46
; NumVgprs: 46
; ScratchSize: 0
; MemoryBound: 0
; FloatMode: 240
; IeeeMode: 1
; LDSByteSize: 2048 bytes/workgroup (compile time only)
; SGPRBlocks: 0
; VGPRBlocks: 5
; NumSGPRsForWavesPerEU: 46
; NumVGPRsForWavesPerEU: 46
; Occupancy: 16
; WaveLimiterHint : 0
; COMPUTE_PGM_RSRC2:SCRATCH_EN: 0
; COMPUTE_PGM_RSRC2:USER_SGPR: 6
; COMPUTE_PGM_RSRC2:TRAP_HANDLER: 0
; COMPUTE_PGM_RSRC2:TGID_X_EN: 1
; COMPUTE_PGM_RSRC2:TGID_Y_EN: 1
; COMPUTE_PGM_RSRC2:TGID_Z_EN: 1
; COMPUTE_PGM_RSRC2:TIDIG_COMP_CNT: 1
	.section	.text._ZL29rocblas_internal_gemmt_kernelIlLi16ELi32ELi8ELc78ELc67ELc76ELb0ELb0EfPKfS1_PfEviT_T9_T10_S3_lS5_S3_lS4_T11_S3_li,"axG",@progbits,_ZL29rocblas_internal_gemmt_kernelIlLi16ELi32ELi8ELc78ELc67ELc76ELb0ELb0EfPKfS1_PfEviT_T9_T10_S3_lS5_S3_lS4_T11_S3_li,comdat
	.globl	_ZL29rocblas_internal_gemmt_kernelIlLi16ELi32ELi8ELc78ELc67ELc76ELb0ELb0EfPKfS1_PfEviT_T9_T10_S3_lS5_S3_lS4_T11_S3_li ; -- Begin function _ZL29rocblas_internal_gemmt_kernelIlLi16ELi32ELi8ELc78ELc67ELc76ELb0ELb0EfPKfS1_PfEviT_T9_T10_S3_lS5_S3_lS4_T11_S3_li
	.p2align	8
	.type	_ZL29rocblas_internal_gemmt_kernelIlLi16ELi32ELi8ELc78ELc67ELc76ELb0ELb0EfPKfS1_PfEviT_T9_T10_S3_lS5_S3_lS4_T11_S3_li,@function
_ZL29rocblas_internal_gemmt_kernelIlLi16ELi32ELi8ELc78ELc67ELc76ELb0ELb0EfPKfS1_PfEviT_T9_T10_S3_lS5_S3_lS4_T11_S3_li: ; @_ZL29rocblas_internal_gemmt_kernelIlLi16ELi32ELi8ELc78ELc67ELc76ELb0ELb0EfPKfS1_PfEviT_T9_T10_S3_lS5_S3_lS4_T11_S3_li
; %bb.0:
	s_clause 0x1
	s_load_dwordx8 s[36:43], s[4:5], 0x48
	s_load_dwordx16 s[12:27], s[4:5], 0x8
	s_waitcnt lgkmcnt(0)
	s_load_dword s9, s[36:37], 0x0
	s_load_dword s10, s[14:15], 0x0
	s_waitcnt lgkmcnt(0)
	v_cmp_neq_f32_e64 s0, s9, 1.0
	s_and_b32 vcc_lo, exec_lo, s0
	s_cbranch_vccnz .LBB155_2
; %bb.1:
	v_cmp_neq_f32_e64 s0, s10, 0
	s_cmp_lg_u64 s[12:13], 0
	s_cselect_b32 s1, -1, 0
	s_and_b32 s0, s1, s0
.LBB155_2:
	s_andn2_b32 vcc_lo, exec_lo, s0
	s_cbranch_vccnz .LBB155_28
; %bb.3:
	s_load_dword s4, s[4:5], 0x0
	v_cmp_lt_i64_e64 s0, s[12:13], 1
	v_cmp_eq_f32_e64 s1, s10, 0
	v_mov_b32_e32 v5, 0
	v_mov_b32_e32 v4, 0
	;; [unrolled: 1-line block ×4, first 2 shown]
	s_or_b32 s0, s1, s0
	s_lshl_b32 s5, s6, 5
	s_and_b32 vcc_lo, exec_lo, s0
	s_lshl_b32 s6, s7, 5
	s_cbranch_vccnz .LBB155_12
; %bb.4:
	v_lshl_add_u32 v3, v1, 4, v0
	s_mul_i32 s1, s27, s8
	s_mul_hi_u32 s2, s26, s8
	s_mul_i32 s0, s26, s8
	s_add_i32 s1, s2, s1
	v_and_b32_e32 v5, 31, v3
	v_lshrrev_b32_e32 v11, 3, v3
	s_lshl_b64 s[0:1], s[0:1], 2
	v_and_b32_e32 v8, 7, v0
	v_lshrrev_b32_e32 v9, 5, v3
	v_or_b32_e32 v2, s5, v5
	v_add_nc_u32_e32 v4, s6, v11
	s_add_u32 s2, s22, s0
	s_mul_i32 s0, s21, s8
	s_mul_hi_u32 s3, s20, s8
	v_ashrrev_i32_e32 v3, 31, v2
	v_lshlrev_b32_e32 v10, 2, v5
	v_ashrrev_i32_e32 v5, 31, v4
	s_addc_u32 s7, s23, s1
	s_add_i32 s1, s3, s0
	s_mul_i32 s0, s20, s8
	v_lshlrev_b32_e32 v12, 2, v8
	s_lshl_b64 s[0:1], s[0:1], 2
	v_lshlrev_b64 v[6:7], 2, v[2:3]
	s_add_u32 s3, s16, s0
	s_waitcnt lgkmcnt(0)
	v_cmp_gt_i32_e64 s0, s4, v2
	v_lshlrev_b64 v[2:3], 2, v[4:5]
	v_lshl_or_b32 v13, v11, 5, v12
	s_addc_u32 s1, s17, s1
	v_add_co_u32 v11, vcc_lo, s3, v6
	v_add_co_ci_u32_e64 v12, null, s1, v7, vcc_lo
	v_add_co_u32 v14, vcc_lo, s2, v2
	v_lshl_or_b32 v10, v9, 7, v10
	v_cmp_gt_i32_e64 s1, s4, v4
	v_add_nc_u32_e32 v13, 0x400, v13
	v_add_co_ci_u32_e64 v15, null, s7, v3, vcc_lo
	v_lshlrev_b32_e32 v16, 2, v0
	v_lshl_add_u32 v17, v1, 5, 0x400
	v_mov_b32_e32 v3, 0
	v_mov_b32_e32 v6, 0
	;; [unrolled: 1-line block ×5, first 2 shown]
	s_mov_b64 s[2:3], 0
	s_branch .LBB155_6
.LBB155_5:                              ;   in Loop: Header=BB155_6 Depth=1
	s_or_b32 exec_lo, exec_lo, s7
	s_waitcnt vmcnt(0)
	ds_write_b32 v13, v19
	s_waitcnt lgkmcnt(0)
	s_barrier
	buffer_gl0_inv
	ds_read_b128 v[18:21], v17
	ds_read2_b32 v[34:35], v16 offset1:16
	ds_read_b128 v[22:25], v17 offset:512
	ds_read2_b32 v[36:37], v16 offset0:32 offset1:48
	ds_read2_b32 v[38:39], v16 offset0:64 offset1:80
	;; [unrolled: 1-line block ×3, first 2 shown]
	ds_read_b128 v[26:29], v17 offset:16
	ds_read2_b32 v[42:43], v16 offset0:128 offset1:144
	ds_read_b128 v[30:33], v17 offset:528
	ds_read2_b32 v[44:45], v16 offset0:160 offset1:176
	s_add_u32 s2, s2, 8
	s_addc_u32 s3, s3, 0
	v_cmp_gt_i64_e64 s7, s[12:13], s[2:3]
	s_and_b32 vcc_lo, exec_lo, s7
	s_waitcnt lgkmcnt(8)
	v_fmac_f32_e32 v5, v34, v18
	v_fmac_f32_e32 v4, v35, v18
	s_waitcnt lgkmcnt(7)
	v_fmac_f32_e32 v7, v34, v22
	v_fmac_f32_e32 v6, v35, v22
	ds_read2_b32 v[34:35], v16 offset0:192 offset1:208
	s_waitcnt lgkmcnt(7)
	v_fmac_f32_e32 v5, v36, v19
	v_fmac_f32_e32 v4, v37, v19
	;; [unrolled: 1-line block ×4, first 2 shown]
	ds_read2_b32 v[18:19], v16 offset0:224 offset1:240
	s_waitcnt lgkmcnt(7)
	v_fmac_f32_e32 v5, v38, v20
	v_fmac_f32_e32 v4, v39, v20
	;; [unrolled: 1-line block ×4, first 2 shown]
	s_waitcnt lgkmcnt(0)
	v_fmac_f32_e32 v5, v40, v21
	v_fmac_f32_e32 v4, v41, v21
	;; [unrolled: 1-line block ×4, first 2 shown]
	s_barrier
	v_fmac_f32_e32 v5, v42, v26
	v_fmac_f32_e32 v4, v43, v26
	;; [unrolled: 1-line block ×4, first 2 shown]
	buffer_gl0_inv
	v_fmac_f32_e32 v5, v44, v27
	v_fmac_f32_e32 v4, v45, v27
	;; [unrolled: 1-line block ×12, first 2 shown]
	s_cbranch_vccz .LBB155_12
.LBB155_6:                              ; =>This Inner Loop Header: Depth=1
	v_mov_b32_e32 v18, 0
	s_and_saveexec_b32 s7, s0
	s_cbranch_execz .LBB155_10
; %bb.7:                                ;   in Loop: Header=BB155_6 Depth=1
	v_add_nc_u32_e32 v2, s2, v9
	v_mov_b32_e32 v18, 0
	s_mov_b32 s11, exec_lo
	v_cmpx_gt_u64_e64 s[12:13], v[2:3]
	s_cbranch_execz .LBB155_9
; %bb.8:                                ;   in Loop: Header=BB155_6 Depth=1
	v_mad_u64_u32 v[18:19], null, s18, v2, 0
	v_mad_u64_u32 v[19:20], null, s19, v2, v[19:20]
	v_lshlrev_b64 v[18:19], 2, v[18:19]
	v_add_co_u32 v18, vcc_lo, v11, v18
	v_add_co_ci_u32_e64 v19, null, v12, v19, vcc_lo
	global_load_dword v18, v[18:19], off
.LBB155_9:                              ;   in Loop: Header=BB155_6 Depth=1
	s_or_b32 exec_lo, exec_lo, s11
.LBB155_10:                             ;   in Loop: Header=BB155_6 Depth=1
	s_or_b32 exec_lo, exec_lo, s7
	v_add_nc_u32_e32 v2, s2, v8
	v_mov_b32_e32 v19, 0
	s_waitcnt vmcnt(0)
	ds_write_b32 v10, v18
	v_cmp_gt_u64_e32 vcc_lo, s[12:13], v[2:3]
	s_and_b32 s11, vcc_lo, s1
	s_and_saveexec_b32 s7, s11
	s_cbranch_execz .LBB155_5
; %bb.11:                               ;   in Loop: Header=BB155_6 Depth=1
	v_mad_u64_u32 v[18:19], null, s24, v2, 0
	v_mad_u64_u32 v[19:20], null, s25, v2, v[19:20]
	v_lshlrev_b64 v[18:19], 2, v[18:19]
	v_add_co_u32 v18, vcc_lo, v14, v18
	v_add_co_ci_u32_e64 v19, null, v15, v19, vcc_lo
	global_load_dword v19, v[18:19], off
	s_branch .LBB155_5
.LBB155_12:
	v_add_nc_u32_e32 v9, s6, v1
	s_mul_i32 s1, s43, s8
	s_mul_hi_u32 s2, s42, s8
	s_mul_i32 s0, s42, s8
	s_add_i32 s1, s2, s1
	v_ashrrev_i32_e32 v3, 31, v9
	v_mul_lo_u32 v8, s41, v9
	v_mad_u64_u32 v[1:2], null, s40, v9, 0
	v_add_nc_u32_e32 v0, s5, v0
	v_mul_lo_u32 v3, s40, v3
	s_lshl_b64 s[6:7], s[0:1], 2
	v_cmp_neq_f32_e64 s2, s9, 0
	s_add_u32 s3, s38, s6
	v_cmp_le_i32_e32 vcc_lo, v9, v0
	s_waitcnt lgkmcnt(0)
	v_cmp_gt_i32_e64 s0, s4, v0
	s_addc_u32 s5, s39, s7
	v_add3_u32 v2, v2, v3, v8
	v_cndmask_b32_e64 v8, 0, 1, s2
	s_and_b32 s6, vcc_lo, s0
	v_lshlrev_b64 v[2:3], 2, v[1:2]
	v_ashrrev_i32_e32 v1, 31, v0
	v_add_co_u32 v10, s1, s3, v2
	v_add_co_ci_u32_e64 v11, null, s5, v3, s1
	s_and_saveexec_b32 s1, s6
	s_cbranch_execz .LBB155_16
; %bb.13:
	v_lshlrev_b64 v[2:3], 2, v[0:1]
	v_mul_f32_e32 v5, s10, v5
	v_add_co_u32 v2, vcc_lo, v10, v2
	v_add_co_ci_u32_e64 v3, null, v11, v3, vcc_lo
	s_andn2_b32 vcc_lo, exec_lo, s2
	s_cbranch_vccnz .LBB155_15
; %bb.14:
	global_load_dword v12, v[2:3], off
	s_waitcnt vmcnt(0)
	v_fmac_f32_e32 v5, s9, v12
.LBB155_15:
	global_store_dword v[2:3], v5, off
.LBB155_16:
	s_or_b32 exec_lo, exec_lo, s1
	v_add_nc_u32_e32 v2, 16, v0
	v_cmp_le_i32_e32 vcc_lo, v9, v2
	v_cmp_gt_i32_e64 s1, s4, v2
	v_ashrrev_i32_e32 v3, 31, v2
	s_and_b32 s2, vcc_lo, s1
	s_and_saveexec_b32 s4, s2
	s_cbranch_execz .LBB155_20
; %bb.17:
	v_lshlrev_b64 v[13:14], 2, v[2:3]
	v_mul_f32_e32 v12, s10, v4
	v_cmp_ne_u32_e32 vcc_lo, 1, v8
	v_add_co_u32 v4, s2, v10, v13
	v_add_co_ci_u32_e64 v5, null, v11, v14, s2
	s_cbranch_vccnz .LBB155_19
; %bb.18:
	global_load_dword v10, v[4:5], off
	s_waitcnt vmcnt(0)
	v_fmac_f32_e32 v12, s9, v10
.LBB155_19:
	global_store_dword v[4:5], v12, off
.LBB155_20:
	s_or_b32 exec_lo, exec_lo, s4
	v_add_nc_u32_e32 v9, 16, v9
	v_ashrrev_i32_e32 v10, 31, v9
	v_mul_lo_u32 v11, s41, v9
	v_mad_u64_u32 v[4:5], null, s40, v9, 0
	v_cmp_le_i32_e32 vcc_lo, v9, v0
	v_mul_lo_u32 v10, s40, v10
	s_and_b32 s0, vcc_lo, s0
	v_add3_u32 v5, v5, v10, v11
	v_lshlrev_b64 v[4:5], 2, v[4:5]
	v_add_co_u32 v4, s2, s3, v4
	v_add_co_ci_u32_e64 v5, null, s5, v5, s2
	s_and_saveexec_b32 s2, s0
	s_cbranch_execz .LBB155_24
; %bb.21:
	v_lshlrev_b64 v[0:1], 2, v[0:1]
	v_cmp_ne_u32_e32 vcc_lo, 1, v8
	v_mul_f32_e32 v7, s10, v7
	v_add_co_u32 v0, s0, v4, v0
	v_add_co_ci_u32_e64 v1, null, v5, v1, s0
	s_cbranch_vccnz .LBB155_23
; %bb.22:
	global_load_dword v10, v[0:1], off
	s_waitcnt vmcnt(0)
	v_fmac_f32_e32 v7, s9, v10
.LBB155_23:
	global_store_dword v[0:1], v7, off
.LBB155_24:
	s_or_b32 exec_lo, exec_lo, s2
	v_cmp_le_i32_e32 vcc_lo, v9, v2
	s_and_b32 s0, vcc_lo, s1
	s_and_saveexec_b32 s1, s0
	s_cbranch_execz .LBB155_28
; %bb.25:
	v_lshlrev_b64 v[0:1], 2, v[2:3]
	v_cmp_ne_u32_e32 vcc_lo, 1, v8
	v_mul_f32_e32 v2, s10, v6
	v_add_co_u32 v0, s0, v4, v0
	v_add_co_ci_u32_e64 v1, null, v5, v1, s0
	s_cbranch_vccnz .LBB155_27
; %bb.26:
	global_load_dword v3, v[0:1], off
	s_waitcnt vmcnt(0)
	v_fmac_f32_e32 v2, s9, v3
.LBB155_27:
	global_store_dword v[0:1], v2, off
.LBB155_28:
	s_endpgm
	.section	.rodata,"a",@progbits
	.p2align	6, 0x0
	.amdhsa_kernel _ZL29rocblas_internal_gemmt_kernelIlLi16ELi32ELi8ELc78ELc67ELc76ELb0ELb0EfPKfS1_PfEviT_T9_T10_S3_lS5_S3_lS4_T11_S3_li
		.amdhsa_group_segment_fixed_size 2048
		.amdhsa_private_segment_fixed_size 0
		.amdhsa_kernarg_size 108
		.amdhsa_user_sgpr_count 6
		.amdhsa_user_sgpr_private_segment_buffer 1
		.amdhsa_user_sgpr_dispatch_ptr 0
		.amdhsa_user_sgpr_queue_ptr 0
		.amdhsa_user_sgpr_kernarg_segment_ptr 1
		.amdhsa_user_sgpr_dispatch_id 0
		.amdhsa_user_sgpr_flat_scratch_init 0
		.amdhsa_user_sgpr_private_segment_size 0
		.amdhsa_wavefront_size32 1
		.amdhsa_uses_dynamic_stack 0
		.amdhsa_system_sgpr_private_segment_wavefront_offset 0
		.amdhsa_system_sgpr_workgroup_id_x 1
		.amdhsa_system_sgpr_workgroup_id_y 1
		.amdhsa_system_sgpr_workgroup_id_z 1
		.amdhsa_system_sgpr_workgroup_info 0
		.amdhsa_system_vgpr_workitem_id 1
		.amdhsa_next_free_vgpr 46
		.amdhsa_next_free_sgpr 44
		.amdhsa_reserve_vcc 1
		.amdhsa_reserve_flat_scratch 0
		.amdhsa_float_round_mode_32 0
		.amdhsa_float_round_mode_16_64 0
		.amdhsa_float_denorm_mode_32 3
		.amdhsa_float_denorm_mode_16_64 3
		.amdhsa_dx10_clamp 1
		.amdhsa_ieee_mode 1
		.amdhsa_fp16_overflow 0
		.amdhsa_workgroup_processor_mode 1
		.amdhsa_memory_ordered 1
		.amdhsa_forward_progress 1
		.amdhsa_shared_vgpr_count 0
		.amdhsa_exception_fp_ieee_invalid_op 0
		.amdhsa_exception_fp_denorm_src 0
		.amdhsa_exception_fp_ieee_div_zero 0
		.amdhsa_exception_fp_ieee_overflow 0
		.amdhsa_exception_fp_ieee_underflow 0
		.amdhsa_exception_fp_ieee_inexact 0
		.amdhsa_exception_int_div_zero 0
	.end_amdhsa_kernel
	.section	.text._ZL29rocblas_internal_gemmt_kernelIlLi16ELi32ELi8ELc78ELc67ELc76ELb0ELb0EfPKfS1_PfEviT_T9_T10_S3_lS5_S3_lS4_T11_S3_li,"axG",@progbits,_ZL29rocblas_internal_gemmt_kernelIlLi16ELi32ELi8ELc78ELc67ELc76ELb0ELb0EfPKfS1_PfEviT_T9_T10_S3_lS5_S3_lS4_T11_S3_li,comdat
.Lfunc_end155:
	.size	_ZL29rocblas_internal_gemmt_kernelIlLi16ELi32ELi8ELc78ELc67ELc76ELb0ELb0EfPKfS1_PfEviT_T9_T10_S3_lS5_S3_lS4_T11_S3_li, .Lfunc_end155-_ZL29rocblas_internal_gemmt_kernelIlLi16ELi32ELi8ELc78ELc67ELc76ELb0ELb0EfPKfS1_PfEviT_T9_T10_S3_lS5_S3_lS4_T11_S3_li
                                        ; -- End function
	.set _ZL29rocblas_internal_gemmt_kernelIlLi16ELi32ELi8ELc78ELc67ELc76ELb0ELb0EfPKfS1_PfEviT_T9_T10_S3_lS5_S3_lS4_T11_S3_li.num_vgpr, 46
	.set _ZL29rocblas_internal_gemmt_kernelIlLi16ELi32ELi8ELc78ELc67ELc76ELb0ELb0EfPKfS1_PfEviT_T9_T10_S3_lS5_S3_lS4_T11_S3_li.num_agpr, 0
	.set _ZL29rocblas_internal_gemmt_kernelIlLi16ELi32ELi8ELc78ELc67ELc76ELb0ELb0EfPKfS1_PfEviT_T9_T10_S3_lS5_S3_lS4_T11_S3_li.numbered_sgpr, 44
	.set _ZL29rocblas_internal_gemmt_kernelIlLi16ELi32ELi8ELc78ELc67ELc76ELb0ELb0EfPKfS1_PfEviT_T9_T10_S3_lS5_S3_lS4_T11_S3_li.num_named_barrier, 0
	.set _ZL29rocblas_internal_gemmt_kernelIlLi16ELi32ELi8ELc78ELc67ELc76ELb0ELb0EfPKfS1_PfEviT_T9_T10_S3_lS5_S3_lS4_T11_S3_li.private_seg_size, 0
	.set _ZL29rocblas_internal_gemmt_kernelIlLi16ELi32ELi8ELc78ELc67ELc76ELb0ELb0EfPKfS1_PfEviT_T9_T10_S3_lS5_S3_lS4_T11_S3_li.uses_vcc, 1
	.set _ZL29rocblas_internal_gemmt_kernelIlLi16ELi32ELi8ELc78ELc67ELc76ELb0ELb0EfPKfS1_PfEviT_T9_T10_S3_lS5_S3_lS4_T11_S3_li.uses_flat_scratch, 0
	.set _ZL29rocblas_internal_gemmt_kernelIlLi16ELi32ELi8ELc78ELc67ELc76ELb0ELb0EfPKfS1_PfEviT_T9_T10_S3_lS5_S3_lS4_T11_S3_li.has_dyn_sized_stack, 0
	.set _ZL29rocblas_internal_gemmt_kernelIlLi16ELi32ELi8ELc78ELc67ELc76ELb0ELb0EfPKfS1_PfEviT_T9_T10_S3_lS5_S3_lS4_T11_S3_li.has_recursion, 0
	.set _ZL29rocblas_internal_gemmt_kernelIlLi16ELi32ELi8ELc78ELc67ELc76ELb0ELb0EfPKfS1_PfEviT_T9_T10_S3_lS5_S3_lS4_T11_S3_li.has_indirect_call, 0
	.section	.AMDGPU.csdata,"",@progbits
; Kernel info:
; codeLenInByte = 1408
; TotalNumSgprs: 46
; NumVgprs: 46
; ScratchSize: 0
; MemoryBound: 0
; FloatMode: 240
; IeeeMode: 1
; LDSByteSize: 2048 bytes/workgroup (compile time only)
; SGPRBlocks: 0
; VGPRBlocks: 5
; NumSGPRsForWavesPerEU: 46
; NumVGPRsForWavesPerEU: 46
; Occupancy: 16
; WaveLimiterHint : 0
; COMPUTE_PGM_RSRC2:SCRATCH_EN: 0
; COMPUTE_PGM_RSRC2:USER_SGPR: 6
; COMPUTE_PGM_RSRC2:TRAP_HANDLER: 0
; COMPUTE_PGM_RSRC2:TGID_X_EN: 1
; COMPUTE_PGM_RSRC2:TGID_Y_EN: 1
; COMPUTE_PGM_RSRC2:TGID_Z_EN: 1
; COMPUTE_PGM_RSRC2:TIDIG_COMP_CNT: 1
	.section	.text._ZL29rocblas_internal_gemmt_kernelIlLi16ELi32ELi8ELc84ELc78ELc76ELb0ELb0EfPKfS1_PfEviT_T9_T10_S3_lS5_S3_lS4_T11_S3_li,"axG",@progbits,_ZL29rocblas_internal_gemmt_kernelIlLi16ELi32ELi8ELc84ELc78ELc76ELb0ELb0EfPKfS1_PfEviT_T9_T10_S3_lS5_S3_lS4_T11_S3_li,comdat
	.globl	_ZL29rocblas_internal_gemmt_kernelIlLi16ELi32ELi8ELc84ELc78ELc76ELb0ELb0EfPKfS1_PfEviT_T9_T10_S3_lS5_S3_lS4_T11_S3_li ; -- Begin function _ZL29rocblas_internal_gemmt_kernelIlLi16ELi32ELi8ELc84ELc78ELc76ELb0ELb0EfPKfS1_PfEviT_T9_T10_S3_lS5_S3_lS4_T11_S3_li
	.p2align	8
	.type	_ZL29rocblas_internal_gemmt_kernelIlLi16ELi32ELi8ELc84ELc78ELc76ELb0ELb0EfPKfS1_PfEviT_T9_T10_S3_lS5_S3_lS4_T11_S3_li,@function
_ZL29rocblas_internal_gemmt_kernelIlLi16ELi32ELi8ELc84ELc78ELc76ELb0ELb0EfPKfS1_PfEviT_T9_T10_S3_lS5_S3_lS4_T11_S3_li: ; @_ZL29rocblas_internal_gemmt_kernelIlLi16ELi32ELi8ELc84ELc78ELc76ELb0ELb0EfPKfS1_PfEviT_T9_T10_S3_lS5_S3_lS4_T11_S3_li
; %bb.0:
	s_clause 0x1
	s_load_dwordx8 s[36:43], s[4:5], 0x48
	s_load_dwordx16 s[12:27], s[4:5], 0x8
	s_waitcnt lgkmcnt(0)
	s_load_dword s9, s[36:37], 0x0
	s_load_dword s10, s[14:15], 0x0
	s_waitcnt lgkmcnt(0)
	v_cmp_neq_f32_e64 s0, s9, 1.0
	s_and_b32 vcc_lo, exec_lo, s0
	s_cbranch_vccnz .LBB156_2
; %bb.1:
	v_cmp_neq_f32_e64 s0, s10, 0
	s_cmp_lg_u64 s[12:13], 0
	s_cselect_b32 s1, -1, 0
	s_and_b32 s0, s1, s0
.LBB156_2:
	s_andn2_b32 vcc_lo, exec_lo, s0
	s_cbranch_vccnz .LBB156_28
; %bb.3:
	s_load_dword s4, s[4:5], 0x0
	v_cmp_lt_i64_e64 s0, s[12:13], 1
	v_cmp_eq_f32_e64 s1, s10, 0
	v_mov_b32_e32 v5, 0
	v_mov_b32_e32 v4, 0
	v_mov_b32_e32 v7, 0
	v_mov_b32_e32 v6, 0
	s_or_b32 s0, s1, s0
	s_lshl_b32 s5, s6, 5
	s_and_b32 vcc_lo, exec_lo, s0
	s_lshl_b32 s6, s7, 5
	s_cbranch_vccnz .LBB156_12
; %bb.4:
	v_lshl_add_u32 v6, v1, 4, v0
	s_mul_i32 s1, s27, s8
	s_mul_hi_u32 s2, s26, s8
	s_mul_i32 s0, s26, s8
	s_add_i32 s1, s2, s1
	v_lshrrev_b32_e32 v7, 3, v6
	v_and_b32_e32 v10, 31, v6
	s_lshl_b64 s[0:1], s[0:1], 2
	s_mul_hi_u32 s3, s20, s8
	s_add_u32 s2, s22, s0
	v_add_nc_u32_e32 v13, s6, v7
	v_or_b32_e32 v11, s5, v10
	s_mul_i32 s0, s21, s8
	s_addc_u32 s7, s23, s1
	s_add_i32 s1, s3, s0
	v_ashrrev_i32_e32 v4, 31, v13
	s_mul_i32 s0, s20, s8
	v_mul_lo_u32 v9, s19, v11
	v_mad_u64_u32 v[2:3], null, s18, v11, 0
	s_lshl_b64 s[0:1], s[0:1], 2
	v_mul_lo_u32 v12, s24, v4
	v_mul_lo_u32 v14, s25, v13
	v_mad_u64_u32 v[4:5], null, s24, v13, 0
	s_add_u32 s3, s16, s0
	s_addc_u32 s1, s17, s1
	s_ashr_i32 s0, s5, 31
	v_and_b32_e32 v8, 7, v0
	s_mul_i32 s0, s18, s0
	v_lshlrev_b32_e32 v16, 2, v0
	v_add3_u32 v3, v3, s0, v9
	v_add3_u32 v5, v5, v12, v14
	v_lshrrev_b32_e32 v9, 5, v6
	v_lshlrev_b32_e32 v6, 2, v10
	v_lshlrev_b32_e32 v15, 2, v8
	v_lshlrev_b64 v[2:3], 2, v[2:3]
	v_lshlrev_b64 v[4:5], 2, v[4:5]
	s_waitcnt lgkmcnt(0)
	v_cmp_gt_i32_e64 s0, s4, v11
	v_lshl_or_b32 v10, v9, 7, v6
	v_lshl_or_b32 v6, v7, 5, v15
	v_lshl_add_u32 v17, v1, 5, 0x400
	v_add_co_u32 v11, vcc_lo, s3, v2
	v_add_co_ci_u32_e64 v12, null, s1, v3, vcc_lo
	v_add_co_u32 v14, vcc_lo, s2, v4
	v_cmp_gt_i32_e64 s1, s4, v13
	v_add_nc_u32_e32 v13, 0x400, v6
	v_add_co_ci_u32_e64 v15, null, s7, v5, vcc_lo
	v_mov_b32_e32 v3, 0
	v_mov_b32_e32 v6, 0
	;; [unrolled: 1-line block ×5, first 2 shown]
	s_mov_b64 s[2:3], 0
	s_branch .LBB156_6
.LBB156_5:                              ;   in Loop: Header=BB156_6 Depth=1
	s_or_b32 exec_lo, exec_lo, s7
	s_waitcnt vmcnt(0)
	ds_write_b32 v13, v19
	s_waitcnt lgkmcnt(0)
	s_barrier
	buffer_gl0_inv
	ds_read_b128 v[18:21], v17
	ds_read2_b32 v[34:35], v16 offset1:16
	ds_read_b128 v[22:25], v17 offset:512
	ds_read2_b32 v[36:37], v16 offset0:32 offset1:48
	ds_read2_b32 v[38:39], v16 offset0:64 offset1:80
	;; [unrolled: 1-line block ×3, first 2 shown]
	ds_read_b128 v[26:29], v17 offset:16
	ds_read2_b32 v[42:43], v16 offset0:128 offset1:144
	ds_read_b128 v[30:33], v17 offset:528
	ds_read2_b32 v[44:45], v16 offset0:160 offset1:176
	s_add_u32 s2, s2, 8
	s_addc_u32 s3, s3, 0
	v_cmp_gt_i64_e64 s7, s[12:13], s[2:3]
	s_and_b32 vcc_lo, exec_lo, s7
	s_waitcnt lgkmcnt(8)
	v_fmac_f32_e32 v5, v34, v18
	v_fmac_f32_e32 v4, v35, v18
	s_waitcnt lgkmcnt(7)
	v_fmac_f32_e32 v7, v34, v22
	v_fmac_f32_e32 v6, v35, v22
	ds_read2_b32 v[34:35], v16 offset0:192 offset1:208
	s_waitcnt lgkmcnt(7)
	v_fmac_f32_e32 v5, v36, v19
	v_fmac_f32_e32 v4, v37, v19
	;; [unrolled: 1-line block ×4, first 2 shown]
	ds_read2_b32 v[18:19], v16 offset0:224 offset1:240
	s_waitcnt lgkmcnt(7)
	v_fmac_f32_e32 v5, v38, v20
	v_fmac_f32_e32 v4, v39, v20
	;; [unrolled: 1-line block ×4, first 2 shown]
	s_waitcnt lgkmcnt(0)
	v_fmac_f32_e32 v5, v40, v21
	v_fmac_f32_e32 v4, v41, v21
	;; [unrolled: 1-line block ×4, first 2 shown]
	s_barrier
	v_fmac_f32_e32 v5, v42, v26
	v_fmac_f32_e32 v4, v43, v26
	v_fmac_f32_e32 v7, v42, v30
	v_fmac_f32_e32 v6, v43, v30
	buffer_gl0_inv
	v_fmac_f32_e32 v5, v44, v27
	v_fmac_f32_e32 v4, v45, v27
	;; [unrolled: 1-line block ×12, first 2 shown]
	s_cbranch_vccz .LBB156_12
.LBB156_6:                              ; =>This Inner Loop Header: Depth=1
	v_mov_b32_e32 v18, 0
	s_and_saveexec_b32 s7, s0
	s_cbranch_execz .LBB156_10
; %bb.7:                                ;   in Loop: Header=BB156_6 Depth=1
	v_add_nc_u32_e32 v2, s2, v9
	v_mov_b32_e32 v18, 0
	s_mov_b32 s11, exec_lo
	v_cmpx_gt_u64_e64 s[12:13], v[2:3]
	s_cbranch_execz .LBB156_9
; %bb.8:                                ;   in Loop: Header=BB156_6 Depth=1
	v_lshlrev_b64 v[18:19], 2, v[2:3]
	v_add_co_u32 v18, vcc_lo, v11, v18
	v_add_co_ci_u32_e64 v19, null, v12, v19, vcc_lo
	global_load_dword v18, v[18:19], off
.LBB156_9:                              ;   in Loop: Header=BB156_6 Depth=1
	s_or_b32 exec_lo, exec_lo, s11
.LBB156_10:                             ;   in Loop: Header=BB156_6 Depth=1
	s_or_b32 exec_lo, exec_lo, s7
	v_add_nc_u32_e32 v2, s2, v8
	v_mov_b32_e32 v19, 0
	s_waitcnt vmcnt(0)
	ds_write_b32 v10, v18
	v_cmp_gt_u64_e32 vcc_lo, s[12:13], v[2:3]
	s_and_b32 s11, vcc_lo, s1
	s_and_saveexec_b32 s7, s11
	s_cbranch_execz .LBB156_5
; %bb.11:                               ;   in Loop: Header=BB156_6 Depth=1
	v_lshlrev_b64 v[18:19], 2, v[2:3]
	v_add_co_u32 v18, vcc_lo, v14, v18
	v_add_co_ci_u32_e64 v19, null, v15, v19, vcc_lo
	global_load_dword v19, v[18:19], off
	s_branch .LBB156_5
.LBB156_12:
	v_add_nc_u32_e32 v9, s6, v1
	s_mul_i32 s1, s43, s8
	s_mul_hi_u32 s2, s42, s8
	s_mul_i32 s0, s42, s8
	s_add_i32 s1, s2, s1
	v_ashrrev_i32_e32 v3, 31, v9
	v_mul_lo_u32 v8, s41, v9
	v_mad_u64_u32 v[1:2], null, s40, v9, 0
	v_add_nc_u32_e32 v0, s5, v0
	v_mul_lo_u32 v3, s40, v3
	s_lshl_b64 s[6:7], s[0:1], 2
	v_cmp_neq_f32_e64 s2, s9, 0
	s_add_u32 s3, s38, s6
	v_cmp_le_i32_e32 vcc_lo, v9, v0
	s_waitcnt lgkmcnt(0)
	v_cmp_gt_i32_e64 s0, s4, v0
	s_addc_u32 s5, s39, s7
	v_add3_u32 v2, v2, v3, v8
	v_cndmask_b32_e64 v8, 0, 1, s2
	s_and_b32 s6, vcc_lo, s0
	v_lshlrev_b64 v[2:3], 2, v[1:2]
	v_ashrrev_i32_e32 v1, 31, v0
	v_add_co_u32 v10, s1, s3, v2
	v_add_co_ci_u32_e64 v11, null, s5, v3, s1
	s_and_saveexec_b32 s1, s6
	s_cbranch_execz .LBB156_16
; %bb.13:
	v_lshlrev_b64 v[2:3], 2, v[0:1]
	v_mul_f32_e32 v5, s10, v5
	v_add_co_u32 v2, vcc_lo, v10, v2
	v_add_co_ci_u32_e64 v3, null, v11, v3, vcc_lo
	s_andn2_b32 vcc_lo, exec_lo, s2
	s_cbranch_vccnz .LBB156_15
; %bb.14:
	global_load_dword v12, v[2:3], off
	s_waitcnt vmcnt(0)
	v_fmac_f32_e32 v5, s9, v12
.LBB156_15:
	global_store_dword v[2:3], v5, off
.LBB156_16:
	s_or_b32 exec_lo, exec_lo, s1
	v_add_nc_u32_e32 v2, 16, v0
	v_cmp_le_i32_e32 vcc_lo, v9, v2
	v_cmp_gt_i32_e64 s1, s4, v2
	v_ashrrev_i32_e32 v3, 31, v2
	s_and_b32 s2, vcc_lo, s1
	s_and_saveexec_b32 s4, s2
	s_cbranch_execz .LBB156_20
; %bb.17:
	v_lshlrev_b64 v[13:14], 2, v[2:3]
	v_mul_f32_e32 v12, s10, v4
	v_cmp_ne_u32_e32 vcc_lo, 1, v8
	v_add_co_u32 v4, s2, v10, v13
	v_add_co_ci_u32_e64 v5, null, v11, v14, s2
	s_cbranch_vccnz .LBB156_19
; %bb.18:
	global_load_dword v10, v[4:5], off
	s_waitcnt vmcnt(0)
	v_fmac_f32_e32 v12, s9, v10
.LBB156_19:
	global_store_dword v[4:5], v12, off
.LBB156_20:
	s_or_b32 exec_lo, exec_lo, s4
	v_add_nc_u32_e32 v9, 16, v9
	v_ashrrev_i32_e32 v10, 31, v9
	v_mul_lo_u32 v11, s41, v9
	v_mad_u64_u32 v[4:5], null, s40, v9, 0
	v_cmp_le_i32_e32 vcc_lo, v9, v0
	v_mul_lo_u32 v10, s40, v10
	s_and_b32 s0, vcc_lo, s0
	v_add3_u32 v5, v5, v10, v11
	v_lshlrev_b64 v[4:5], 2, v[4:5]
	v_add_co_u32 v4, s2, s3, v4
	v_add_co_ci_u32_e64 v5, null, s5, v5, s2
	s_and_saveexec_b32 s2, s0
	s_cbranch_execz .LBB156_24
; %bb.21:
	v_lshlrev_b64 v[0:1], 2, v[0:1]
	v_cmp_ne_u32_e32 vcc_lo, 1, v8
	v_mul_f32_e32 v7, s10, v7
	v_add_co_u32 v0, s0, v4, v0
	v_add_co_ci_u32_e64 v1, null, v5, v1, s0
	s_cbranch_vccnz .LBB156_23
; %bb.22:
	global_load_dword v10, v[0:1], off
	s_waitcnt vmcnt(0)
	v_fmac_f32_e32 v7, s9, v10
.LBB156_23:
	global_store_dword v[0:1], v7, off
.LBB156_24:
	s_or_b32 exec_lo, exec_lo, s2
	v_cmp_le_i32_e32 vcc_lo, v9, v2
	s_and_b32 s0, vcc_lo, s1
	s_and_saveexec_b32 s1, s0
	s_cbranch_execz .LBB156_28
; %bb.25:
	v_lshlrev_b64 v[0:1], 2, v[2:3]
	v_cmp_ne_u32_e32 vcc_lo, 1, v8
	v_mul_f32_e32 v2, s10, v6
	v_add_co_u32 v0, s0, v4, v0
	v_add_co_ci_u32_e64 v1, null, v5, v1, s0
	s_cbranch_vccnz .LBB156_27
; %bb.26:
	global_load_dword v3, v[0:1], off
	s_waitcnt vmcnt(0)
	v_fmac_f32_e32 v2, s9, v3
.LBB156_27:
	global_store_dword v[0:1], v2, off
.LBB156_28:
	s_endpgm
	.section	.rodata,"a",@progbits
	.p2align	6, 0x0
	.amdhsa_kernel _ZL29rocblas_internal_gemmt_kernelIlLi16ELi32ELi8ELc84ELc78ELc76ELb0ELb0EfPKfS1_PfEviT_T9_T10_S3_lS5_S3_lS4_T11_S3_li
		.amdhsa_group_segment_fixed_size 2048
		.amdhsa_private_segment_fixed_size 0
		.amdhsa_kernarg_size 108
		.amdhsa_user_sgpr_count 6
		.amdhsa_user_sgpr_private_segment_buffer 1
		.amdhsa_user_sgpr_dispatch_ptr 0
		.amdhsa_user_sgpr_queue_ptr 0
		.amdhsa_user_sgpr_kernarg_segment_ptr 1
		.amdhsa_user_sgpr_dispatch_id 0
		.amdhsa_user_sgpr_flat_scratch_init 0
		.amdhsa_user_sgpr_private_segment_size 0
		.amdhsa_wavefront_size32 1
		.amdhsa_uses_dynamic_stack 0
		.amdhsa_system_sgpr_private_segment_wavefront_offset 0
		.amdhsa_system_sgpr_workgroup_id_x 1
		.amdhsa_system_sgpr_workgroup_id_y 1
		.amdhsa_system_sgpr_workgroup_id_z 1
		.amdhsa_system_sgpr_workgroup_info 0
		.amdhsa_system_vgpr_workitem_id 1
		.amdhsa_next_free_vgpr 46
		.amdhsa_next_free_sgpr 44
		.amdhsa_reserve_vcc 1
		.amdhsa_reserve_flat_scratch 0
		.amdhsa_float_round_mode_32 0
		.amdhsa_float_round_mode_16_64 0
		.amdhsa_float_denorm_mode_32 3
		.amdhsa_float_denorm_mode_16_64 3
		.amdhsa_dx10_clamp 1
		.amdhsa_ieee_mode 1
		.amdhsa_fp16_overflow 0
		.amdhsa_workgroup_processor_mode 1
		.amdhsa_memory_ordered 1
		.amdhsa_forward_progress 1
		.amdhsa_shared_vgpr_count 0
		.amdhsa_exception_fp_ieee_invalid_op 0
		.amdhsa_exception_fp_denorm_src 0
		.amdhsa_exception_fp_ieee_div_zero 0
		.amdhsa_exception_fp_ieee_overflow 0
		.amdhsa_exception_fp_ieee_underflow 0
		.amdhsa_exception_fp_ieee_inexact 0
		.amdhsa_exception_int_div_zero 0
	.end_amdhsa_kernel
	.section	.text._ZL29rocblas_internal_gemmt_kernelIlLi16ELi32ELi8ELc84ELc78ELc76ELb0ELb0EfPKfS1_PfEviT_T9_T10_S3_lS5_S3_lS4_T11_S3_li,"axG",@progbits,_ZL29rocblas_internal_gemmt_kernelIlLi16ELi32ELi8ELc84ELc78ELc76ELb0ELb0EfPKfS1_PfEviT_T9_T10_S3_lS5_S3_lS4_T11_S3_li,comdat
.Lfunc_end156:
	.size	_ZL29rocblas_internal_gemmt_kernelIlLi16ELi32ELi8ELc84ELc78ELc76ELb0ELb0EfPKfS1_PfEviT_T9_T10_S3_lS5_S3_lS4_T11_S3_li, .Lfunc_end156-_ZL29rocblas_internal_gemmt_kernelIlLi16ELi32ELi8ELc84ELc78ELc76ELb0ELb0EfPKfS1_PfEviT_T9_T10_S3_lS5_S3_lS4_T11_S3_li
                                        ; -- End function
	.set _ZL29rocblas_internal_gemmt_kernelIlLi16ELi32ELi8ELc84ELc78ELc76ELb0ELb0EfPKfS1_PfEviT_T9_T10_S3_lS5_S3_lS4_T11_S3_li.num_vgpr, 46
	.set _ZL29rocblas_internal_gemmt_kernelIlLi16ELi32ELi8ELc84ELc78ELc76ELb0ELb0EfPKfS1_PfEviT_T9_T10_S3_lS5_S3_lS4_T11_S3_li.num_agpr, 0
	.set _ZL29rocblas_internal_gemmt_kernelIlLi16ELi32ELi8ELc84ELc78ELc76ELb0ELb0EfPKfS1_PfEviT_T9_T10_S3_lS5_S3_lS4_T11_S3_li.numbered_sgpr, 44
	.set _ZL29rocblas_internal_gemmt_kernelIlLi16ELi32ELi8ELc84ELc78ELc76ELb0ELb0EfPKfS1_PfEviT_T9_T10_S3_lS5_S3_lS4_T11_S3_li.num_named_barrier, 0
	.set _ZL29rocblas_internal_gemmt_kernelIlLi16ELi32ELi8ELc84ELc78ELc76ELb0ELb0EfPKfS1_PfEviT_T9_T10_S3_lS5_S3_lS4_T11_S3_li.private_seg_size, 0
	.set _ZL29rocblas_internal_gemmt_kernelIlLi16ELi32ELi8ELc84ELc78ELc76ELb0ELb0EfPKfS1_PfEviT_T9_T10_S3_lS5_S3_lS4_T11_S3_li.uses_vcc, 1
	.set _ZL29rocblas_internal_gemmt_kernelIlLi16ELi32ELi8ELc84ELc78ELc76ELb0ELb0EfPKfS1_PfEviT_T9_T10_S3_lS5_S3_lS4_T11_S3_li.uses_flat_scratch, 0
	.set _ZL29rocblas_internal_gemmt_kernelIlLi16ELi32ELi8ELc84ELc78ELc76ELb0ELb0EfPKfS1_PfEviT_T9_T10_S3_lS5_S3_lS4_T11_S3_li.has_dyn_sized_stack, 0
	.set _ZL29rocblas_internal_gemmt_kernelIlLi16ELi32ELi8ELc84ELc78ELc76ELb0ELb0EfPKfS1_PfEviT_T9_T10_S3_lS5_S3_lS4_T11_S3_li.has_recursion, 0
	.set _ZL29rocblas_internal_gemmt_kernelIlLi16ELi32ELi8ELc84ELc78ELc76ELb0ELb0EfPKfS1_PfEviT_T9_T10_S3_lS5_S3_lS4_T11_S3_li.has_indirect_call, 0
	.section	.AMDGPU.csdata,"",@progbits
; Kernel info:
; codeLenInByte = 1436
; TotalNumSgprs: 46
; NumVgprs: 46
; ScratchSize: 0
; MemoryBound: 0
; FloatMode: 240
; IeeeMode: 1
; LDSByteSize: 2048 bytes/workgroup (compile time only)
; SGPRBlocks: 0
; VGPRBlocks: 5
; NumSGPRsForWavesPerEU: 46
; NumVGPRsForWavesPerEU: 46
; Occupancy: 16
; WaveLimiterHint : 0
; COMPUTE_PGM_RSRC2:SCRATCH_EN: 0
; COMPUTE_PGM_RSRC2:USER_SGPR: 6
; COMPUTE_PGM_RSRC2:TRAP_HANDLER: 0
; COMPUTE_PGM_RSRC2:TGID_X_EN: 1
; COMPUTE_PGM_RSRC2:TGID_Y_EN: 1
; COMPUTE_PGM_RSRC2:TGID_Z_EN: 1
; COMPUTE_PGM_RSRC2:TIDIG_COMP_CNT: 1
	.section	.text._ZL29rocblas_internal_gemmt_kernelIlLi16ELi32ELi8ELc84ELc84ELc76ELb0ELb0EfPKfS1_PfEviT_T9_T10_S3_lS5_S3_lS4_T11_S3_li,"axG",@progbits,_ZL29rocblas_internal_gemmt_kernelIlLi16ELi32ELi8ELc84ELc84ELc76ELb0ELb0EfPKfS1_PfEviT_T9_T10_S3_lS5_S3_lS4_T11_S3_li,comdat
	.globl	_ZL29rocblas_internal_gemmt_kernelIlLi16ELi32ELi8ELc84ELc84ELc76ELb0ELb0EfPKfS1_PfEviT_T9_T10_S3_lS5_S3_lS4_T11_S3_li ; -- Begin function _ZL29rocblas_internal_gemmt_kernelIlLi16ELi32ELi8ELc84ELc84ELc76ELb0ELb0EfPKfS1_PfEviT_T9_T10_S3_lS5_S3_lS4_T11_S3_li
	.p2align	8
	.type	_ZL29rocblas_internal_gemmt_kernelIlLi16ELi32ELi8ELc84ELc84ELc76ELb0ELb0EfPKfS1_PfEviT_T9_T10_S3_lS5_S3_lS4_T11_S3_li,@function
_ZL29rocblas_internal_gemmt_kernelIlLi16ELi32ELi8ELc84ELc84ELc76ELb0ELb0EfPKfS1_PfEviT_T9_T10_S3_lS5_S3_lS4_T11_S3_li: ; @_ZL29rocblas_internal_gemmt_kernelIlLi16ELi32ELi8ELc84ELc84ELc76ELb0ELb0EfPKfS1_PfEviT_T9_T10_S3_lS5_S3_lS4_T11_S3_li
; %bb.0:
	s_clause 0x1
	s_load_dwordx8 s[36:43], s[4:5], 0x48
	s_load_dwordx16 s[12:27], s[4:5], 0x8
	s_waitcnt lgkmcnt(0)
	s_load_dword s9, s[36:37], 0x0
	s_load_dword s10, s[14:15], 0x0
	s_waitcnt lgkmcnt(0)
	v_cmp_neq_f32_e64 s0, s9, 1.0
	s_and_b32 vcc_lo, exec_lo, s0
	s_cbranch_vccnz .LBB157_2
; %bb.1:
	v_cmp_neq_f32_e64 s0, s10, 0
	s_cmp_lg_u64 s[12:13], 0
	s_cselect_b32 s1, -1, 0
	s_and_b32 s0, s1, s0
.LBB157_2:
	s_andn2_b32 vcc_lo, exec_lo, s0
	s_cbranch_vccnz .LBB157_28
; %bb.3:
	s_load_dword s4, s[4:5], 0x0
	v_cmp_lt_i64_e64 s0, s[12:13], 1
	v_cmp_eq_f32_e64 s1, s10, 0
	v_mov_b32_e32 v5, 0
	v_mov_b32_e32 v4, 0
	;; [unrolled: 1-line block ×4, first 2 shown]
	s_or_b32 s0, s1, s0
	s_lshl_b32 s5, s6, 5
	s_and_b32 vcc_lo, exec_lo, s0
	s_lshl_b32 s6, s7, 5
	s_cbranch_vccnz .LBB157_12
; %bb.4:
	v_lshl_add_u32 v5, v1, 4, v0
	s_mul_i32 s1, s27, s8
	s_mul_hi_u32 s2, s26, s8
	s_mul_i32 s0, s26, s8
	s_add_i32 s1, s2, s1
	v_and_b32_e32 v6, 31, v5
	s_lshl_b64 s[0:1], s[0:1], 2
	s_mul_i32 s2, s21, s8
	s_add_u32 s3, s22, s0
	s_addc_u32 s7, s23, s1
	v_or_b32_e32 v7, s5, v6
	s_mul_hi_u32 s1, s20, s8
	s_mul_i32 s0, s20, s8
	s_add_i32 s1, s1, s2
	v_lshrrev_b32_e32 v11, 3, v5
	v_mul_lo_u32 v9, s19, v7
	v_mad_u64_u32 v[2:3], null, s18, v7, 0
	s_lshl_b64 s[0:1], s[0:1], 2
	v_add_nc_u32_e32 v4, s6, v11
	s_add_u32 s2, s16, s0
	s_addc_u32 s1, s17, s1
	s_ashr_i32 s0, s5, 31
	v_and_b32_e32 v8, 7, v0
	s_mul_i32 s0, s18, s0
	v_lshlrev_b32_e32 v6, 2, v6
	v_add3_u32 v3, v3, s0, v9
	v_lshrrev_b32_e32 v9, 5, v5
	v_ashrrev_i32_e32 v5, 31, v4
	v_lshlrev_b32_e32 v12, 2, v8
	s_waitcnt lgkmcnt(0)
	v_cmp_gt_i32_e64 s0, s4, v7
	v_lshlrev_b64 v[2:3], 2, v[2:3]
	v_lshl_or_b32 v10, v9, 7, v6
	v_lshlrev_b64 v[5:6], 2, v[4:5]
	v_lshl_or_b32 v7, v11, 5, v12
	v_lshlrev_b32_e32 v16, 2, v0
	v_lshl_add_u32 v17, v1, 5, 0x400
	v_add_co_u32 v11, vcc_lo, s2, v2
	v_add_co_ci_u32_e64 v12, null, s1, v3, vcc_lo
	v_add_co_u32 v14, vcc_lo, s3, v5
	v_cmp_gt_i32_e64 s1, s4, v4
	v_add_nc_u32_e32 v13, 0x400, v7
	v_add_co_ci_u32_e64 v15, null, s7, v6, vcc_lo
	v_mov_b32_e32 v3, 0
	v_mov_b32_e32 v6, 0
	v_mov_b32_e32 v7, 0
	v_mov_b32_e32 v4, 0
	v_mov_b32_e32 v5, 0
	s_mov_b64 s[2:3], 0
	s_branch .LBB157_6
.LBB157_5:                              ;   in Loop: Header=BB157_6 Depth=1
	s_or_b32 exec_lo, exec_lo, s7
	s_waitcnt vmcnt(0)
	ds_write_b32 v13, v19
	s_waitcnt lgkmcnt(0)
	s_barrier
	buffer_gl0_inv
	ds_read_b128 v[18:21], v17
	ds_read2_b32 v[34:35], v16 offset1:16
	ds_read_b128 v[22:25], v17 offset:512
	ds_read2_b32 v[36:37], v16 offset0:32 offset1:48
	ds_read2_b32 v[38:39], v16 offset0:64 offset1:80
	;; [unrolled: 1-line block ×3, first 2 shown]
	ds_read_b128 v[26:29], v17 offset:16
	ds_read2_b32 v[42:43], v16 offset0:128 offset1:144
	ds_read_b128 v[30:33], v17 offset:528
	ds_read2_b32 v[44:45], v16 offset0:160 offset1:176
	s_add_u32 s2, s2, 8
	s_addc_u32 s3, s3, 0
	v_cmp_gt_i64_e64 s7, s[12:13], s[2:3]
	s_and_b32 vcc_lo, exec_lo, s7
	s_waitcnt lgkmcnt(8)
	v_fmac_f32_e32 v5, v34, v18
	v_fmac_f32_e32 v4, v35, v18
	s_waitcnt lgkmcnt(7)
	v_fmac_f32_e32 v7, v34, v22
	v_fmac_f32_e32 v6, v35, v22
	ds_read2_b32 v[34:35], v16 offset0:192 offset1:208
	s_waitcnt lgkmcnt(7)
	v_fmac_f32_e32 v5, v36, v19
	v_fmac_f32_e32 v4, v37, v19
	;; [unrolled: 1-line block ×4, first 2 shown]
	ds_read2_b32 v[18:19], v16 offset0:224 offset1:240
	s_waitcnt lgkmcnt(7)
	v_fmac_f32_e32 v5, v38, v20
	v_fmac_f32_e32 v4, v39, v20
	;; [unrolled: 1-line block ×4, first 2 shown]
	s_waitcnt lgkmcnt(0)
	v_fmac_f32_e32 v5, v40, v21
	v_fmac_f32_e32 v4, v41, v21
	;; [unrolled: 1-line block ×4, first 2 shown]
	s_barrier
	v_fmac_f32_e32 v5, v42, v26
	v_fmac_f32_e32 v4, v43, v26
	;; [unrolled: 1-line block ×4, first 2 shown]
	buffer_gl0_inv
	v_fmac_f32_e32 v5, v44, v27
	v_fmac_f32_e32 v4, v45, v27
	;; [unrolled: 1-line block ×12, first 2 shown]
	s_cbranch_vccz .LBB157_12
.LBB157_6:                              ; =>This Inner Loop Header: Depth=1
	v_mov_b32_e32 v18, 0
	s_and_saveexec_b32 s7, s0
	s_cbranch_execz .LBB157_10
; %bb.7:                                ;   in Loop: Header=BB157_6 Depth=1
	v_add_nc_u32_e32 v2, s2, v9
	v_mov_b32_e32 v18, 0
	s_mov_b32 s11, exec_lo
	v_cmpx_gt_u64_e64 s[12:13], v[2:3]
	s_cbranch_execz .LBB157_9
; %bb.8:                                ;   in Loop: Header=BB157_6 Depth=1
	v_lshlrev_b64 v[18:19], 2, v[2:3]
	v_add_co_u32 v18, vcc_lo, v11, v18
	v_add_co_ci_u32_e64 v19, null, v12, v19, vcc_lo
	global_load_dword v18, v[18:19], off
.LBB157_9:                              ;   in Loop: Header=BB157_6 Depth=1
	s_or_b32 exec_lo, exec_lo, s11
.LBB157_10:                             ;   in Loop: Header=BB157_6 Depth=1
	s_or_b32 exec_lo, exec_lo, s7
	v_add_nc_u32_e32 v2, s2, v8
	v_mov_b32_e32 v19, 0
	s_waitcnt vmcnt(0)
	ds_write_b32 v10, v18
	v_cmp_gt_u64_e32 vcc_lo, s[12:13], v[2:3]
	s_and_b32 s11, vcc_lo, s1
	s_and_saveexec_b32 s7, s11
	s_cbranch_execz .LBB157_5
; %bb.11:                               ;   in Loop: Header=BB157_6 Depth=1
	v_mad_u64_u32 v[18:19], null, s24, v2, 0
	v_mad_u64_u32 v[19:20], null, s25, v2, v[19:20]
	v_lshlrev_b64 v[18:19], 2, v[18:19]
	v_add_co_u32 v18, vcc_lo, v14, v18
	v_add_co_ci_u32_e64 v19, null, v15, v19, vcc_lo
	global_load_dword v19, v[18:19], off
	s_branch .LBB157_5
.LBB157_12:
	v_add_nc_u32_e32 v9, s6, v1
	s_mul_i32 s1, s43, s8
	s_mul_hi_u32 s2, s42, s8
	s_mul_i32 s0, s42, s8
	s_add_i32 s1, s2, s1
	v_ashrrev_i32_e32 v3, 31, v9
	v_mul_lo_u32 v8, s41, v9
	v_mad_u64_u32 v[1:2], null, s40, v9, 0
	v_add_nc_u32_e32 v0, s5, v0
	v_mul_lo_u32 v3, s40, v3
	s_lshl_b64 s[6:7], s[0:1], 2
	v_cmp_neq_f32_e64 s2, s9, 0
	s_add_u32 s3, s38, s6
	v_cmp_le_i32_e32 vcc_lo, v9, v0
	s_waitcnt lgkmcnt(0)
	v_cmp_gt_i32_e64 s0, s4, v0
	s_addc_u32 s5, s39, s7
	v_add3_u32 v2, v2, v3, v8
	v_cndmask_b32_e64 v8, 0, 1, s2
	s_and_b32 s6, vcc_lo, s0
	v_lshlrev_b64 v[2:3], 2, v[1:2]
	v_ashrrev_i32_e32 v1, 31, v0
	v_add_co_u32 v10, s1, s3, v2
	v_add_co_ci_u32_e64 v11, null, s5, v3, s1
	s_and_saveexec_b32 s1, s6
	s_cbranch_execz .LBB157_16
; %bb.13:
	v_lshlrev_b64 v[2:3], 2, v[0:1]
	v_mul_f32_e32 v5, s10, v5
	v_add_co_u32 v2, vcc_lo, v10, v2
	v_add_co_ci_u32_e64 v3, null, v11, v3, vcc_lo
	s_andn2_b32 vcc_lo, exec_lo, s2
	s_cbranch_vccnz .LBB157_15
; %bb.14:
	global_load_dword v12, v[2:3], off
	s_waitcnt vmcnt(0)
	v_fmac_f32_e32 v5, s9, v12
.LBB157_15:
	global_store_dword v[2:3], v5, off
.LBB157_16:
	s_or_b32 exec_lo, exec_lo, s1
	v_add_nc_u32_e32 v2, 16, v0
	v_cmp_le_i32_e32 vcc_lo, v9, v2
	v_cmp_gt_i32_e64 s1, s4, v2
	v_ashrrev_i32_e32 v3, 31, v2
	s_and_b32 s2, vcc_lo, s1
	s_and_saveexec_b32 s4, s2
	s_cbranch_execz .LBB157_20
; %bb.17:
	v_lshlrev_b64 v[13:14], 2, v[2:3]
	v_mul_f32_e32 v12, s10, v4
	v_cmp_ne_u32_e32 vcc_lo, 1, v8
	v_add_co_u32 v4, s2, v10, v13
	v_add_co_ci_u32_e64 v5, null, v11, v14, s2
	s_cbranch_vccnz .LBB157_19
; %bb.18:
	global_load_dword v10, v[4:5], off
	s_waitcnt vmcnt(0)
	v_fmac_f32_e32 v12, s9, v10
.LBB157_19:
	global_store_dword v[4:5], v12, off
.LBB157_20:
	s_or_b32 exec_lo, exec_lo, s4
	v_add_nc_u32_e32 v9, 16, v9
	v_ashrrev_i32_e32 v10, 31, v9
	v_mul_lo_u32 v11, s41, v9
	v_mad_u64_u32 v[4:5], null, s40, v9, 0
	v_cmp_le_i32_e32 vcc_lo, v9, v0
	v_mul_lo_u32 v10, s40, v10
	s_and_b32 s0, vcc_lo, s0
	v_add3_u32 v5, v5, v10, v11
	v_lshlrev_b64 v[4:5], 2, v[4:5]
	v_add_co_u32 v4, s2, s3, v4
	v_add_co_ci_u32_e64 v5, null, s5, v5, s2
	s_and_saveexec_b32 s2, s0
	s_cbranch_execz .LBB157_24
; %bb.21:
	v_lshlrev_b64 v[0:1], 2, v[0:1]
	v_cmp_ne_u32_e32 vcc_lo, 1, v8
	v_mul_f32_e32 v7, s10, v7
	v_add_co_u32 v0, s0, v4, v0
	v_add_co_ci_u32_e64 v1, null, v5, v1, s0
	s_cbranch_vccnz .LBB157_23
; %bb.22:
	global_load_dword v10, v[0:1], off
	s_waitcnt vmcnt(0)
	v_fmac_f32_e32 v7, s9, v10
.LBB157_23:
	global_store_dword v[0:1], v7, off
.LBB157_24:
	s_or_b32 exec_lo, exec_lo, s2
	v_cmp_le_i32_e32 vcc_lo, v9, v2
	s_and_b32 s0, vcc_lo, s1
	s_and_saveexec_b32 s1, s0
	s_cbranch_execz .LBB157_28
; %bb.25:
	v_lshlrev_b64 v[0:1], 2, v[2:3]
	v_cmp_ne_u32_e32 vcc_lo, 1, v8
	v_mul_f32_e32 v2, s10, v6
	v_add_co_u32 v0, s0, v4, v0
	v_add_co_ci_u32_e64 v1, null, v5, v1, s0
	s_cbranch_vccnz .LBB157_27
; %bb.26:
	global_load_dword v3, v[0:1], off
	s_waitcnt vmcnt(0)
	v_fmac_f32_e32 v2, s9, v3
.LBB157_27:
	global_store_dword v[0:1], v2, off
.LBB157_28:
	s_endpgm
	.section	.rodata,"a",@progbits
	.p2align	6, 0x0
	.amdhsa_kernel _ZL29rocblas_internal_gemmt_kernelIlLi16ELi32ELi8ELc84ELc84ELc76ELb0ELb0EfPKfS1_PfEviT_T9_T10_S3_lS5_S3_lS4_T11_S3_li
		.amdhsa_group_segment_fixed_size 2048
		.amdhsa_private_segment_fixed_size 0
		.amdhsa_kernarg_size 108
		.amdhsa_user_sgpr_count 6
		.amdhsa_user_sgpr_private_segment_buffer 1
		.amdhsa_user_sgpr_dispatch_ptr 0
		.amdhsa_user_sgpr_queue_ptr 0
		.amdhsa_user_sgpr_kernarg_segment_ptr 1
		.amdhsa_user_sgpr_dispatch_id 0
		.amdhsa_user_sgpr_flat_scratch_init 0
		.amdhsa_user_sgpr_private_segment_size 0
		.amdhsa_wavefront_size32 1
		.amdhsa_uses_dynamic_stack 0
		.amdhsa_system_sgpr_private_segment_wavefront_offset 0
		.amdhsa_system_sgpr_workgroup_id_x 1
		.amdhsa_system_sgpr_workgroup_id_y 1
		.amdhsa_system_sgpr_workgroup_id_z 1
		.amdhsa_system_sgpr_workgroup_info 0
		.amdhsa_system_vgpr_workitem_id 1
		.amdhsa_next_free_vgpr 46
		.amdhsa_next_free_sgpr 44
		.amdhsa_reserve_vcc 1
		.amdhsa_reserve_flat_scratch 0
		.amdhsa_float_round_mode_32 0
		.amdhsa_float_round_mode_16_64 0
		.amdhsa_float_denorm_mode_32 3
		.amdhsa_float_denorm_mode_16_64 3
		.amdhsa_dx10_clamp 1
		.amdhsa_ieee_mode 1
		.amdhsa_fp16_overflow 0
		.amdhsa_workgroup_processor_mode 1
		.amdhsa_memory_ordered 1
		.amdhsa_forward_progress 1
		.amdhsa_shared_vgpr_count 0
		.amdhsa_exception_fp_ieee_invalid_op 0
		.amdhsa_exception_fp_denorm_src 0
		.amdhsa_exception_fp_ieee_div_zero 0
		.amdhsa_exception_fp_ieee_overflow 0
		.amdhsa_exception_fp_ieee_underflow 0
		.amdhsa_exception_fp_ieee_inexact 0
		.amdhsa_exception_int_div_zero 0
	.end_amdhsa_kernel
	.section	.text._ZL29rocblas_internal_gemmt_kernelIlLi16ELi32ELi8ELc84ELc84ELc76ELb0ELb0EfPKfS1_PfEviT_T9_T10_S3_lS5_S3_lS4_T11_S3_li,"axG",@progbits,_ZL29rocblas_internal_gemmt_kernelIlLi16ELi32ELi8ELc84ELc84ELc76ELb0ELb0EfPKfS1_PfEviT_T9_T10_S3_lS5_S3_lS4_T11_S3_li,comdat
.Lfunc_end157:
	.size	_ZL29rocblas_internal_gemmt_kernelIlLi16ELi32ELi8ELc84ELc84ELc76ELb0ELb0EfPKfS1_PfEviT_T9_T10_S3_lS5_S3_lS4_T11_S3_li, .Lfunc_end157-_ZL29rocblas_internal_gemmt_kernelIlLi16ELi32ELi8ELc84ELc84ELc76ELb0ELb0EfPKfS1_PfEviT_T9_T10_S3_lS5_S3_lS4_T11_S3_li
                                        ; -- End function
	.set _ZL29rocblas_internal_gemmt_kernelIlLi16ELi32ELi8ELc84ELc84ELc76ELb0ELb0EfPKfS1_PfEviT_T9_T10_S3_lS5_S3_lS4_T11_S3_li.num_vgpr, 46
	.set _ZL29rocblas_internal_gemmt_kernelIlLi16ELi32ELi8ELc84ELc84ELc76ELb0ELb0EfPKfS1_PfEviT_T9_T10_S3_lS5_S3_lS4_T11_S3_li.num_agpr, 0
	.set _ZL29rocblas_internal_gemmt_kernelIlLi16ELi32ELi8ELc84ELc84ELc76ELb0ELb0EfPKfS1_PfEviT_T9_T10_S3_lS5_S3_lS4_T11_S3_li.numbered_sgpr, 44
	.set _ZL29rocblas_internal_gemmt_kernelIlLi16ELi32ELi8ELc84ELc84ELc76ELb0ELb0EfPKfS1_PfEviT_T9_T10_S3_lS5_S3_lS4_T11_S3_li.num_named_barrier, 0
	.set _ZL29rocblas_internal_gemmt_kernelIlLi16ELi32ELi8ELc84ELc84ELc76ELb0ELb0EfPKfS1_PfEviT_T9_T10_S3_lS5_S3_lS4_T11_S3_li.private_seg_size, 0
	.set _ZL29rocblas_internal_gemmt_kernelIlLi16ELi32ELi8ELc84ELc84ELc76ELb0ELb0EfPKfS1_PfEviT_T9_T10_S3_lS5_S3_lS4_T11_S3_li.uses_vcc, 1
	.set _ZL29rocblas_internal_gemmt_kernelIlLi16ELi32ELi8ELc84ELc84ELc76ELb0ELb0EfPKfS1_PfEviT_T9_T10_S3_lS5_S3_lS4_T11_S3_li.uses_flat_scratch, 0
	.set _ZL29rocblas_internal_gemmt_kernelIlLi16ELi32ELi8ELc84ELc84ELc76ELb0ELb0EfPKfS1_PfEviT_T9_T10_S3_lS5_S3_lS4_T11_S3_li.has_dyn_sized_stack, 0
	.set _ZL29rocblas_internal_gemmt_kernelIlLi16ELi32ELi8ELc84ELc84ELc76ELb0ELb0EfPKfS1_PfEviT_T9_T10_S3_lS5_S3_lS4_T11_S3_li.has_recursion, 0
	.set _ZL29rocblas_internal_gemmt_kernelIlLi16ELi32ELi8ELc84ELc84ELc76ELb0ELb0EfPKfS1_PfEviT_T9_T10_S3_lS5_S3_lS4_T11_S3_li.has_indirect_call, 0
	.section	.AMDGPU.csdata,"",@progbits
; Kernel info:
; codeLenInByte = 1420
; TotalNumSgprs: 46
; NumVgprs: 46
; ScratchSize: 0
; MemoryBound: 0
; FloatMode: 240
; IeeeMode: 1
; LDSByteSize: 2048 bytes/workgroup (compile time only)
; SGPRBlocks: 0
; VGPRBlocks: 5
; NumSGPRsForWavesPerEU: 46
; NumVGPRsForWavesPerEU: 46
; Occupancy: 16
; WaveLimiterHint : 0
; COMPUTE_PGM_RSRC2:SCRATCH_EN: 0
; COMPUTE_PGM_RSRC2:USER_SGPR: 6
; COMPUTE_PGM_RSRC2:TRAP_HANDLER: 0
; COMPUTE_PGM_RSRC2:TGID_X_EN: 1
; COMPUTE_PGM_RSRC2:TGID_Y_EN: 1
; COMPUTE_PGM_RSRC2:TGID_Z_EN: 1
; COMPUTE_PGM_RSRC2:TIDIG_COMP_CNT: 1
	.section	.text._ZL29rocblas_internal_gemmt_kernelIlLi16ELi32ELi8ELc84ELc67ELc76ELb0ELb0EfPKfS1_PfEviT_T9_T10_S3_lS5_S3_lS4_T11_S3_li,"axG",@progbits,_ZL29rocblas_internal_gemmt_kernelIlLi16ELi32ELi8ELc84ELc67ELc76ELb0ELb0EfPKfS1_PfEviT_T9_T10_S3_lS5_S3_lS4_T11_S3_li,comdat
	.globl	_ZL29rocblas_internal_gemmt_kernelIlLi16ELi32ELi8ELc84ELc67ELc76ELb0ELb0EfPKfS1_PfEviT_T9_T10_S3_lS5_S3_lS4_T11_S3_li ; -- Begin function _ZL29rocblas_internal_gemmt_kernelIlLi16ELi32ELi8ELc84ELc67ELc76ELb0ELb0EfPKfS1_PfEviT_T9_T10_S3_lS5_S3_lS4_T11_S3_li
	.p2align	8
	.type	_ZL29rocblas_internal_gemmt_kernelIlLi16ELi32ELi8ELc84ELc67ELc76ELb0ELb0EfPKfS1_PfEviT_T9_T10_S3_lS5_S3_lS4_T11_S3_li,@function
_ZL29rocblas_internal_gemmt_kernelIlLi16ELi32ELi8ELc84ELc67ELc76ELb0ELb0EfPKfS1_PfEviT_T9_T10_S3_lS5_S3_lS4_T11_S3_li: ; @_ZL29rocblas_internal_gemmt_kernelIlLi16ELi32ELi8ELc84ELc67ELc76ELb0ELb0EfPKfS1_PfEviT_T9_T10_S3_lS5_S3_lS4_T11_S3_li
; %bb.0:
	s_clause 0x1
	s_load_dwordx8 s[36:43], s[4:5], 0x48
	s_load_dwordx16 s[12:27], s[4:5], 0x8
	s_waitcnt lgkmcnt(0)
	s_load_dword s9, s[36:37], 0x0
	s_load_dword s10, s[14:15], 0x0
	s_waitcnt lgkmcnt(0)
	v_cmp_neq_f32_e64 s0, s9, 1.0
	s_and_b32 vcc_lo, exec_lo, s0
	s_cbranch_vccnz .LBB158_2
; %bb.1:
	v_cmp_neq_f32_e64 s0, s10, 0
	s_cmp_lg_u64 s[12:13], 0
	s_cselect_b32 s1, -1, 0
	s_and_b32 s0, s1, s0
.LBB158_2:
	s_andn2_b32 vcc_lo, exec_lo, s0
	s_cbranch_vccnz .LBB158_28
; %bb.3:
	s_load_dword s4, s[4:5], 0x0
	v_cmp_lt_i64_e64 s0, s[12:13], 1
	v_cmp_eq_f32_e64 s1, s10, 0
	v_mov_b32_e32 v5, 0
	v_mov_b32_e32 v4, 0
	;; [unrolled: 1-line block ×4, first 2 shown]
	s_or_b32 s0, s1, s0
	s_lshl_b32 s5, s6, 5
	s_and_b32 vcc_lo, exec_lo, s0
	s_lshl_b32 s6, s7, 5
	s_cbranch_vccnz .LBB158_12
; %bb.4:
	v_lshl_add_u32 v5, v1, 4, v0
	s_mul_i32 s1, s27, s8
	s_mul_hi_u32 s2, s26, s8
	s_mul_i32 s0, s26, s8
	s_add_i32 s1, s2, s1
	v_and_b32_e32 v6, 31, v5
	s_lshl_b64 s[0:1], s[0:1], 2
	s_mul_i32 s2, s21, s8
	s_add_u32 s3, s22, s0
	s_addc_u32 s7, s23, s1
	v_or_b32_e32 v7, s5, v6
	s_mul_hi_u32 s1, s20, s8
	s_mul_i32 s0, s20, s8
	s_add_i32 s1, s1, s2
	v_lshrrev_b32_e32 v11, 3, v5
	v_mul_lo_u32 v9, s19, v7
	v_mad_u64_u32 v[2:3], null, s18, v7, 0
	s_lshl_b64 s[0:1], s[0:1], 2
	v_add_nc_u32_e32 v4, s6, v11
	s_add_u32 s2, s16, s0
	s_addc_u32 s1, s17, s1
	s_ashr_i32 s0, s5, 31
	v_and_b32_e32 v8, 7, v0
	s_mul_i32 s0, s18, s0
	v_lshlrev_b32_e32 v6, 2, v6
	v_add3_u32 v3, v3, s0, v9
	v_lshrrev_b32_e32 v9, 5, v5
	v_ashrrev_i32_e32 v5, 31, v4
	v_lshlrev_b32_e32 v12, 2, v8
	s_waitcnt lgkmcnt(0)
	v_cmp_gt_i32_e64 s0, s4, v7
	v_lshlrev_b64 v[2:3], 2, v[2:3]
	v_lshl_or_b32 v10, v9, 7, v6
	v_lshlrev_b64 v[5:6], 2, v[4:5]
	v_lshl_or_b32 v7, v11, 5, v12
	v_lshlrev_b32_e32 v16, 2, v0
	v_lshl_add_u32 v17, v1, 5, 0x400
	v_add_co_u32 v11, vcc_lo, s2, v2
	v_add_co_ci_u32_e64 v12, null, s1, v3, vcc_lo
	v_add_co_u32 v14, vcc_lo, s3, v5
	v_cmp_gt_i32_e64 s1, s4, v4
	v_add_nc_u32_e32 v13, 0x400, v7
	v_add_co_ci_u32_e64 v15, null, s7, v6, vcc_lo
	v_mov_b32_e32 v3, 0
	v_mov_b32_e32 v6, 0
	;; [unrolled: 1-line block ×5, first 2 shown]
	s_mov_b64 s[2:3], 0
	s_branch .LBB158_6
.LBB158_5:                              ;   in Loop: Header=BB158_6 Depth=1
	s_or_b32 exec_lo, exec_lo, s7
	s_waitcnt vmcnt(0)
	ds_write_b32 v13, v19
	s_waitcnt lgkmcnt(0)
	s_barrier
	buffer_gl0_inv
	ds_read_b128 v[18:21], v17
	ds_read2_b32 v[34:35], v16 offset1:16
	ds_read_b128 v[22:25], v17 offset:512
	ds_read2_b32 v[36:37], v16 offset0:32 offset1:48
	ds_read2_b32 v[38:39], v16 offset0:64 offset1:80
	;; [unrolled: 1-line block ×3, first 2 shown]
	ds_read_b128 v[26:29], v17 offset:16
	ds_read2_b32 v[42:43], v16 offset0:128 offset1:144
	ds_read_b128 v[30:33], v17 offset:528
	ds_read2_b32 v[44:45], v16 offset0:160 offset1:176
	s_add_u32 s2, s2, 8
	s_addc_u32 s3, s3, 0
	v_cmp_gt_i64_e64 s7, s[12:13], s[2:3]
	s_and_b32 vcc_lo, exec_lo, s7
	s_waitcnt lgkmcnt(8)
	v_fmac_f32_e32 v5, v34, v18
	v_fmac_f32_e32 v4, v35, v18
	s_waitcnt lgkmcnt(7)
	v_fmac_f32_e32 v7, v34, v22
	v_fmac_f32_e32 v6, v35, v22
	ds_read2_b32 v[34:35], v16 offset0:192 offset1:208
	s_waitcnt lgkmcnt(7)
	v_fmac_f32_e32 v5, v36, v19
	v_fmac_f32_e32 v4, v37, v19
	;; [unrolled: 1-line block ×4, first 2 shown]
	ds_read2_b32 v[18:19], v16 offset0:224 offset1:240
	s_waitcnt lgkmcnt(7)
	v_fmac_f32_e32 v5, v38, v20
	v_fmac_f32_e32 v4, v39, v20
	;; [unrolled: 1-line block ×4, first 2 shown]
	s_waitcnt lgkmcnt(0)
	v_fmac_f32_e32 v5, v40, v21
	v_fmac_f32_e32 v4, v41, v21
	;; [unrolled: 1-line block ×4, first 2 shown]
	s_barrier
	v_fmac_f32_e32 v5, v42, v26
	v_fmac_f32_e32 v4, v43, v26
	;; [unrolled: 1-line block ×4, first 2 shown]
	buffer_gl0_inv
	v_fmac_f32_e32 v5, v44, v27
	v_fmac_f32_e32 v4, v45, v27
	v_fmac_f32_e32 v7, v44, v31
	v_fmac_f32_e32 v6, v45, v31
	v_fmac_f32_e32 v5, v34, v28
	v_fmac_f32_e32 v4, v35, v28
	v_fmac_f32_e32 v7, v34, v32
	v_fmac_f32_e32 v6, v35, v32
	v_fmac_f32_e32 v5, v18, v29
	v_fmac_f32_e32 v4, v19, v29
	v_fmac_f32_e32 v7, v18, v33
	v_fmac_f32_e32 v6, v19, v33
	s_cbranch_vccz .LBB158_12
.LBB158_6:                              ; =>This Inner Loop Header: Depth=1
	v_mov_b32_e32 v18, 0
	s_and_saveexec_b32 s7, s0
	s_cbranch_execz .LBB158_10
; %bb.7:                                ;   in Loop: Header=BB158_6 Depth=1
	v_add_nc_u32_e32 v2, s2, v9
	v_mov_b32_e32 v18, 0
	s_mov_b32 s11, exec_lo
	v_cmpx_gt_u64_e64 s[12:13], v[2:3]
	s_cbranch_execz .LBB158_9
; %bb.8:                                ;   in Loop: Header=BB158_6 Depth=1
	v_lshlrev_b64 v[18:19], 2, v[2:3]
	v_add_co_u32 v18, vcc_lo, v11, v18
	v_add_co_ci_u32_e64 v19, null, v12, v19, vcc_lo
	global_load_dword v18, v[18:19], off
.LBB158_9:                              ;   in Loop: Header=BB158_6 Depth=1
	s_or_b32 exec_lo, exec_lo, s11
.LBB158_10:                             ;   in Loop: Header=BB158_6 Depth=1
	s_or_b32 exec_lo, exec_lo, s7
	v_add_nc_u32_e32 v2, s2, v8
	v_mov_b32_e32 v19, 0
	s_waitcnt vmcnt(0)
	ds_write_b32 v10, v18
	v_cmp_gt_u64_e32 vcc_lo, s[12:13], v[2:3]
	s_and_b32 s11, vcc_lo, s1
	s_and_saveexec_b32 s7, s11
	s_cbranch_execz .LBB158_5
; %bb.11:                               ;   in Loop: Header=BB158_6 Depth=1
	v_mad_u64_u32 v[18:19], null, s24, v2, 0
	v_mad_u64_u32 v[19:20], null, s25, v2, v[19:20]
	v_lshlrev_b64 v[18:19], 2, v[18:19]
	v_add_co_u32 v18, vcc_lo, v14, v18
	v_add_co_ci_u32_e64 v19, null, v15, v19, vcc_lo
	global_load_dword v19, v[18:19], off
	s_branch .LBB158_5
.LBB158_12:
	v_add_nc_u32_e32 v9, s6, v1
	s_mul_i32 s1, s43, s8
	s_mul_hi_u32 s2, s42, s8
	s_mul_i32 s0, s42, s8
	s_add_i32 s1, s2, s1
	v_ashrrev_i32_e32 v3, 31, v9
	v_mul_lo_u32 v8, s41, v9
	v_mad_u64_u32 v[1:2], null, s40, v9, 0
	v_add_nc_u32_e32 v0, s5, v0
	v_mul_lo_u32 v3, s40, v3
	s_lshl_b64 s[6:7], s[0:1], 2
	v_cmp_neq_f32_e64 s2, s9, 0
	s_add_u32 s3, s38, s6
	v_cmp_le_i32_e32 vcc_lo, v9, v0
	s_waitcnt lgkmcnt(0)
	v_cmp_gt_i32_e64 s0, s4, v0
	s_addc_u32 s5, s39, s7
	v_add3_u32 v2, v2, v3, v8
	v_cndmask_b32_e64 v8, 0, 1, s2
	s_and_b32 s6, vcc_lo, s0
	v_lshlrev_b64 v[2:3], 2, v[1:2]
	v_ashrrev_i32_e32 v1, 31, v0
	v_add_co_u32 v10, s1, s3, v2
	v_add_co_ci_u32_e64 v11, null, s5, v3, s1
	s_and_saveexec_b32 s1, s6
	s_cbranch_execz .LBB158_16
; %bb.13:
	v_lshlrev_b64 v[2:3], 2, v[0:1]
	v_mul_f32_e32 v5, s10, v5
	v_add_co_u32 v2, vcc_lo, v10, v2
	v_add_co_ci_u32_e64 v3, null, v11, v3, vcc_lo
	s_andn2_b32 vcc_lo, exec_lo, s2
	s_cbranch_vccnz .LBB158_15
; %bb.14:
	global_load_dword v12, v[2:3], off
	s_waitcnt vmcnt(0)
	v_fmac_f32_e32 v5, s9, v12
.LBB158_15:
	global_store_dword v[2:3], v5, off
.LBB158_16:
	s_or_b32 exec_lo, exec_lo, s1
	v_add_nc_u32_e32 v2, 16, v0
	v_cmp_le_i32_e32 vcc_lo, v9, v2
	v_cmp_gt_i32_e64 s1, s4, v2
	v_ashrrev_i32_e32 v3, 31, v2
	s_and_b32 s2, vcc_lo, s1
	s_and_saveexec_b32 s4, s2
	s_cbranch_execz .LBB158_20
; %bb.17:
	v_lshlrev_b64 v[13:14], 2, v[2:3]
	v_mul_f32_e32 v12, s10, v4
	v_cmp_ne_u32_e32 vcc_lo, 1, v8
	v_add_co_u32 v4, s2, v10, v13
	v_add_co_ci_u32_e64 v5, null, v11, v14, s2
	s_cbranch_vccnz .LBB158_19
; %bb.18:
	global_load_dword v10, v[4:5], off
	s_waitcnt vmcnt(0)
	v_fmac_f32_e32 v12, s9, v10
.LBB158_19:
	global_store_dword v[4:5], v12, off
.LBB158_20:
	s_or_b32 exec_lo, exec_lo, s4
	v_add_nc_u32_e32 v9, 16, v9
	v_ashrrev_i32_e32 v10, 31, v9
	v_mul_lo_u32 v11, s41, v9
	v_mad_u64_u32 v[4:5], null, s40, v9, 0
	v_cmp_le_i32_e32 vcc_lo, v9, v0
	v_mul_lo_u32 v10, s40, v10
	s_and_b32 s0, vcc_lo, s0
	v_add3_u32 v5, v5, v10, v11
	v_lshlrev_b64 v[4:5], 2, v[4:5]
	v_add_co_u32 v4, s2, s3, v4
	v_add_co_ci_u32_e64 v5, null, s5, v5, s2
	s_and_saveexec_b32 s2, s0
	s_cbranch_execz .LBB158_24
; %bb.21:
	v_lshlrev_b64 v[0:1], 2, v[0:1]
	v_cmp_ne_u32_e32 vcc_lo, 1, v8
	v_mul_f32_e32 v7, s10, v7
	v_add_co_u32 v0, s0, v4, v0
	v_add_co_ci_u32_e64 v1, null, v5, v1, s0
	s_cbranch_vccnz .LBB158_23
; %bb.22:
	global_load_dword v10, v[0:1], off
	s_waitcnt vmcnt(0)
	v_fmac_f32_e32 v7, s9, v10
.LBB158_23:
	global_store_dword v[0:1], v7, off
.LBB158_24:
	s_or_b32 exec_lo, exec_lo, s2
	v_cmp_le_i32_e32 vcc_lo, v9, v2
	s_and_b32 s0, vcc_lo, s1
	s_and_saveexec_b32 s1, s0
	s_cbranch_execz .LBB158_28
; %bb.25:
	v_lshlrev_b64 v[0:1], 2, v[2:3]
	v_cmp_ne_u32_e32 vcc_lo, 1, v8
	v_mul_f32_e32 v2, s10, v6
	v_add_co_u32 v0, s0, v4, v0
	v_add_co_ci_u32_e64 v1, null, v5, v1, s0
	s_cbranch_vccnz .LBB158_27
; %bb.26:
	global_load_dword v3, v[0:1], off
	s_waitcnt vmcnt(0)
	v_fmac_f32_e32 v2, s9, v3
.LBB158_27:
	global_store_dword v[0:1], v2, off
.LBB158_28:
	s_endpgm
	.section	.rodata,"a",@progbits
	.p2align	6, 0x0
	.amdhsa_kernel _ZL29rocblas_internal_gemmt_kernelIlLi16ELi32ELi8ELc84ELc67ELc76ELb0ELb0EfPKfS1_PfEviT_T9_T10_S3_lS5_S3_lS4_T11_S3_li
		.amdhsa_group_segment_fixed_size 2048
		.amdhsa_private_segment_fixed_size 0
		.amdhsa_kernarg_size 108
		.amdhsa_user_sgpr_count 6
		.amdhsa_user_sgpr_private_segment_buffer 1
		.amdhsa_user_sgpr_dispatch_ptr 0
		.amdhsa_user_sgpr_queue_ptr 0
		.amdhsa_user_sgpr_kernarg_segment_ptr 1
		.amdhsa_user_sgpr_dispatch_id 0
		.amdhsa_user_sgpr_flat_scratch_init 0
		.amdhsa_user_sgpr_private_segment_size 0
		.amdhsa_wavefront_size32 1
		.amdhsa_uses_dynamic_stack 0
		.amdhsa_system_sgpr_private_segment_wavefront_offset 0
		.amdhsa_system_sgpr_workgroup_id_x 1
		.amdhsa_system_sgpr_workgroup_id_y 1
		.amdhsa_system_sgpr_workgroup_id_z 1
		.amdhsa_system_sgpr_workgroup_info 0
		.amdhsa_system_vgpr_workitem_id 1
		.amdhsa_next_free_vgpr 46
		.amdhsa_next_free_sgpr 44
		.amdhsa_reserve_vcc 1
		.amdhsa_reserve_flat_scratch 0
		.amdhsa_float_round_mode_32 0
		.amdhsa_float_round_mode_16_64 0
		.amdhsa_float_denorm_mode_32 3
		.amdhsa_float_denorm_mode_16_64 3
		.amdhsa_dx10_clamp 1
		.amdhsa_ieee_mode 1
		.amdhsa_fp16_overflow 0
		.amdhsa_workgroup_processor_mode 1
		.amdhsa_memory_ordered 1
		.amdhsa_forward_progress 1
		.amdhsa_shared_vgpr_count 0
		.amdhsa_exception_fp_ieee_invalid_op 0
		.amdhsa_exception_fp_denorm_src 0
		.amdhsa_exception_fp_ieee_div_zero 0
		.amdhsa_exception_fp_ieee_overflow 0
		.amdhsa_exception_fp_ieee_underflow 0
		.amdhsa_exception_fp_ieee_inexact 0
		.amdhsa_exception_int_div_zero 0
	.end_amdhsa_kernel
	.section	.text._ZL29rocblas_internal_gemmt_kernelIlLi16ELi32ELi8ELc84ELc67ELc76ELb0ELb0EfPKfS1_PfEviT_T9_T10_S3_lS5_S3_lS4_T11_S3_li,"axG",@progbits,_ZL29rocblas_internal_gemmt_kernelIlLi16ELi32ELi8ELc84ELc67ELc76ELb0ELb0EfPKfS1_PfEviT_T9_T10_S3_lS5_S3_lS4_T11_S3_li,comdat
.Lfunc_end158:
	.size	_ZL29rocblas_internal_gemmt_kernelIlLi16ELi32ELi8ELc84ELc67ELc76ELb0ELb0EfPKfS1_PfEviT_T9_T10_S3_lS5_S3_lS4_T11_S3_li, .Lfunc_end158-_ZL29rocblas_internal_gemmt_kernelIlLi16ELi32ELi8ELc84ELc67ELc76ELb0ELb0EfPKfS1_PfEviT_T9_T10_S3_lS5_S3_lS4_T11_S3_li
                                        ; -- End function
	.set _ZL29rocblas_internal_gemmt_kernelIlLi16ELi32ELi8ELc84ELc67ELc76ELb0ELb0EfPKfS1_PfEviT_T9_T10_S3_lS5_S3_lS4_T11_S3_li.num_vgpr, 46
	.set _ZL29rocblas_internal_gemmt_kernelIlLi16ELi32ELi8ELc84ELc67ELc76ELb0ELb0EfPKfS1_PfEviT_T9_T10_S3_lS5_S3_lS4_T11_S3_li.num_agpr, 0
	.set _ZL29rocblas_internal_gemmt_kernelIlLi16ELi32ELi8ELc84ELc67ELc76ELb0ELb0EfPKfS1_PfEviT_T9_T10_S3_lS5_S3_lS4_T11_S3_li.numbered_sgpr, 44
	.set _ZL29rocblas_internal_gemmt_kernelIlLi16ELi32ELi8ELc84ELc67ELc76ELb0ELb0EfPKfS1_PfEviT_T9_T10_S3_lS5_S3_lS4_T11_S3_li.num_named_barrier, 0
	.set _ZL29rocblas_internal_gemmt_kernelIlLi16ELi32ELi8ELc84ELc67ELc76ELb0ELb0EfPKfS1_PfEviT_T9_T10_S3_lS5_S3_lS4_T11_S3_li.private_seg_size, 0
	.set _ZL29rocblas_internal_gemmt_kernelIlLi16ELi32ELi8ELc84ELc67ELc76ELb0ELb0EfPKfS1_PfEviT_T9_T10_S3_lS5_S3_lS4_T11_S3_li.uses_vcc, 1
	.set _ZL29rocblas_internal_gemmt_kernelIlLi16ELi32ELi8ELc84ELc67ELc76ELb0ELb0EfPKfS1_PfEviT_T9_T10_S3_lS5_S3_lS4_T11_S3_li.uses_flat_scratch, 0
	.set _ZL29rocblas_internal_gemmt_kernelIlLi16ELi32ELi8ELc84ELc67ELc76ELb0ELb0EfPKfS1_PfEviT_T9_T10_S3_lS5_S3_lS4_T11_S3_li.has_dyn_sized_stack, 0
	.set _ZL29rocblas_internal_gemmt_kernelIlLi16ELi32ELi8ELc84ELc67ELc76ELb0ELb0EfPKfS1_PfEviT_T9_T10_S3_lS5_S3_lS4_T11_S3_li.has_recursion, 0
	.set _ZL29rocblas_internal_gemmt_kernelIlLi16ELi32ELi8ELc84ELc67ELc76ELb0ELb0EfPKfS1_PfEviT_T9_T10_S3_lS5_S3_lS4_T11_S3_li.has_indirect_call, 0
	.section	.AMDGPU.csdata,"",@progbits
; Kernel info:
; codeLenInByte = 1420
; TotalNumSgprs: 46
; NumVgprs: 46
; ScratchSize: 0
; MemoryBound: 0
; FloatMode: 240
; IeeeMode: 1
; LDSByteSize: 2048 bytes/workgroup (compile time only)
; SGPRBlocks: 0
; VGPRBlocks: 5
; NumSGPRsForWavesPerEU: 46
; NumVGPRsForWavesPerEU: 46
; Occupancy: 16
; WaveLimiterHint : 0
; COMPUTE_PGM_RSRC2:SCRATCH_EN: 0
; COMPUTE_PGM_RSRC2:USER_SGPR: 6
; COMPUTE_PGM_RSRC2:TRAP_HANDLER: 0
; COMPUTE_PGM_RSRC2:TGID_X_EN: 1
; COMPUTE_PGM_RSRC2:TGID_Y_EN: 1
; COMPUTE_PGM_RSRC2:TGID_Z_EN: 1
; COMPUTE_PGM_RSRC2:TIDIG_COMP_CNT: 1
	.section	.text._ZL29rocblas_internal_gemmt_kernelIlLi16ELi32ELi8ELc67ELc78ELc76ELb0ELb0EfPKfS1_PfEviT_T9_T10_S3_lS5_S3_lS4_T11_S3_li,"axG",@progbits,_ZL29rocblas_internal_gemmt_kernelIlLi16ELi32ELi8ELc67ELc78ELc76ELb0ELb0EfPKfS1_PfEviT_T9_T10_S3_lS5_S3_lS4_T11_S3_li,comdat
	.globl	_ZL29rocblas_internal_gemmt_kernelIlLi16ELi32ELi8ELc67ELc78ELc76ELb0ELb0EfPKfS1_PfEviT_T9_T10_S3_lS5_S3_lS4_T11_S3_li ; -- Begin function _ZL29rocblas_internal_gemmt_kernelIlLi16ELi32ELi8ELc67ELc78ELc76ELb0ELb0EfPKfS1_PfEviT_T9_T10_S3_lS5_S3_lS4_T11_S3_li
	.p2align	8
	.type	_ZL29rocblas_internal_gemmt_kernelIlLi16ELi32ELi8ELc67ELc78ELc76ELb0ELb0EfPKfS1_PfEviT_T9_T10_S3_lS5_S3_lS4_T11_S3_li,@function
_ZL29rocblas_internal_gemmt_kernelIlLi16ELi32ELi8ELc67ELc78ELc76ELb0ELb0EfPKfS1_PfEviT_T9_T10_S3_lS5_S3_lS4_T11_S3_li: ; @_ZL29rocblas_internal_gemmt_kernelIlLi16ELi32ELi8ELc67ELc78ELc76ELb0ELb0EfPKfS1_PfEviT_T9_T10_S3_lS5_S3_lS4_T11_S3_li
; %bb.0:
	s_clause 0x1
	s_load_dwordx8 s[36:43], s[4:5], 0x48
	s_load_dwordx16 s[12:27], s[4:5], 0x8
	s_waitcnt lgkmcnt(0)
	s_load_dword s9, s[36:37], 0x0
	s_load_dword s10, s[14:15], 0x0
	s_waitcnt lgkmcnt(0)
	v_cmp_neq_f32_e64 s0, s9, 1.0
	s_and_b32 vcc_lo, exec_lo, s0
	s_cbranch_vccnz .LBB159_2
; %bb.1:
	v_cmp_neq_f32_e64 s0, s10, 0
	s_cmp_lg_u64 s[12:13], 0
	s_cselect_b32 s1, -1, 0
	s_and_b32 s0, s1, s0
.LBB159_2:
	s_andn2_b32 vcc_lo, exec_lo, s0
	s_cbranch_vccnz .LBB159_28
; %bb.3:
	s_load_dword s4, s[4:5], 0x0
	v_cmp_lt_i64_e64 s0, s[12:13], 1
	v_cmp_eq_f32_e64 s1, s10, 0
	v_mov_b32_e32 v5, 0
	v_mov_b32_e32 v4, 0
	;; [unrolled: 1-line block ×4, first 2 shown]
	s_or_b32 s0, s1, s0
	s_lshl_b32 s5, s6, 5
	s_and_b32 vcc_lo, exec_lo, s0
	s_lshl_b32 s6, s7, 5
	s_cbranch_vccnz .LBB159_12
; %bb.4:
	v_lshl_add_u32 v6, v1, 4, v0
	s_mul_i32 s1, s27, s8
	s_mul_hi_u32 s2, s26, s8
	s_mul_i32 s0, s26, s8
	s_add_i32 s1, s2, s1
	v_lshrrev_b32_e32 v7, 3, v6
	v_and_b32_e32 v10, 31, v6
	s_lshl_b64 s[0:1], s[0:1], 2
	s_mul_hi_u32 s3, s20, s8
	s_add_u32 s2, s22, s0
	v_add_nc_u32_e32 v13, s6, v7
	v_or_b32_e32 v11, s5, v10
	s_mul_i32 s0, s21, s8
	s_addc_u32 s7, s23, s1
	s_add_i32 s1, s3, s0
	v_ashrrev_i32_e32 v4, 31, v13
	s_mul_i32 s0, s20, s8
	v_mul_lo_u32 v9, s19, v11
	v_mad_u64_u32 v[2:3], null, s18, v11, 0
	s_lshl_b64 s[0:1], s[0:1], 2
	v_mul_lo_u32 v12, s24, v4
	v_mul_lo_u32 v14, s25, v13
	v_mad_u64_u32 v[4:5], null, s24, v13, 0
	s_add_u32 s3, s16, s0
	s_addc_u32 s1, s17, s1
	s_ashr_i32 s0, s5, 31
	v_and_b32_e32 v8, 7, v0
	s_mul_i32 s0, s18, s0
	v_lshlrev_b32_e32 v16, 2, v0
	v_add3_u32 v3, v3, s0, v9
	v_add3_u32 v5, v5, v12, v14
	v_lshrrev_b32_e32 v9, 5, v6
	v_lshlrev_b32_e32 v6, 2, v10
	v_lshlrev_b32_e32 v15, 2, v8
	v_lshlrev_b64 v[2:3], 2, v[2:3]
	v_lshlrev_b64 v[4:5], 2, v[4:5]
	s_waitcnt lgkmcnt(0)
	v_cmp_gt_i32_e64 s0, s4, v11
	v_lshl_or_b32 v10, v9, 7, v6
	v_lshl_or_b32 v6, v7, 5, v15
	v_lshl_add_u32 v17, v1, 5, 0x400
	v_add_co_u32 v11, vcc_lo, s3, v2
	v_add_co_ci_u32_e64 v12, null, s1, v3, vcc_lo
	v_add_co_u32 v14, vcc_lo, s2, v4
	v_cmp_gt_i32_e64 s1, s4, v13
	v_add_nc_u32_e32 v13, 0x400, v6
	v_add_co_ci_u32_e64 v15, null, s7, v5, vcc_lo
	v_mov_b32_e32 v3, 0
	v_mov_b32_e32 v6, 0
	;; [unrolled: 1-line block ×5, first 2 shown]
	s_mov_b64 s[2:3], 0
	s_branch .LBB159_6
.LBB159_5:                              ;   in Loop: Header=BB159_6 Depth=1
	s_or_b32 exec_lo, exec_lo, s7
	s_waitcnt vmcnt(0)
	ds_write_b32 v13, v19
	s_waitcnt lgkmcnt(0)
	s_barrier
	buffer_gl0_inv
	ds_read_b128 v[18:21], v17
	ds_read2_b32 v[34:35], v16 offset1:16
	ds_read_b128 v[22:25], v17 offset:512
	ds_read2_b32 v[36:37], v16 offset0:32 offset1:48
	ds_read2_b32 v[38:39], v16 offset0:64 offset1:80
	;; [unrolled: 1-line block ×3, first 2 shown]
	ds_read_b128 v[26:29], v17 offset:16
	ds_read2_b32 v[42:43], v16 offset0:128 offset1:144
	ds_read_b128 v[30:33], v17 offset:528
	ds_read2_b32 v[44:45], v16 offset0:160 offset1:176
	s_add_u32 s2, s2, 8
	s_addc_u32 s3, s3, 0
	v_cmp_gt_i64_e64 s7, s[12:13], s[2:3]
	s_and_b32 vcc_lo, exec_lo, s7
	s_waitcnt lgkmcnt(8)
	v_fmac_f32_e32 v5, v34, v18
	v_fmac_f32_e32 v4, v35, v18
	s_waitcnt lgkmcnt(7)
	v_fmac_f32_e32 v7, v34, v22
	v_fmac_f32_e32 v6, v35, v22
	ds_read2_b32 v[34:35], v16 offset0:192 offset1:208
	s_waitcnt lgkmcnt(7)
	v_fmac_f32_e32 v5, v36, v19
	v_fmac_f32_e32 v4, v37, v19
	;; [unrolled: 1-line block ×4, first 2 shown]
	ds_read2_b32 v[18:19], v16 offset0:224 offset1:240
	s_waitcnt lgkmcnt(7)
	v_fmac_f32_e32 v5, v38, v20
	v_fmac_f32_e32 v4, v39, v20
	;; [unrolled: 1-line block ×4, first 2 shown]
	s_waitcnt lgkmcnt(0)
	v_fmac_f32_e32 v5, v40, v21
	v_fmac_f32_e32 v4, v41, v21
	;; [unrolled: 1-line block ×4, first 2 shown]
	s_barrier
	v_fmac_f32_e32 v5, v42, v26
	v_fmac_f32_e32 v4, v43, v26
	;; [unrolled: 1-line block ×4, first 2 shown]
	buffer_gl0_inv
	v_fmac_f32_e32 v5, v44, v27
	v_fmac_f32_e32 v4, v45, v27
	;; [unrolled: 1-line block ×12, first 2 shown]
	s_cbranch_vccz .LBB159_12
.LBB159_6:                              ; =>This Inner Loop Header: Depth=1
	v_mov_b32_e32 v18, 0
	s_and_saveexec_b32 s7, s0
	s_cbranch_execz .LBB159_10
; %bb.7:                                ;   in Loop: Header=BB159_6 Depth=1
	v_add_nc_u32_e32 v2, s2, v9
	v_mov_b32_e32 v18, 0
	s_mov_b32 s11, exec_lo
	v_cmpx_gt_u64_e64 s[12:13], v[2:3]
	s_cbranch_execz .LBB159_9
; %bb.8:                                ;   in Loop: Header=BB159_6 Depth=1
	v_lshlrev_b64 v[18:19], 2, v[2:3]
	v_add_co_u32 v18, vcc_lo, v11, v18
	v_add_co_ci_u32_e64 v19, null, v12, v19, vcc_lo
	global_load_dword v18, v[18:19], off
.LBB159_9:                              ;   in Loop: Header=BB159_6 Depth=1
	s_or_b32 exec_lo, exec_lo, s11
.LBB159_10:                             ;   in Loop: Header=BB159_6 Depth=1
	s_or_b32 exec_lo, exec_lo, s7
	v_add_nc_u32_e32 v2, s2, v8
	v_mov_b32_e32 v19, 0
	s_waitcnt vmcnt(0)
	ds_write_b32 v10, v18
	v_cmp_gt_u64_e32 vcc_lo, s[12:13], v[2:3]
	s_and_b32 s11, vcc_lo, s1
	s_and_saveexec_b32 s7, s11
	s_cbranch_execz .LBB159_5
; %bb.11:                               ;   in Loop: Header=BB159_6 Depth=1
	v_lshlrev_b64 v[18:19], 2, v[2:3]
	v_add_co_u32 v18, vcc_lo, v14, v18
	v_add_co_ci_u32_e64 v19, null, v15, v19, vcc_lo
	global_load_dword v19, v[18:19], off
	s_branch .LBB159_5
.LBB159_12:
	v_add_nc_u32_e32 v9, s6, v1
	s_mul_i32 s1, s43, s8
	s_mul_hi_u32 s2, s42, s8
	s_mul_i32 s0, s42, s8
	s_add_i32 s1, s2, s1
	v_ashrrev_i32_e32 v3, 31, v9
	v_mul_lo_u32 v8, s41, v9
	v_mad_u64_u32 v[1:2], null, s40, v9, 0
	v_add_nc_u32_e32 v0, s5, v0
	v_mul_lo_u32 v3, s40, v3
	s_lshl_b64 s[6:7], s[0:1], 2
	v_cmp_neq_f32_e64 s2, s9, 0
	s_add_u32 s3, s38, s6
	v_cmp_le_i32_e32 vcc_lo, v9, v0
	s_waitcnt lgkmcnt(0)
	v_cmp_gt_i32_e64 s0, s4, v0
	s_addc_u32 s5, s39, s7
	v_add3_u32 v2, v2, v3, v8
	v_cndmask_b32_e64 v8, 0, 1, s2
	s_and_b32 s6, vcc_lo, s0
	v_lshlrev_b64 v[2:3], 2, v[1:2]
	v_ashrrev_i32_e32 v1, 31, v0
	v_add_co_u32 v10, s1, s3, v2
	v_add_co_ci_u32_e64 v11, null, s5, v3, s1
	s_and_saveexec_b32 s1, s6
	s_cbranch_execz .LBB159_16
; %bb.13:
	v_lshlrev_b64 v[2:3], 2, v[0:1]
	v_mul_f32_e32 v5, s10, v5
	v_add_co_u32 v2, vcc_lo, v10, v2
	v_add_co_ci_u32_e64 v3, null, v11, v3, vcc_lo
	s_andn2_b32 vcc_lo, exec_lo, s2
	s_cbranch_vccnz .LBB159_15
; %bb.14:
	global_load_dword v12, v[2:3], off
	s_waitcnt vmcnt(0)
	v_fmac_f32_e32 v5, s9, v12
.LBB159_15:
	global_store_dword v[2:3], v5, off
.LBB159_16:
	s_or_b32 exec_lo, exec_lo, s1
	v_add_nc_u32_e32 v2, 16, v0
	v_cmp_le_i32_e32 vcc_lo, v9, v2
	v_cmp_gt_i32_e64 s1, s4, v2
	v_ashrrev_i32_e32 v3, 31, v2
	s_and_b32 s2, vcc_lo, s1
	s_and_saveexec_b32 s4, s2
	s_cbranch_execz .LBB159_20
; %bb.17:
	v_lshlrev_b64 v[13:14], 2, v[2:3]
	v_mul_f32_e32 v12, s10, v4
	v_cmp_ne_u32_e32 vcc_lo, 1, v8
	v_add_co_u32 v4, s2, v10, v13
	v_add_co_ci_u32_e64 v5, null, v11, v14, s2
	s_cbranch_vccnz .LBB159_19
; %bb.18:
	global_load_dword v10, v[4:5], off
	s_waitcnt vmcnt(0)
	v_fmac_f32_e32 v12, s9, v10
.LBB159_19:
	global_store_dword v[4:5], v12, off
.LBB159_20:
	s_or_b32 exec_lo, exec_lo, s4
	v_add_nc_u32_e32 v9, 16, v9
	v_ashrrev_i32_e32 v10, 31, v9
	v_mul_lo_u32 v11, s41, v9
	v_mad_u64_u32 v[4:5], null, s40, v9, 0
	v_cmp_le_i32_e32 vcc_lo, v9, v0
	v_mul_lo_u32 v10, s40, v10
	s_and_b32 s0, vcc_lo, s0
	v_add3_u32 v5, v5, v10, v11
	v_lshlrev_b64 v[4:5], 2, v[4:5]
	v_add_co_u32 v4, s2, s3, v4
	v_add_co_ci_u32_e64 v5, null, s5, v5, s2
	s_and_saveexec_b32 s2, s0
	s_cbranch_execz .LBB159_24
; %bb.21:
	v_lshlrev_b64 v[0:1], 2, v[0:1]
	v_cmp_ne_u32_e32 vcc_lo, 1, v8
	v_mul_f32_e32 v7, s10, v7
	v_add_co_u32 v0, s0, v4, v0
	v_add_co_ci_u32_e64 v1, null, v5, v1, s0
	s_cbranch_vccnz .LBB159_23
; %bb.22:
	global_load_dword v10, v[0:1], off
	s_waitcnt vmcnt(0)
	v_fmac_f32_e32 v7, s9, v10
.LBB159_23:
	global_store_dword v[0:1], v7, off
.LBB159_24:
	s_or_b32 exec_lo, exec_lo, s2
	v_cmp_le_i32_e32 vcc_lo, v9, v2
	s_and_b32 s0, vcc_lo, s1
	s_and_saveexec_b32 s1, s0
	s_cbranch_execz .LBB159_28
; %bb.25:
	v_lshlrev_b64 v[0:1], 2, v[2:3]
	v_cmp_ne_u32_e32 vcc_lo, 1, v8
	v_mul_f32_e32 v2, s10, v6
	v_add_co_u32 v0, s0, v4, v0
	v_add_co_ci_u32_e64 v1, null, v5, v1, s0
	s_cbranch_vccnz .LBB159_27
; %bb.26:
	global_load_dword v3, v[0:1], off
	s_waitcnt vmcnt(0)
	v_fmac_f32_e32 v2, s9, v3
.LBB159_27:
	global_store_dword v[0:1], v2, off
.LBB159_28:
	s_endpgm
	.section	.rodata,"a",@progbits
	.p2align	6, 0x0
	.amdhsa_kernel _ZL29rocblas_internal_gemmt_kernelIlLi16ELi32ELi8ELc67ELc78ELc76ELb0ELb0EfPKfS1_PfEviT_T9_T10_S3_lS5_S3_lS4_T11_S3_li
		.amdhsa_group_segment_fixed_size 2048
		.amdhsa_private_segment_fixed_size 0
		.amdhsa_kernarg_size 108
		.amdhsa_user_sgpr_count 6
		.amdhsa_user_sgpr_private_segment_buffer 1
		.amdhsa_user_sgpr_dispatch_ptr 0
		.amdhsa_user_sgpr_queue_ptr 0
		.amdhsa_user_sgpr_kernarg_segment_ptr 1
		.amdhsa_user_sgpr_dispatch_id 0
		.amdhsa_user_sgpr_flat_scratch_init 0
		.amdhsa_user_sgpr_private_segment_size 0
		.amdhsa_wavefront_size32 1
		.amdhsa_uses_dynamic_stack 0
		.amdhsa_system_sgpr_private_segment_wavefront_offset 0
		.amdhsa_system_sgpr_workgroup_id_x 1
		.amdhsa_system_sgpr_workgroup_id_y 1
		.amdhsa_system_sgpr_workgroup_id_z 1
		.amdhsa_system_sgpr_workgroup_info 0
		.amdhsa_system_vgpr_workitem_id 1
		.amdhsa_next_free_vgpr 46
		.amdhsa_next_free_sgpr 44
		.amdhsa_reserve_vcc 1
		.amdhsa_reserve_flat_scratch 0
		.amdhsa_float_round_mode_32 0
		.amdhsa_float_round_mode_16_64 0
		.amdhsa_float_denorm_mode_32 3
		.amdhsa_float_denorm_mode_16_64 3
		.amdhsa_dx10_clamp 1
		.amdhsa_ieee_mode 1
		.amdhsa_fp16_overflow 0
		.amdhsa_workgroup_processor_mode 1
		.amdhsa_memory_ordered 1
		.amdhsa_forward_progress 1
		.amdhsa_shared_vgpr_count 0
		.amdhsa_exception_fp_ieee_invalid_op 0
		.amdhsa_exception_fp_denorm_src 0
		.amdhsa_exception_fp_ieee_div_zero 0
		.amdhsa_exception_fp_ieee_overflow 0
		.amdhsa_exception_fp_ieee_underflow 0
		.amdhsa_exception_fp_ieee_inexact 0
		.amdhsa_exception_int_div_zero 0
	.end_amdhsa_kernel
	.section	.text._ZL29rocblas_internal_gemmt_kernelIlLi16ELi32ELi8ELc67ELc78ELc76ELb0ELb0EfPKfS1_PfEviT_T9_T10_S3_lS5_S3_lS4_T11_S3_li,"axG",@progbits,_ZL29rocblas_internal_gemmt_kernelIlLi16ELi32ELi8ELc67ELc78ELc76ELb0ELb0EfPKfS1_PfEviT_T9_T10_S3_lS5_S3_lS4_T11_S3_li,comdat
.Lfunc_end159:
	.size	_ZL29rocblas_internal_gemmt_kernelIlLi16ELi32ELi8ELc67ELc78ELc76ELb0ELb0EfPKfS1_PfEviT_T9_T10_S3_lS5_S3_lS4_T11_S3_li, .Lfunc_end159-_ZL29rocblas_internal_gemmt_kernelIlLi16ELi32ELi8ELc67ELc78ELc76ELb0ELb0EfPKfS1_PfEviT_T9_T10_S3_lS5_S3_lS4_T11_S3_li
                                        ; -- End function
	.set _ZL29rocblas_internal_gemmt_kernelIlLi16ELi32ELi8ELc67ELc78ELc76ELb0ELb0EfPKfS1_PfEviT_T9_T10_S3_lS5_S3_lS4_T11_S3_li.num_vgpr, 46
	.set _ZL29rocblas_internal_gemmt_kernelIlLi16ELi32ELi8ELc67ELc78ELc76ELb0ELb0EfPKfS1_PfEviT_T9_T10_S3_lS5_S3_lS4_T11_S3_li.num_agpr, 0
	.set _ZL29rocblas_internal_gemmt_kernelIlLi16ELi32ELi8ELc67ELc78ELc76ELb0ELb0EfPKfS1_PfEviT_T9_T10_S3_lS5_S3_lS4_T11_S3_li.numbered_sgpr, 44
	.set _ZL29rocblas_internal_gemmt_kernelIlLi16ELi32ELi8ELc67ELc78ELc76ELb0ELb0EfPKfS1_PfEviT_T9_T10_S3_lS5_S3_lS4_T11_S3_li.num_named_barrier, 0
	.set _ZL29rocblas_internal_gemmt_kernelIlLi16ELi32ELi8ELc67ELc78ELc76ELb0ELb0EfPKfS1_PfEviT_T9_T10_S3_lS5_S3_lS4_T11_S3_li.private_seg_size, 0
	.set _ZL29rocblas_internal_gemmt_kernelIlLi16ELi32ELi8ELc67ELc78ELc76ELb0ELb0EfPKfS1_PfEviT_T9_T10_S3_lS5_S3_lS4_T11_S3_li.uses_vcc, 1
	.set _ZL29rocblas_internal_gemmt_kernelIlLi16ELi32ELi8ELc67ELc78ELc76ELb0ELb0EfPKfS1_PfEviT_T9_T10_S3_lS5_S3_lS4_T11_S3_li.uses_flat_scratch, 0
	.set _ZL29rocblas_internal_gemmt_kernelIlLi16ELi32ELi8ELc67ELc78ELc76ELb0ELb0EfPKfS1_PfEviT_T9_T10_S3_lS5_S3_lS4_T11_S3_li.has_dyn_sized_stack, 0
	.set _ZL29rocblas_internal_gemmt_kernelIlLi16ELi32ELi8ELc67ELc78ELc76ELb0ELb0EfPKfS1_PfEviT_T9_T10_S3_lS5_S3_lS4_T11_S3_li.has_recursion, 0
	.set _ZL29rocblas_internal_gemmt_kernelIlLi16ELi32ELi8ELc67ELc78ELc76ELb0ELb0EfPKfS1_PfEviT_T9_T10_S3_lS5_S3_lS4_T11_S3_li.has_indirect_call, 0
	.section	.AMDGPU.csdata,"",@progbits
; Kernel info:
; codeLenInByte = 1436
; TotalNumSgprs: 46
; NumVgprs: 46
; ScratchSize: 0
; MemoryBound: 0
; FloatMode: 240
; IeeeMode: 1
; LDSByteSize: 2048 bytes/workgroup (compile time only)
; SGPRBlocks: 0
; VGPRBlocks: 5
; NumSGPRsForWavesPerEU: 46
; NumVGPRsForWavesPerEU: 46
; Occupancy: 16
; WaveLimiterHint : 0
; COMPUTE_PGM_RSRC2:SCRATCH_EN: 0
; COMPUTE_PGM_RSRC2:USER_SGPR: 6
; COMPUTE_PGM_RSRC2:TRAP_HANDLER: 0
; COMPUTE_PGM_RSRC2:TGID_X_EN: 1
; COMPUTE_PGM_RSRC2:TGID_Y_EN: 1
; COMPUTE_PGM_RSRC2:TGID_Z_EN: 1
; COMPUTE_PGM_RSRC2:TIDIG_COMP_CNT: 1
	.section	.text._ZL29rocblas_internal_gemmt_kernelIlLi16ELi32ELi8ELc67ELc84ELc76ELb0ELb0EfPKfS1_PfEviT_T9_T10_S3_lS5_S3_lS4_T11_S3_li,"axG",@progbits,_ZL29rocblas_internal_gemmt_kernelIlLi16ELi32ELi8ELc67ELc84ELc76ELb0ELb0EfPKfS1_PfEviT_T9_T10_S3_lS5_S3_lS4_T11_S3_li,comdat
	.globl	_ZL29rocblas_internal_gemmt_kernelIlLi16ELi32ELi8ELc67ELc84ELc76ELb0ELb0EfPKfS1_PfEviT_T9_T10_S3_lS5_S3_lS4_T11_S3_li ; -- Begin function _ZL29rocblas_internal_gemmt_kernelIlLi16ELi32ELi8ELc67ELc84ELc76ELb0ELb0EfPKfS1_PfEviT_T9_T10_S3_lS5_S3_lS4_T11_S3_li
	.p2align	8
	.type	_ZL29rocblas_internal_gemmt_kernelIlLi16ELi32ELi8ELc67ELc84ELc76ELb0ELb0EfPKfS1_PfEviT_T9_T10_S3_lS5_S3_lS4_T11_S3_li,@function
_ZL29rocblas_internal_gemmt_kernelIlLi16ELi32ELi8ELc67ELc84ELc76ELb0ELb0EfPKfS1_PfEviT_T9_T10_S3_lS5_S3_lS4_T11_S3_li: ; @_ZL29rocblas_internal_gemmt_kernelIlLi16ELi32ELi8ELc67ELc84ELc76ELb0ELb0EfPKfS1_PfEviT_T9_T10_S3_lS5_S3_lS4_T11_S3_li
; %bb.0:
	s_clause 0x1
	s_load_dwordx8 s[36:43], s[4:5], 0x48
	s_load_dwordx16 s[12:27], s[4:5], 0x8
	s_waitcnt lgkmcnt(0)
	s_load_dword s9, s[36:37], 0x0
	s_load_dword s10, s[14:15], 0x0
	s_waitcnt lgkmcnt(0)
	v_cmp_neq_f32_e64 s0, s9, 1.0
	s_and_b32 vcc_lo, exec_lo, s0
	s_cbranch_vccnz .LBB160_2
; %bb.1:
	v_cmp_neq_f32_e64 s0, s10, 0
	s_cmp_lg_u64 s[12:13], 0
	s_cselect_b32 s1, -1, 0
	s_and_b32 s0, s1, s0
.LBB160_2:
	s_andn2_b32 vcc_lo, exec_lo, s0
	s_cbranch_vccnz .LBB160_28
; %bb.3:
	s_load_dword s4, s[4:5], 0x0
	v_cmp_lt_i64_e64 s0, s[12:13], 1
	v_cmp_eq_f32_e64 s1, s10, 0
	v_mov_b32_e32 v5, 0
	v_mov_b32_e32 v4, 0
	;; [unrolled: 1-line block ×4, first 2 shown]
	s_or_b32 s0, s1, s0
	s_lshl_b32 s5, s6, 5
	s_and_b32 vcc_lo, exec_lo, s0
	s_lshl_b32 s6, s7, 5
	s_cbranch_vccnz .LBB160_12
; %bb.4:
	v_lshl_add_u32 v5, v1, 4, v0
	s_mul_i32 s1, s27, s8
	s_mul_hi_u32 s2, s26, s8
	s_mul_i32 s0, s26, s8
	s_add_i32 s1, s2, s1
	v_and_b32_e32 v6, 31, v5
	s_lshl_b64 s[0:1], s[0:1], 2
	s_mul_i32 s2, s21, s8
	s_add_u32 s3, s22, s0
	s_addc_u32 s7, s23, s1
	v_or_b32_e32 v7, s5, v6
	s_mul_hi_u32 s1, s20, s8
	s_mul_i32 s0, s20, s8
	s_add_i32 s1, s1, s2
	v_lshrrev_b32_e32 v11, 3, v5
	v_mul_lo_u32 v9, s19, v7
	v_mad_u64_u32 v[2:3], null, s18, v7, 0
	s_lshl_b64 s[0:1], s[0:1], 2
	v_add_nc_u32_e32 v4, s6, v11
	s_add_u32 s2, s16, s0
	s_addc_u32 s1, s17, s1
	s_ashr_i32 s0, s5, 31
	v_and_b32_e32 v8, 7, v0
	s_mul_i32 s0, s18, s0
	v_lshlrev_b32_e32 v6, 2, v6
	v_add3_u32 v3, v3, s0, v9
	v_lshrrev_b32_e32 v9, 5, v5
	v_ashrrev_i32_e32 v5, 31, v4
	v_lshlrev_b32_e32 v12, 2, v8
	s_waitcnt lgkmcnt(0)
	v_cmp_gt_i32_e64 s0, s4, v7
	v_lshlrev_b64 v[2:3], 2, v[2:3]
	v_lshl_or_b32 v10, v9, 7, v6
	v_lshlrev_b64 v[5:6], 2, v[4:5]
	v_lshl_or_b32 v7, v11, 5, v12
	v_lshlrev_b32_e32 v16, 2, v0
	v_lshl_add_u32 v17, v1, 5, 0x400
	v_add_co_u32 v11, vcc_lo, s2, v2
	v_add_co_ci_u32_e64 v12, null, s1, v3, vcc_lo
	v_add_co_u32 v14, vcc_lo, s3, v5
	v_cmp_gt_i32_e64 s1, s4, v4
	v_add_nc_u32_e32 v13, 0x400, v7
	v_add_co_ci_u32_e64 v15, null, s7, v6, vcc_lo
	v_mov_b32_e32 v3, 0
	v_mov_b32_e32 v6, 0
	;; [unrolled: 1-line block ×5, first 2 shown]
	s_mov_b64 s[2:3], 0
	s_branch .LBB160_6
.LBB160_5:                              ;   in Loop: Header=BB160_6 Depth=1
	s_or_b32 exec_lo, exec_lo, s7
	s_waitcnt vmcnt(0)
	ds_write_b32 v13, v19
	s_waitcnt lgkmcnt(0)
	s_barrier
	buffer_gl0_inv
	ds_read_b128 v[18:21], v17
	ds_read2_b32 v[34:35], v16 offset1:16
	ds_read_b128 v[22:25], v17 offset:512
	ds_read2_b32 v[36:37], v16 offset0:32 offset1:48
	ds_read2_b32 v[38:39], v16 offset0:64 offset1:80
	;; [unrolled: 1-line block ×3, first 2 shown]
	ds_read_b128 v[26:29], v17 offset:16
	ds_read2_b32 v[42:43], v16 offset0:128 offset1:144
	ds_read_b128 v[30:33], v17 offset:528
	ds_read2_b32 v[44:45], v16 offset0:160 offset1:176
	s_add_u32 s2, s2, 8
	s_addc_u32 s3, s3, 0
	v_cmp_gt_i64_e64 s7, s[12:13], s[2:3]
	s_and_b32 vcc_lo, exec_lo, s7
	s_waitcnt lgkmcnt(8)
	v_fmac_f32_e32 v5, v34, v18
	v_fmac_f32_e32 v4, v35, v18
	s_waitcnt lgkmcnt(7)
	v_fmac_f32_e32 v7, v34, v22
	v_fmac_f32_e32 v6, v35, v22
	ds_read2_b32 v[34:35], v16 offset0:192 offset1:208
	s_waitcnt lgkmcnt(7)
	v_fmac_f32_e32 v5, v36, v19
	v_fmac_f32_e32 v4, v37, v19
	;; [unrolled: 1-line block ×4, first 2 shown]
	ds_read2_b32 v[18:19], v16 offset0:224 offset1:240
	s_waitcnt lgkmcnt(7)
	v_fmac_f32_e32 v5, v38, v20
	v_fmac_f32_e32 v4, v39, v20
	;; [unrolled: 1-line block ×4, first 2 shown]
	s_waitcnt lgkmcnt(0)
	v_fmac_f32_e32 v5, v40, v21
	v_fmac_f32_e32 v4, v41, v21
	;; [unrolled: 1-line block ×4, first 2 shown]
	s_barrier
	v_fmac_f32_e32 v5, v42, v26
	v_fmac_f32_e32 v4, v43, v26
	;; [unrolled: 1-line block ×4, first 2 shown]
	buffer_gl0_inv
	v_fmac_f32_e32 v5, v44, v27
	v_fmac_f32_e32 v4, v45, v27
	;; [unrolled: 1-line block ×12, first 2 shown]
	s_cbranch_vccz .LBB160_12
.LBB160_6:                              ; =>This Inner Loop Header: Depth=1
	v_mov_b32_e32 v18, 0
	s_and_saveexec_b32 s7, s0
	s_cbranch_execz .LBB160_10
; %bb.7:                                ;   in Loop: Header=BB160_6 Depth=1
	v_add_nc_u32_e32 v2, s2, v9
	v_mov_b32_e32 v18, 0
	s_mov_b32 s11, exec_lo
	v_cmpx_gt_u64_e64 s[12:13], v[2:3]
	s_cbranch_execz .LBB160_9
; %bb.8:                                ;   in Loop: Header=BB160_6 Depth=1
	v_lshlrev_b64 v[18:19], 2, v[2:3]
	v_add_co_u32 v18, vcc_lo, v11, v18
	v_add_co_ci_u32_e64 v19, null, v12, v19, vcc_lo
	global_load_dword v18, v[18:19], off
.LBB160_9:                              ;   in Loop: Header=BB160_6 Depth=1
	s_or_b32 exec_lo, exec_lo, s11
.LBB160_10:                             ;   in Loop: Header=BB160_6 Depth=1
	s_or_b32 exec_lo, exec_lo, s7
	v_add_nc_u32_e32 v2, s2, v8
	v_mov_b32_e32 v19, 0
	s_waitcnt vmcnt(0)
	ds_write_b32 v10, v18
	v_cmp_gt_u64_e32 vcc_lo, s[12:13], v[2:3]
	s_and_b32 s11, vcc_lo, s1
	s_and_saveexec_b32 s7, s11
	s_cbranch_execz .LBB160_5
; %bb.11:                               ;   in Loop: Header=BB160_6 Depth=1
	v_mad_u64_u32 v[18:19], null, s24, v2, 0
	v_mad_u64_u32 v[19:20], null, s25, v2, v[19:20]
	v_lshlrev_b64 v[18:19], 2, v[18:19]
	v_add_co_u32 v18, vcc_lo, v14, v18
	v_add_co_ci_u32_e64 v19, null, v15, v19, vcc_lo
	global_load_dword v19, v[18:19], off
	s_branch .LBB160_5
.LBB160_12:
	v_add_nc_u32_e32 v9, s6, v1
	s_mul_i32 s1, s43, s8
	s_mul_hi_u32 s2, s42, s8
	s_mul_i32 s0, s42, s8
	s_add_i32 s1, s2, s1
	v_ashrrev_i32_e32 v3, 31, v9
	v_mul_lo_u32 v8, s41, v9
	v_mad_u64_u32 v[1:2], null, s40, v9, 0
	v_add_nc_u32_e32 v0, s5, v0
	v_mul_lo_u32 v3, s40, v3
	s_lshl_b64 s[6:7], s[0:1], 2
	v_cmp_neq_f32_e64 s2, s9, 0
	s_add_u32 s3, s38, s6
	v_cmp_le_i32_e32 vcc_lo, v9, v0
	s_waitcnt lgkmcnt(0)
	v_cmp_gt_i32_e64 s0, s4, v0
	s_addc_u32 s5, s39, s7
	v_add3_u32 v2, v2, v3, v8
	v_cndmask_b32_e64 v8, 0, 1, s2
	s_and_b32 s6, vcc_lo, s0
	v_lshlrev_b64 v[2:3], 2, v[1:2]
	v_ashrrev_i32_e32 v1, 31, v0
	v_add_co_u32 v10, s1, s3, v2
	v_add_co_ci_u32_e64 v11, null, s5, v3, s1
	s_and_saveexec_b32 s1, s6
	s_cbranch_execz .LBB160_16
; %bb.13:
	v_lshlrev_b64 v[2:3], 2, v[0:1]
	v_mul_f32_e32 v5, s10, v5
	v_add_co_u32 v2, vcc_lo, v10, v2
	v_add_co_ci_u32_e64 v3, null, v11, v3, vcc_lo
	s_andn2_b32 vcc_lo, exec_lo, s2
	s_cbranch_vccnz .LBB160_15
; %bb.14:
	global_load_dword v12, v[2:3], off
	s_waitcnt vmcnt(0)
	v_fmac_f32_e32 v5, s9, v12
.LBB160_15:
	global_store_dword v[2:3], v5, off
.LBB160_16:
	s_or_b32 exec_lo, exec_lo, s1
	v_add_nc_u32_e32 v2, 16, v0
	v_cmp_le_i32_e32 vcc_lo, v9, v2
	v_cmp_gt_i32_e64 s1, s4, v2
	v_ashrrev_i32_e32 v3, 31, v2
	s_and_b32 s2, vcc_lo, s1
	s_and_saveexec_b32 s4, s2
	s_cbranch_execz .LBB160_20
; %bb.17:
	v_lshlrev_b64 v[13:14], 2, v[2:3]
	v_mul_f32_e32 v12, s10, v4
	v_cmp_ne_u32_e32 vcc_lo, 1, v8
	v_add_co_u32 v4, s2, v10, v13
	v_add_co_ci_u32_e64 v5, null, v11, v14, s2
	s_cbranch_vccnz .LBB160_19
; %bb.18:
	global_load_dword v10, v[4:5], off
	s_waitcnt vmcnt(0)
	v_fmac_f32_e32 v12, s9, v10
.LBB160_19:
	global_store_dword v[4:5], v12, off
.LBB160_20:
	s_or_b32 exec_lo, exec_lo, s4
	v_add_nc_u32_e32 v9, 16, v9
	v_ashrrev_i32_e32 v10, 31, v9
	v_mul_lo_u32 v11, s41, v9
	v_mad_u64_u32 v[4:5], null, s40, v9, 0
	v_cmp_le_i32_e32 vcc_lo, v9, v0
	v_mul_lo_u32 v10, s40, v10
	s_and_b32 s0, vcc_lo, s0
	v_add3_u32 v5, v5, v10, v11
	v_lshlrev_b64 v[4:5], 2, v[4:5]
	v_add_co_u32 v4, s2, s3, v4
	v_add_co_ci_u32_e64 v5, null, s5, v5, s2
	s_and_saveexec_b32 s2, s0
	s_cbranch_execz .LBB160_24
; %bb.21:
	v_lshlrev_b64 v[0:1], 2, v[0:1]
	v_cmp_ne_u32_e32 vcc_lo, 1, v8
	v_mul_f32_e32 v7, s10, v7
	v_add_co_u32 v0, s0, v4, v0
	v_add_co_ci_u32_e64 v1, null, v5, v1, s0
	s_cbranch_vccnz .LBB160_23
; %bb.22:
	global_load_dword v10, v[0:1], off
	s_waitcnt vmcnt(0)
	v_fmac_f32_e32 v7, s9, v10
.LBB160_23:
	global_store_dword v[0:1], v7, off
.LBB160_24:
	s_or_b32 exec_lo, exec_lo, s2
	v_cmp_le_i32_e32 vcc_lo, v9, v2
	s_and_b32 s0, vcc_lo, s1
	s_and_saveexec_b32 s1, s0
	s_cbranch_execz .LBB160_28
; %bb.25:
	v_lshlrev_b64 v[0:1], 2, v[2:3]
	v_cmp_ne_u32_e32 vcc_lo, 1, v8
	v_mul_f32_e32 v2, s10, v6
	v_add_co_u32 v0, s0, v4, v0
	v_add_co_ci_u32_e64 v1, null, v5, v1, s0
	s_cbranch_vccnz .LBB160_27
; %bb.26:
	global_load_dword v3, v[0:1], off
	s_waitcnt vmcnt(0)
	v_fmac_f32_e32 v2, s9, v3
.LBB160_27:
	global_store_dword v[0:1], v2, off
.LBB160_28:
	s_endpgm
	.section	.rodata,"a",@progbits
	.p2align	6, 0x0
	.amdhsa_kernel _ZL29rocblas_internal_gemmt_kernelIlLi16ELi32ELi8ELc67ELc84ELc76ELb0ELb0EfPKfS1_PfEviT_T9_T10_S3_lS5_S3_lS4_T11_S3_li
		.amdhsa_group_segment_fixed_size 2048
		.amdhsa_private_segment_fixed_size 0
		.amdhsa_kernarg_size 108
		.amdhsa_user_sgpr_count 6
		.amdhsa_user_sgpr_private_segment_buffer 1
		.amdhsa_user_sgpr_dispatch_ptr 0
		.amdhsa_user_sgpr_queue_ptr 0
		.amdhsa_user_sgpr_kernarg_segment_ptr 1
		.amdhsa_user_sgpr_dispatch_id 0
		.amdhsa_user_sgpr_flat_scratch_init 0
		.amdhsa_user_sgpr_private_segment_size 0
		.amdhsa_wavefront_size32 1
		.amdhsa_uses_dynamic_stack 0
		.amdhsa_system_sgpr_private_segment_wavefront_offset 0
		.amdhsa_system_sgpr_workgroup_id_x 1
		.amdhsa_system_sgpr_workgroup_id_y 1
		.amdhsa_system_sgpr_workgroup_id_z 1
		.amdhsa_system_sgpr_workgroup_info 0
		.amdhsa_system_vgpr_workitem_id 1
		.amdhsa_next_free_vgpr 46
		.amdhsa_next_free_sgpr 44
		.amdhsa_reserve_vcc 1
		.amdhsa_reserve_flat_scratch 0
		.amdhsa_float_round_mode_32 0
		.amdhsa_float_round_mode_16_64 0
		.amdhsa_float_denorm_mode_32 3
		.amdhsa_float_denorm_mode_16_64 3
		.amdhsa_dx10_clamp 1
		.amdhsa_ieee_mode 1
		.amdhsa_fp16_overflow 0
		.amdhsa_workgroup_processor_mode 1
		.amdhsa_memory_ordered 1
		.amdhsa_forward_progress 1
		.amdhsa_shared_vgpr_count 0
		.amdhsa_exception_fp_ieee_invalid_op 0
		.amdhsa_exception_fp_denorm_src 0
		.amdhsa_exception_fp_ieee_div_zero 0
		.amdhsa_exception_fp_ieee_overflow 0
		.amdhsa_exception_fp_ieee_underflow 0
		.amdhsa_exception_fp_ieee_inexact 0
		.amdhsa_exception_int_div_zero 0
	.end_amdhsa_kernel
	.section	.text._ZL29rocblas_internal_gemmt_kernelIlLi16ELi32ELi8ELc67ELc84ELc76ELb0ELb0EfPKfS1_PfEviT_T9_T10_S3_lS5_S3_lS4_T11_S3_li,"axG",@progbits,_ZL29rocblas_internal_gemmt_kernelIlLi16ELi32ELi8ELc67ELc84ELc76ELb0ELb0EfPKfS1_PfEviT_T9_T10_S3_lS5_S3_lS4_T11_S3_li,comdat
.Lfunc_end160:
	.size	_ZL29rocblas_internal_gemmt_kernelIlLi16ELi32ELi8ELc67ELc84ELc76ELb0ELb0EfPKfS1_PfEviT_T9_T10_S3_lS5_S3_lS4_T11_S3_li, .Lfunc_end160-_ZL29rocblas_internal_gemmt_kernelIlLi16ELi32ELi8ELc67ELc84ELc76ELb0ELb0EfPKfS1_PfEviT_T9_T10_S3_lS5_S3_lS4_T11_S3_li
                                        ; -- End function
	.set _ZL29rocblas_internal_gemmt_kernelIlLi16ELi32ELi8ELc67ELc84ELc76ELb0ELb0EfPKfS1_PfEviT_T9_T10_S3_lS5_S3_lS4_T11_S3_li.num_vgpr, 46
	.set _ZL29rocblas_internal_gemmt_kernelIlLi16ELi32ELi8ELc67ELc84ELc76ELb0ELb0EfPKfS1_PfEviT_T9_T10_S3_lS5_S3_lS4_T11_S3_li.num_agpr, 0
	.set _ZL29rocblas_internal_gemmt_kernelIlLi16ELi32ELi8ELc67ELc84ELc76ELb0ELb0EfPKfS1_PfEviT_T9_T10_S3_lS5_S3_lS4_T11_S3_li.numbered_sgpr, 44
	.set _ZL29rocblas_internal_gemmt_kernelIlLi16ELi32ELi8ELc67ELc84ELc76ELb0ELb0EfPKfS1_PfEviT_T9_T10_S3_lS5_S3_lS4_T11_S3_li.num_named_barrier, 0
	.set _ZL29rocblas_internal_gemmt_kernelIlLi16ELi32ELi8ELc67ELc84ELc76ELb0ELb0EfPKfS1_PfEviT_T9_T10_S3_lS5_S3_lS4_T11_S3_li.private_seg_size, 0
	.set _ZL29rocblas_internal_gemmt_kernelIlLi16ELi32ELi8ELc67ELc84ELc76ELb0ELb0EfPKfS1_PfEviT_T9_T10_S3_lS5_S3_lS4_T11_S3_li.uses_vcc, 1
	.set _ZL29rocblas_internal_gemmt_kernelIlLi16ELi32ELi8ELc67ELc84ELc76ELb0ELb0EfPKfS1_PfEviT_T9_T10_S3_lS5_S3_lS4_T11_S3_li.uses_flat_scratch, 0
	.set _ZL29rocblas_internal_gemmt_kernelIlLi16ELi32ELi8ELc67ELc84ELc76ELb0ELb0EfPKfS1_PfEviT_T9_T10_S3_lS5_S3_lS4_T11_S3_li.has_dyn_sized_stack, 0
	.set _ZL29rocblas_internal_gemmt_kernelIlLi16ELi32ELi8ELc67ELc84ELc76ELb0ELb0EfPKfS1_PfEviT_T9_T10_S3_lS5_S3_lS4_T11_S3_li.has_recursion, 0
	.set _ZL29rocblas_internal_gemmt_kernelIlLi16ELi32ELi8ELc67ELc84ELc76ELb0ELb0EfPKfS1_PfEviT_T9_T10_S3_lS5_S3_lS4_T11_S3_li.has_indirect_call, 0
	.section	.AMDGPU.csdata,"",@progbits
; Kernel info:
; codeLenInByte = 1420
; TotalNumSgprs: 46
; NumVgprs: 46
; ScratchSize: 0
; MemoryBound: 0
; FloatMode: 240
; IeeeMode: 1
; LDSByteSize: 2048 bytes/workgroup (compile time only)
; SGPRBlocks: 0
; VGPRBlocks: 5
; NumSGPRsForWavesPerEU: 46
; NumVGPRsForWavesPerEU: 46
; Occupancy: 16
; WaveLimiterHint : 0
; COMPUTE_PGM_RSRC2:SCRATCH_EN: 0
; COMPUTE_PGM_RSRC2:USER_SGPR: 6
; COMPUTE_PGM_RSRC2:TRAP_HANDLER: 0
; COMPUTE_PGM_RSRC2:TGID_X_EN: 1
; COMPUTE_PGM_RSRC2:TGID_Y_EN: 1
; COMPUTE_PGM_RSRC2:TGID_Z_EN: 1
; COMPUTE_PGM_RSRC2:TIDIG_COMP_CNT: 1
	.section	.text._ZL29rocblas_internal_gemmt_kernelIlLi16ELi32ELi8ELc67ELc67ELc76ELb0ELb0EfPKfS1_PfEviT_T9_T10_S3_lS5_S3_lS4_T11_S3_li,"axG",@progbits,_ZL29rocblas_internal_gemmt_kernelIlLi16ELi32ELi8ELc67ELc67ELc76ELb0ELb0EfPKfS1_PfEviT_T9_T10_S3_lS5_S3_lS4_T11_S3_li,comdat
	.globl	_ZL29rocblas_internal_gemmt_kernelIlLi16ELi32ELi8ELc67ELc67ELc76ELb0ELb0EfPKfS1_PfEviT_T9_T10_S3_lS5_S3_lS4_T11_S3_li ; -- Begin function _ZL29rocblas_internal_gemmt_kernelIlLi16ELi32ELi8ELc67ELc67ELc76ELb0ELb0EfPKfS1_PfEviT_T9_T10_S3_lS5_S3_lS4_T11_S3_li
	.p2align	8
	.type	_ZL29rocblas_internal_gemmt_kernelIlLi16ELi32ELi8ELc67ELc67ELc76ELb0ELb0EfPKfS1_PfEviT_T9_T10_S3_lS5_S3_lS4_T11_S3_li,@function
_ZL29rocblas_internal_gemmt_kernelIlLi16ELi32ELi8ELc67ELc67ELc76ELb0ELb0EfPKfS1_PfEviT_T9_T10_S3_lS5_S3_lS4_T11_S3_li: ; @_ZL29rocblas_internal_gemmt_kernelIlLi16ELi32ELi8ELc67ELc67ELc76ELb0ELb0EfPKfS1_PfEviT_T9_T10_S3_lS5_S3_lS4_T11_S3_li
; %bb.0:
	s_clause 0x1
	s_load_dwordx8 s[36:43], s[4:5], 0x48
	s_load_dwordx16 s[12:27], s[4:5], 0x8
	s_waitcnt lgkmcnt(0)
	s_load_dword s9, s[36:37], 0x0
	s_load_dword s10, s[14:15], 0x0
	s_waitcnt lgkmcnt(0)
	v_cmp_neq_f32_e64 s0, s9, 1.0
	s_and_b32 vcc_lo, exec_lo, s0
	s_cbranch_vccnz .LBB161_2
; %bb.1:
	v_cmp_neq_f32_e64 s0, s10, 0
	s_cmp_lg_u64 s[12:13], 0
	s_cselect_b32 s1, -1, 0
	s_and_b32 s0, s1, s0
.LBB161_2:
	s_andn2_b32 vcc_lo, exec_lo, s0
	s_cbranch_vccnz .LBB161_28
; %bb.3:
	s_load_dword s4, s[4:5], 0x0
	v_cmp_lt_i64_e64 s0, s[12:13], 1
	v_cmp_eq_f32_e64 s1, s10, 0
	v_mov_b32_e32 v5, 0
	v_mov_b32_e32 v4, 0
	;; [unrolled: 1-line block ×4, first 2 shown]
	s_or_b32 s0, s1, s0
	s_lshl_b32 s5, s6, 5
	s_and_b32 vcc_lo, exec_lo, s0
	s_lshl_b32 s6, s7, 5
	s_cbranch_vccnz .LBB161_12
; %bb.4:
	v_lshl_add_u32 v5, v1, 4, v0
	s_mul_i32 s1, s27, s8
	s_mul_hi_u32 s2, s26, s8
	s_mul_i32 s0, s26, s8
	s_add_i32 s1, s2, s1
	v_and_b32_e32 v6, 31, v5
	s_lshl_b64 s[0:1], s[0:1], 2
	s_mul_i32 s2, s21, s8
	s_add_u32 s3, s22, s0
	s_addc_u32 s7, s23, s1
	v_or_b32_e32 v7, s5, v6
	s_mul_hi_u32 s1, s20, s8
	s_mul_i32 s0, s20, s8
	s_add_i32 s1, s1, s2
	v_lshrrev_b32_e32 v11, 3, v5
	v_mul_lo_u32 v9, s19, v7
	v_mad_u64_u32 v[2:3], null, s18, v7, 0
	s_lshl_b64 s[0:1], s[0:1], 2
	v_add_nc_u32_e32 v4, s6, v11
	s_add_u32 s2, s16, s0
	s_addc_u32 s1, s17, s1
	s_ashr_i32 s0, s5, 31
	v_and_b32_e32 v8, 7, v0
	s_mul_i32 s0, s18, s0
	v_lshlrev_b32_e32 v6, 2, v6
	v_add3_u32 v3, v3, s0, v9
	v_lshrrev_b32_e32 v9, 5, v5
	v_ashrrev_i32_e32 v5, 31, v4
	v_lshlrev_b32_e32 v12, 2, v8
	s_waitcnt lgkmcnt(0)
	v_cmp_gt_i32_e64 s0, s4, v7
	v_lshlrev_b64 v[2:3], 2, v[2:3]
	v_lshl_or_b32 v10, v9, 7, v6
	v_lshlrev_b64 v[5:6], 2, v[4:5]
	v_lshl_or_b32 v7, v11, 5, v12
	v_lshlrev_b32_e32 v16, 2, v0
	v_lshl_add_u32 v17, v1, 5, 0x400
	v_add_co_u32 v11, vcc_lo, s2, v2
	v_add_co_ci_u32_e64 v12, null, s1, v3, vcc_lo
	v_add_co_u32 v14, vcc_lo, s3, v5
	v_cmp_gt_i32_e64 s1, s4, v4
	v_add_nc_u32_e32 v13, 0x400, v7
	v_add_co_ci_u32_e64 v15, null, s7, v6, vcc_lo
	v_mov_b32_e32 v3, 0
	v_mov_b32_e32 v6, 0
	;; [unrolled: 1-line block ×5, first 2 shown]
	s_mov_b64 s[2:3], 0
	s_branch .LBB161_6
.LBB161_5:                              ;   in Loop: Header=BB161_6 Depth=1
	s_or_b32 exec_lo, exec_lo, s7
	s_waitcnt vmcnt(0)
	ds_write_b32 v13, v19
	s_waitcnt lgkmcnt(0)
	s_barrier
	buffer_gl0_inv
	ds_read_b128 v[18:21], v17
	ds_read2_b32 v[34:35], v16 offset1:16
	ds_read_b128 v[22:25], v17 offset:512
	ds_read2_b32 v[36:37], v16 offset0:32 offset1:48
	ds_read2_b32 v[38:39], v16 offset0:64 offset1:80
	;; [unrolled: 1-line block ×3, first 2 shown]
	ds_read_b128 v[26:29], v17 offset:16
	ds_read2_b32 v[42:43], v16 offset0:128 offset1:144
	ds_read_b128 v[30:33], v17 offset:528
	ds_read2_b32 v[44:45], v16 offset0:160 offset1:176
	s_add_u32 s2, s2, 8
	s_addc_u32 s3, s3, 0
	v_cmp_gt_i64_e64 s7, s[12:13], s[2:3]
	s_and_b32 vcc_lo, exec_lo, s7
	s_waitcnt lgkmcnt(8)
	v_fmac_f32_e32 v5, v34, v18
	v_fmac_f32_e32 v4, v35, v18
	s_waitcnt lgkmcnt(7)
	v_fmac_f32_e32 v7, v34, v22
	v_fmac_f32_e32 v6, v35, v22
	ds_read2_b32 v[34:35], v16 offset0:192 offset1:208
	s_waitcnt lgkmcnt(7)
	v_fmac_f32_e32 v5, v36, v19
	v_fmac_f32_e32 v4, v37, v19
	;; [unrolled: 1-line block ×4, first 2 shown]
	ds_read2_b32 v[18:19], v16 offset0:224 offset1:240
	s_waitcnt lgkmcnt(7)
	v_fmac_f32_e32 v5, v38, v20
	v_fmac_f32_e32 v4, v39, v20
	;; [unrolled: 1-line block ×4, first 2 shown]
	s_waitcnt lgkmcnt(0)
	v_fmac_f32_e32 v5, v40, v21
	v_fmac_f32_e32 v4, v41, v21
	;; [unrolled: 1-line block ×4, first 2 shown]
	s_barrier
	v_fmac_f32_e32 v5, v42, v26
	v_fmac_f32_e32 v4, v43, v26
	;; [unrolled: 1-line block ×4, first 2 shown]
	buffer_gl0_inv
	v_fmac_f32_e32 v5, v44, v27
	v_fmac_f32_e32 v4, v45, v27
	;; [unrolled: 1-line block ×12, first 2 shown]
	s_cbranch_vccz .LBB161_12
.LBB161_6:                              ; =>This Inner Loop Header: Depth=1
	v_mov_b32_e32 v18, 0
	s_and_saveexec_b32 s7, s0
	s_cbranch_execz .LBB161_10
; %bb.7:                                ;   in Loop: Header=BB161_6 Depth=1
	v_add_nc_u32_e32 v2, s2, v9
	v_mov_b32_e32 v18, 0
	s_mov_b32 s11, exec_lo
	v_cmpx_gt_u64_e64 s[12:13], v[2:3]
	s_cbranch_execz .LBB161_9
; %bb.8:                                ;   in Loop: Header=BB161_6 Depth=1
	v_lshlrev_b64 v[18:19], 2, v[2:3]
	v_add_co_u32 v18, vcc_lo, v11, v18
	v_add_co_ci_u32_e64 v19, null, v12, v19, vcc_lo
	global_load_dword v18, v[18:19], off
.LBB161_9:                              ;   in Loop: Header=BB161_6 Depth=1
	s_or_b32 exec_lo, exec_lo, s11
.LBB161_10:                             ;   in Loop: Header=BB161_6 Depth=1
	s_or_b32 exec_lo, exec_lo, s7
	v_add_nc_u32_e32 v2, s2, v8
	v_mov_b32_e32 v19, 0
	s_waitcnt vmcnt(0)
	ds_write_b32 v10, v18
	v_cmp_gt_u64_e32 vcc_lo, s[12:13], v[2:3]
	s_and_b32 s11, vcc_lo, s1
	s_and_saveexec_b32 s7, s11
	s_cbranch_execz .LBB161_5
; %bb.11:                               ;   in Loop: Header=BB161_6 Depth=1
	v_mad_u64_u32 v[18:19], null, s24, v2, 0
	v_mad_u64_u32 v[19:20], null, s25, v2, v[19:20]
	v_lshlrev_b64 v[18:19], 2, v[18:19]
	v_add_co_u32 v18, vcc_lo, v14, v18
	v_add_co_ci_u32_e64 v19, null, v15, v19, vcc_lo
	global_load_dword v19, v[18:19], off
	s_branch .LBB161_5
.LBB161_12:
	v_add_nc_u32_e32 v9, s6, v1
	s_mul_i32 s1, s43, s8
	s_mul_hi_u32 s2, s42, s8
	s_mul_i32 s0, s42, s8
	s_add_i32 s1, s2, s1
	v_ashrrev_i32_e32 v3, 31, v9
	v_mul_lo_u32 v8, s41, v9
	v_mad_u64_u32 v[1:2], null, s40, v9, 0
	v_add_nc_u32_e32 v0, s5, v0
	v_mul_lo_u32 v3, s40, v3
	s_lshl_b64 s[6:7], s[0:1], 2
	v_cmp_neq_f32_e64 s2, s9, 0
	s_add_u32 s3, s38, s6
	v_cmp_le_i32_e32 vcc_lo, v9, v0
	s_waitcnt lgkmcnt(0)
	v_cmp_gt_i32_e64 s0, s4, v0
	s_addc_u32 s5, s39, s7
	v_add3_u32 v2, v2, v3, v8
	v_cndmask_b32_e64 v8, 0, 1, s2
	s_and_b32 s6, vcc_lo, s0
	v_lshlrev_b64 v[2:3], 2, v[1:2]
	v_ashrrev_i32_e32 v1, 31, v0
	v_add_co_u32 v10, s1, s3, v2
	v_add_co_ci_u32_e64 v11, null, s5, v3, s1
	s_and_saveexec_b32 s1, s6
	s_cbranch_execz .LBB161_16
; %bb.13:
	v_lshlrev_b64 v[2:3], 2, v[0:1]
	v_mul_f32_e32 v5, s10, v5
	v_add_co_u32 v2, vcc_lo, v10, v2
	v_add_co_ci_u32_e64 v3, null, v11, v3, vcc_lo
	s_andn2_b32 vcc_lo, exec_lo, s2
	s_cbranch_vccnz .LBB161_15
; %bb.14:
	global_load_dword v12, v[2:3], off
	s_waitcnt vmcnt(0)
	v_fmac_f32_e32 v5, s9, v12
.LBB161_15:
	global_store_dword v[2:3], v5, off
.LBB161_16:
	s_or_b32 exec_lo, exec_lo, s1
	v_add_nc_u32_e32 v2, 16, v0
	v_cmp_le_i32_e32 vcc_lo, v9, v2
	v_cmp_gt_i32_e64 s1, s4, v2
	v_ashrrev_i32_e32 v3, 31, v2
	s_and_b32 s2, vcc_lo, s1
	s_and_saveexec_b32 s4, s2
	s_cbranch_execz .LBB161_20
; %bb.17:
	v_lshlrev_b64 v[13:14], 2, v[2:3]
	v_mul_f32_e32 v12, s10, v4
	v_cmp_ne_u32_e32 vcc_lo, 1, v8
	v_add_co_u32 v4, s2, v10, v13
	v_add_co_ci_u32_e64 v5, null, v11, v14, s2
	s_cbranch_vccnz .LBB161_19
; %bb.18:
	global_load_dword v10, v[4:5], off
	s_waitcnt vmcnt(0)
	v_fmac_f32_e32 v12, s9, v10
.LBB161_19:
	global_store_dword v[4:5], v12, off
.LBB161_20:
	s_or_b32 exec_lo, exec_lo, s4
	v_add_nc_u32_e32 v9, 16, v9
	v_ashrrev_i32_e32 v10, 31, v9
	v_mul_lo_u32 v11, s41, v9
	v_mad_u64_u32 v[4:5], null, s40, v9, 0
	v_cmp_le_i32_e32 vcc_lo, v9, v0
	v_mul_lo_u32 v10, s40, v10
	s_and_b32 s0, vcc_lo, s0
	v_add3_u32 v5, v5, v10, v11
	v_lshlrev_b64 v[4:5], 2, v[4:5]
	v_add_co_u32 v4, s2, s3, v4
	v_add_co_ci_u32_e64 v5, null, s5, v5, s2
	s_and_saveexec_b32 s2, s0
	s_cbranch_execz .LBB161_24
; %bb.21:
	v_lshlrev_b64 v[0:1], 2, v[0:1]
	v_cmp_ne_u32_e32 vcc_lo, 1, v8
	v_mul_f32_e32 v7, s10, v7
	v_add_co_u32 v0, s0, v4, v0
	v_add_co_ci_u32_e64 v1, null, v5, v1, s0
	s_cbranch_vccnz .LBB161_23
; %bb.22:
	global_load_dword v10, v[0:1], off
	s_waitcnt vmcnt(0)
	v_fmac_f32_e32 v7, s9, v10
.LBB161_23:
	global_store_dword v[0:1], v7, off
.LBB161_24:
	s_or_b32 exec_lo, exec_lo, s2
	v_cmp_le_i32_e32 vcc_lo, v9, v2
	s_and_b32 s0, vcc_lo, s1
	s_and_saveexec_b32 s1, s0
	s_cbranch_execz .LBB161_28
; %bb.25:
	v_lshlrev_b64 v[0:1], 2, v[2:3]
	v_cmp_ne_u32_e32 vcc_lo, 1, v8
	v_mul_f32_e32 v2, s10, v6
	v_add_co_u32 v0, s0, v4, v0
	v_add_co_ci_u32_e64 v1, null, v5, v1, s0
	s_cbranch_vccnz .LBB161_27
; %bb.26:
	global_load_dword v3, v[0:1], off
	s_waitcnt vmcnt(0)
	v_fmac_f32_e32 v2, s9, v3
.LBB161_27:
	global_store_dword v[0:1], v2, off
.LBB161_28:
	s_endpgm
	.section	.rodata,"a",@progbits
	.p2align	6, 0x0
	.amdhsa_kernel _ZL29rocblas_internal_gemmt_kernelIlLi16ELi32ELi8ELc67ELc67ELc76ELb0ELb0EfPKfS1_PfEviT_T9_T10_S3_lS5_S3_lS4_T11_S3_li
		.amdhsa_group_segment_fixed_size 2048
		.amdhsa_private_segment_fixed_size 0
		.amdhsa_kernarg_size 108
		.amdhsa_user_sgpr_count 6
		.amdhsa_user_sgpr_private_segment_buffer 1
		.amdhsa_user_sgpr_dispatch_ptr 0
		.amdhsa_user_sgpr_queue_ptr 0
		.amdhsa_user_sgpr_kernarg_segment_ptr 1
		.amdhsa_user_sgpr_dispatch_id 0
		.amdhsa_user_sgpr_flat_scratch_init 0
		.amdhsa_user_sgpr_private_segment_size 0
		.amdhsa_wavefront_size32 1
		.amdhsa_uses_dynamic_stack 0
		.amdhsa_system_sgpr_private_segment_wavefront_offset 0
		.amdhsa_system_sgpr_workgroup_id_x 1
		.amdhsa_system_sgpr_workgroup_id_y 1
		.amdhsa_system_sgpr_workgroup_id_z 1
		.amdhsa_system_sgpr_workgroup_info 0
		.amdhsa_system_vgpr_workitem_id 1
		.amdhsa_next_free_vgpr 46
		.amdhsa_next_free_sgpr 44
		.amdhsa_reserve_vcc 1
		.amdhsa_reserve_flat_scratch 0
		.amdhsa_float_round_mode_32 0
		.amdhsa_float_round_mode_16_64 0
		.amdhsa_float_denorm_mode_32 3
		.amdhsa_float_denorm_mode_16_64 3
		.amdhsa_dx10_clamp 1
		.amdhsa_ieee_mode 1
		.amdhsa_fp16_overflow 0
		.amdhsa_workgroup_processor_mode 1
		.amdhsa_memory_ordered 1
		.amdhsa_forward_progress 1
		.amdhsa_shared_vgpr_count 0
		.amdhsa_exception_fp_ieee_invalid_op 0
		.amdhsa_exception_fp_denorm_src 0
		.amdhsa_exception_fp_ieee_div_zero 0
		.amdhsa_exception_fp_ieee_overflow 0
		.amdhsa_exception_fp_ieee_underflow 0
		.amdhsa_exception_fp_ieee_inexact 0
		.amdhsa_exception_int_div_zero 0
	.end_amdhsa_kernel
	.section	.text._ZL29rocblas_internal_gemmt_kernelIlLi16ELi32ELi8ELc67ELc67ELc76ELb0ELb0EfPKfS1_PfEviT_T9_T10_S3_lS5_S3_lS4_T11_S3_li,"axG",@progbits,_ZL29rocblas_internal_gemmt_kernelIlLi16ELi32ELi8ELc67ELc67ELc76ELb0ELb0EfPKfS1_PfEviT_T9_T10_S3_lS5_S3_lS4_T11_S3_li,comdat
.Lfunc_end161:
	.size	_ZL29rocblas_internal_gemmt_kernelIlLi16ELi32ELi8ELc67ELc67ELc76ELb0ELb0EfPKfS1_PfEviT_T9_T10_S3_lS5_S3_lS4_T11_S3_li, .Lfunc_end161-_ZL29rocblas_internal_gemmt_kernelIlLi16ELi32ELi8ELc67ELc67ELc76ELb0ELb0EfPKfS1_PfEviT_T9_T10_S3_lS5_S3_lS4_T11_S3_li
                                        ; -- End function
	.set _ZL29rocblas_internal_gemmt_kernelIlLi16ELi32ELi8ELc67ELc67ELc76ELb0ELb0EfPKfS1_PfEviT_T9_T10_S3_lS5_S3_lS4_T11_S3_li.num_vgpr, 46
	.set _ZL29rocblas_internal_gemmt_kernelIlLi16ELi32ELi8ELc67ELc67ELc76ELb0ELb0EfPKfS1_PfEviT_T9_T10_S3_lS5_S3_lS4_T11_S3_li.num_agpr, 0
	.set _ZL29rocblas_internal_gemmt_kernelIlLi16ELi32ELi8ELc67ELc67ELc76ELb0ELb0EfPKfS1_PfEviT_T9_T10_S3_lS5_S3_lS4_T11_S3_li.numbered_sgpr, 44
	.set _ZL29rocblas_internal_gemmt_kernelIlLi16ELi32ELi8ELc67ELc67ELc76ELb0ELb0EfPKfS1_PfEviT_T9_T10_S3_lS5_S3_lS4_T11_S3_li.num_named_barrier, 0
	.set _ZL29rocblas_internal_gemmt_kernelIlLi16ELi32ELi8ELc67ELc67ELc76ELb0ELb0EfPKfS1_PfEviT_T9_T10_S3_lS5_S3_lS4_T11_S3_li.private_seg_size, 0
	.set _ZL29rocblas_internal_gemmt_kernelIlLi16ELi32ELi8ELc67ELc67ELc76ELb0ELb0EfPKfS1_PfEviT_T9_T10_S3_lS5_S3_lS4_T11_S3_li.uses_vcc, 1
	.set _ZL29rocblas_internal_gemmt_kernelIlLi16ELi32ELi8ELc67ELc67ELc76ELb0ELb0EfPKfS1_PfEviT_T9_T10_S3_lS5_S3_lS4_T11_S3_li.uses_flat_scratch, 0
	.set _ZL29rocblas_internal_gemmt_kernelIlLi16ELi32ELi8ELc67ELc67ELc76ELb0ELb0EfPKfS1_PfEviT_T9_T10_S3_lS5_S3_lS4_T11_S3_li.has_dyn_sized_stack, 0
	.set _ZL29rocblas_internal_gemmt_kernelIlLi16ELi32ELi8ELc67ELc67ELc76ELb0ELb0EfPKfS1_PfEviT_T9_T10_S3_lS5_S3_lS4_T11_S3_li.has_recursion, 0
	.set _ZL29rocblas_internal_gemmt_kernelIlLi16ELi32ELi8ELc67ELc67ELc76ELb0ELb0EfPKfS1_PfEviT_T9_T10_S3_lS5_S3_lS4_T11_S3_li.has_indirect_call, 0
	.section	.AMDGPU.csdata,"",@progbits
; Kernel info:
; codeLenInByte = 1420
; TotalNumSgprs: 46
; NumVgprs: 46
; ScratchSize: 0
; MemoryBound: 0
; FloatMode: 240
; IeeeMode: 1
; LDSByteSize: 2048 bytes/workgroup (compile time only)
; SGPRBlocks: 0
; VGPRBlocks: 5
; NumSGPRsForWavesPerEU: 46
; NumVGPRsForWavesPerEU: 46
; Occupancy: 16
; WaveLimiterHint : 0
; COMPUTE_PGM_RSRC2:SCRATCH_EN: 0
; COMPUTE_PGM_RSRC2:USER_SGPR: 6
; COMPUTE_PGM_RSRC2:TRAP_HANDLER: 0
; COMPUTE_PGM_RSRC2:TGID_X_EN: 1
; COMPUTE_PGM_RSRC2:TGID_Y_EN: 1
; COMPUTE_PGM_RSRC2:TGID_Z_EN: 1
; COMPUTE_PGM_RSRC2:TIDIG_COMP_CNT: 1
	.section	.text._ZL29rocblas_internal_gemmt_kernelIlLi16ELi32ELi8ELc78ELc78ELc85ELb0ELb0EffPKfPfEviT_T9_T10_S3_lS5_S3_lS4_T11_S3_li,"axG",@progbits,_ZL29rocblas_internal_gemmt_kernelIlLi16ELi32ELi8ELc78ELc78ELc85ELb0ELb0EffPKfPfEviT_T9_T10_S3_lS5_S3_lS4_T11_S3_li,comdat
	.globl	_ZL29rocblas_internal_gemmt_kernelIlLi16ELi32ELi8ELc78ELc78ELc85ELb0ELb0EffPKfPfEviT_T9_T10_S3_lS5_S3_lS4_T11_S3_li ; -- Begin function _ZL29rocblas_internal_gemmt_kernelIlLi16ELi32ELi8ELc78ELc78ELc85ELb0ELb0EffPKfPfEviT_T9_T10_S3_lS5_S3_lS4_T11_S3_li
	.p2align	8
	.type	_ZL29rocblas_internal_gemmt_kernelIlLi16ELi32ELi8ELc78ELc78ELc85ELb0ELb0EffPKfPfEviT_T9_T10_S3_lS5_S3_lS4_T11_S3_li,@function
_ZL29rocblas_internal_gemmt_kernelIlLi16ELi32ELi8ELc78ELc78ELc85ELb0ELb0EffPKfPfEviT_T9_T10_S3_lS5_S3_lS4_T11_S3_li: ; @_ZL29rocblas_internal_gemmt_kernelIlLi16ELi32ELi8ELc78ELc78ELc85ELb0ELb0EffPKfPfEviT_T9_T10_S3_lS5_S3_lS4_T11_S3_li
; %bb.0:
	s_clause 0x2
	s_load_dword s9, s[4:5], 0x48
	s_load_dwordx2 s[10:11], s[4:5], 0x8
	s_load_dword s20, s[4:5], 0x10
	s_waitcnt lgkmcnt(0)
	v_cmp_neq_f32_e64 s0, s9, 1.0
	s_and_b32 vcc_lo, exec_lo, s0
	s_cbranch_vccnz .LBB162_2
; %bb.1:
	v_cmp_neq_f32_e64 s0, s20, 0
	s_cmp_lg_u64 s[10:11], 0
	s_cselect_b32 s1, -1, 0
	s_and_b32 s0, s1, s0
.LBB162_2:
	s_andn2_b32 vcc_lo, exec_lo, s0
	s_cbranch_vccnz .LBB162_28
; %bb.3:
	s_load_dword s21, s[4:5], 0x0
	v_cmp_lt_i64_e64 s0, s[10:11], 1
	v_cmp_eq_f32_e64 s1, s20, 0
	v_mov_b32_e32 v5, 0
	v_mov_b32_e32 v4, 0
	;; [unrolled: 1-line block ×4, first 2 shown]
	s_or_b32 s0, s1, s0
	s_lshl_b32 s6, s6, 5
	s_and_b32 vcc_lo, exec_lo, s0
	s_lshl_b32 s7, s7, 5
	s_cbranch_vccnz .LBB162_12
; %bb.4:
	s_load_dwordx4 s[0:3], s[4:5], 0x38
	v_lshl_add_u32 v3, v1, 4, v0
	s_load_dwordx8 s[12:19], s[4:5], 0x18
	v_and_b32_e32 v8, 7, v0
	v_lshlrev_b32_e32 v16, 2, v0
	v_lshl_add_u32 v17, v1, 5, 0x400
	v_lshrrev_b32_e32 v11, 3, v3
	v_and_b32_e32 v4, 31, v3
	v_lshrrev_b32_e32 v9, 5, v3
	v_lshlrev_b32_e32 v12, 2, v8
	v_add_nc_u32_e32 v13, s7, v11
	v_or_b32_e32 v2, s6, v4
	v_lshlrev_b32_e32 v10, 2, v4
	v_ashrrev_i32_e32 v4, 31, v13
	v_ashrrev_i32_e32 v3, 31, v2
	v_lshl_or_b32 v10, v9, 7, v10
	s_waitcnt lgkmcnt(0)
	v_mul_lo_u32 v15, s1, v13
	v_mul_lo_u32 v14, s0, v4
	v_mad_u64_u32 v[4:5], null, s0, v13, 0
	s_mul_i32 s3, s3, s8
	s_mul_hi_u32 s22, s2, s8
	s_mul_i32 s2, s2, s8
	s_add_i32 s3, s22, s3
	s_mul_i32 s17, s17, s8
	s_lshl_b64 s[0:1], s[2:3], 2
	s_mul_hi_u32 s23, s16, s8
	s_mul_i32 s2, s16, s8
	s_add_u32 s16, s18, s0
	v_add3_u32 v5, v5, v14, v15
	s_addc_u32 s18, s19, s1
	s_add_i32 s3, s23, s17
	v_lshlrev_b64 v[6:7], 2, v[2:3]
	s_lshl_b64 s[0:1], s[2:3], 2
	v_lshl_or_b32 v14, v11, 5, v12
	s_add_u32 s2, s12, s0
	v_cmp_gt_i32_e64 s0, s21, v2
	v_lshlrev_b64 v[2:3], 2, v[4:5]
	s_addc_u32 s1, s13, s1
	v_add_co_u32 v11, vcc_lo, s2, v6
	v_add_co_ci_u32_e64 v12, null, s1, v7, vcc_lo
	v_cmp_gt_i32_e64 s1, s21, v13
	v_add_nc_u32_e32 v13, 0x400, v14
	v_add_co_u32 v14, vcc_lo, s16, v2
	v_add_co_ci_u32_e64 v15, null, s18, v3, vcc_lo
	v_mov_b32_e32 v3, 0
	v_mov_b32_e32 v6, 0
	v_mov_b32_e32 v7, 0
	v_mov_b32_e32 v4, 0
	v_mov_b32_e32 v5, 0
	s_mov_b64 s[2:3], 0
	s_branch .LBB162_6
.LBB162_5:                              ;   in Loop: Header=BB162_6 Depth=1
	s_or_b32 exec_lo, exec_lo, s12
	s_waitcnt vmcnt(0)
	ds_write_b32 v13, v19
	s_waitcnt lgkmcnt(0)
	s_barrier
	buffer_gl0_inv
	ds_read_b128 v[18:21], v17
	ds_read2_b32 v[34:35], v16 offset1:16
	ds_read_b128 v[22:25], v17 offset:512
	ds_read2_b32 v[36:37], v16 offset0:32 offset1:48
	ds_read2_b32 v[38:39], v16 offset0:64 offset1:80
	;; [unrolled: 1-line block ×3, first 2 shown]
	ds_read_b128 v[26:29], v17 offset:16
	ds_read2_b32 v[42:43], v16 offset0:128 offset1:144
	ds_read_b128 v[30:33], v17 offset:528
	ds_read2_b32 v[44:45], v16 offset0:160 offset1:176
	s_add_u32 s2, s2, 8
	s_addc_u32 s3, s3, 0
	v_cmp_gt_i64_e64 s12, s[10:11], s[2:3]
	s_and_b32 vcc_lo, exec_lo, s12
	s_waitcnt lgkmcnt(8)
	v_fmac_f32_e32 v5, v34, v18
	v_fmac_f32_e32 v4, v35, v18
	s_waitcnt lgkmcnt(7)
	v_fmac_f32_e32 v7, v34, v22
	v_fmac_f32_e32 v6, v35, v22
	ds_read2_b32 v[34:35], v16 offset0:192 offset1:208
	s_waitcnt lgkmcnt(7)
	v_fmac_f32_e32 v5, v36, v19
	v_fmac_f32_e32 v4, v37, v19
	;; [unrolled: 1-line block ×4, first 2 shown]
	ds_read2_b32 v[18:19], v16 offset0:224 offset1:240
	s_waitcnt lgkmcnt(7)
	v_fmac_f32_e32 v5, v38, v20
	v_fmac_f32_e32 v4, v39, v20
	;; [unrolled: 1-line block ×4, first 2 shown]
	s_waitcnt lgkmcnt(0)
	v_fmac_f32_e32 v5, v40, v21
	v_fmac_f32_e32 v4, v41, v21
	v_fmac_f32_e32 v7, v40, v25
	v_fmac_f32_e32 v6, v41, v25
	s_barrier
	v_fmac_f32_e32 v5, v42, v26
	v_fmac_f32_e32 v4, v43, v26
	v_fmac_f32_e32 v7, v42, v30
	v_fmac_f32_e32 v6, v43, v30
	buffer_gl0_inv
	v_fmac_f32_e32 v5, v44, v27
	v_fmac_f32_e32 v4, v45, v27
	;; [unrolled: 1-line block ×12, first 2 shown]
	s_cbranch_vccz .LBB162_12
.LBB162_6:                              ; =>This Inner Loop Header: Depth=1
	v_mov_b32_e32 v18, 0
	s_and_saveexec_b32 s12, s0
	s_cbranch_execz .LBB162_10
; %bb.7:                                ;   in Loop: Header=BB162_6 Depth=1
	v_add_nc_u32_e32 v2, s2, v9
	v_mov_b32_e32 v18, 0
	s_mov_b32 s13, exec_lo
	v_cmpx_gt_u64_e64 s[10:11], v[2:3]
	s_cbranch_execz .LBB162_9
; %bb.8:                                ;   in Loop: Header=BB162_6 Depth=1
	v_mad_u64_u32 v[18:19], null, s14, v2, 0
	v_mad_u64_u32 v[19:20], null, s15, v2, v[19:20]
	v_lshlrev_b64 v[18:19], 2, v[18:19]
	v_add_co_u32 v18, vcc_lo, v11, v18
	v_add_co_ci_u32_e64 v19, null, v12, v19, vcc_lo
	global_load_dword v18, v[18:19], off
.LBB162_9:                              ;   in Loop: Header=BB162_6 Depth=1
	s_or_b32 exec_lo, exec_lo, s13
.LBB162_10:                             ;   in Loop: Header=BB162_6 Depth=1
	s_or_b32 exec_lo, exec_lo, s12
	v_add_nc_u32_e32 v2, s2, v8
	v_mov_b32_e32 v19, 0
	s_waitcnt vmcnt(0)
	ds_write_b32 v10, v18
	v_cmp_gt_u64_e32 vcc_lo, s[10:11], v[2:3]
	s_and_b32 s13, vcc_lo, s1
	s_and_saveexec_b32 s12, s13
	s_cbranch_execz .LBB162_5
; %bb.11:                               ;   in Loop: Header=BB162_6 Depth=1
	v_lshlrev_b64 v[18:19], 2, v[2:3]
	v_add_co_u32 v18, vcc_lo, v14, v18
	v_add_co_ci_u32_e64 v19, null, v15, v19, vcc_lo
	global_load_dword v19, v[18:19], off
	s_branch .LBB162_5
.LBB162_12:
	s_clause 0x1
	s_load_dwordx4 s[12:15], s[4:5], 0x50
	s_load_dwordx2 s[2:3], s[4:5], 0x60
	v_add_nc_u32_e32 v9, s7, v1
	v_add_nc_u32_e32 v0, s6, v0
	v_cmp_neq_f32_e64 s4, s9, 0
	v_ashrrev_i32_e32 v1, 31, v9
	s_waitcnt lgkmcnt(0)
	v_cmp_gt_i32_e64 s0, s21, v9
	v_cmp_le_i32_e32 vcc_lo, v0, v9
	v_mul_lo_u32 v3, s14, v1
	v_mul_lo_u32 v8, s15, v9
	v_mad_u64_u32 v[1:2], null, s14, v9, 0
	s_mul_i32 s1, s3, s8
	s_mul_hi_u32 s3, s2, s8
	s_mul_i32 s2, s2, s8
	s_add_i32 s3, s3, s1
	s_lshl_b64 s[2:3], s[2:3], 2
	v_add3_u32 v2, v2, v3, v8
	s_add_u32 s2, s12, s2
	s_addc_u32 s3, s13, s3
	v_cndmask_b32_e64 v8, 0, 1, s4
	s_and_b32 s5, s0, vcc_lo
	v_lshlrev_b64 v[2:3], 2, v[1:2]
	v_ashrrev_i32_e32 v1, 31, v0
	v_add_co_u32 v10, s1, s2, v2
	v_add_co_ci_u32_e64 v11, null, s3, v3, s1
	s_and_saveexec_b32 s1, s5
	s_cbranch_execz .LBB162_16
; %bb.13:
	v_lshlrev_b64 v[2:3], 2, v[0:1]
	v_mul_f32_e32 v5, s20, v5
	v_add_co_u32 v2, vcc_lo, v10, v2
	v_add_co_ci_u32_e64 v3, null, v11, v3, vcc_lo
	s_andn2_b32 vcc_lo, exec_lo, s4
	s_cbranch_vccnz .LBB162_15
; %bb.14:
	global_load_dword v12, v[2:3], off
	s_waitcnt vmcnt(0)
	v_fmac_f32_e32 v5, s9, v12
.LBB162_15:
	global_store_dword v[2:3], v5, off
.LBB162_16:
	s_or_b32 exec_lo, exec_lo, s1
	v_add_nc_u32_e32 v2, 16, v0
	v_cmp_le_i32_e32 vcc_lo, v2, v9
	v_ashrrev_i32_e32 v3, 31, v2
	s_and_b32 s0, s0, vcc_lo
	s_and_saveexec_b32 s1, s0
	s_cbranch_execz .LBB162_20
; %bb.17:
	v_lshlrev_b64 v[13:14], 2, v[2:3]
	v_mul_f32_e32 v12, s20, v4
	v_cmp_ne_u32_e32 vcc_lo, 1, v8
	v_add_co_u32 v4, s0, v10, v13
	v_add_co_ci_u32_e64 v5, null, v11, v14, s0
	s_cbranch_vccnz .LBB162_19
; %bb.18:
	global_load_dword v10, v[4:5], off
	s_waitcnt vmcnt(0)
	v_fmac_f32_e32 v12, s9, v10
.LBB162_19:
	global_store_dword v[4:5], v12, off
.LBB162_20:
	s_or_b32 exec_lo, exec_lo, s1
	v_add_nc_u32_e32 v9, 16, v9
	v_ashrrev_i32_e32 v10, 31, v9
	v_mul_lo_u32 v11, s15, v9
	v_mad_u64_u32 v[4:5], null, s14, v9, 0
	v_cmp_gt_i32_e64 s0, s21, v9
	v_mul_lo_u32 v10, s14, v10
	v_cmp_le_i32_e32 vcc_lo, v0, v9
	v_add3_u32 v5, v5, v10, v11
	v_lshlrev_b64 v[4:5], 2, v[4:5]
	v_add_co_u32 v4, s1, s2, v4
	v_add_co_ci_u32_e64 v5, null, s3, v5, s1
	s_and_b32 s1, s0, vcc_lo
	s_and_saveexec_b32 s2, s1
	s_cbranch_execz .LBB162_24
; %bb.21:
	v_lshlrev_b64 v[0:1], 2, v[0:1]
	v_cmp_ne_u32_e32 vcc_lo, 1, v8
	v_mul_f32_e32 v7, s20, v7
	v_add_co_u32 v0, s1, v4, v0
	v_add_co_ci_u32_e64 v1, null, v5, v1, s1
	s_cbranch_vccnz .LBB162_23
; %bb.22:
	global_load_dword v10, v[0:1], off
	s_waitcnt vmcnt(0)
	v_fmac_f32_e32 v7, s9, v10
.LBB162_23:
	global_store_dword v[0:1], v7, off
.LBB162_24:
	s_or_b32 exec_lo, exec_lo, s2
	v_cmp_le_i32_e32 vcc_lo, v2, v9
	s_and_b32 s0, s0, vcc_lo
	s_and_saveexec_b32 s1, s0
	s_cbranch_execz .LBB162_28
; %bb.25:
	v_lshlrev_b64 v[0:1], 2, v[2:3]
	v_cmp_ne_u32_e32 vcc_lo, 1, v8
	v_mul_f32_e32 v2, s20, v6
	v_add_co_u32 v0, s0, v4, v0
	v_add_co_ci_u32_e64 v1, null, v5, v1, s0
	s_cbranch_vccnz .LBB162_27
; %bb.26:
	global_load_dword v3, v[0:1], off
	s_waitcnt vmcnt(0)
	v_fmac_f32_e32 v2, s9, v3
.LBB162_27:
	global_store_dword v[0:1], v2, off
.LBB162_28:
	s_endpgm
	.section	.rodata,"a",@progbits
	.p2align	6, 0x0
	.amdhsa_kernel _ZL29rocblas_internal_gemmt_kernelIlLi16ELi32ELi8ELc78ELc78ELc85ELb0ELb0EffPKfPfEviT_T9_T10_S3_lS5_S3_lS4_T11_S3_li
		.amdhsa_group_segment_fixed_size 2048
		.amdhsa_private_segment_fixed_size 0
		.amdhsa_kernarg_size 108
		.amdhsa_user_sgpr_count 6
		.amdhsa_user_sgpr_private_segment_buffer 1
		.amdhsa_user_sgpr_dispatch_ptr 0
		.amdhsa_user_sgpr_queue_ptr 0
		.amdhsa_user_sgpr_kernarg_segment_ptr 1
		.amdhsa_user_sgpr_dispatch_id 0
		.amdhsa_user_sgpr_flat_scratch_init 0
		.amdhsa_user_sgpr_private_segment_size 0
		.amdhsa_wavefront_size32 1
		.amdhsa_uses_dynamic_stack 0
		.amdhsa_system_sgpr_private_segment_wavefront_offset 0
		.amdhsa_system_sgpr_workgroup_id_x 1
		.amdhsa_system_sgpr_workgroup_id_y 1
		.amdhsa_system_sgpr_workgroup_id_z 1
		.amdhsa_system_sgpr_workgroup_info 0
		.amdhsa_system_vgpr_workitem_id 1
		.amdhsa_next_free_vgpr 46
		.amdhsa_next_free_sgpr 24
		.amdhsa_reserve_vcc 1
		.amdhsa_reserve_flat_scratch 0
		.amdhsa_float_round_mode_32 0
		.amdhsa_float_round_mode_16_64 0
		.amdhsa_float_denorm_mode_32 3
		.amdhsa_float_denorm_mode_16_64 3
		.amdhsa_dx10_clamp 1
		.amdhsa_ieee_mode 1
		.amdhsa_fp16_overflow 0
		.amdhsa_workgroup_processor_mode 1
		.amdhsa_memory_ordered 1
		.amdhsa_forward_progress 1
		.amdhsa_shared_vgpr_count 0
		.amdhsa_exception_fp_ieee_invalid_op 0
		.amdhsa_exception_fp_denorm_src 0
		.amdhsa_exception_fp_ieee_div_zero 0
		.amdhsa_exception_fp_ieee_overflow 0
		.amdhsa_exception_fp_ieee_underflow 0
		.amdhsa_exception_fp_ieee_inexact 0
		.amdhsa_exception_int_div_zero 0
	.end_amdhsa_kernel
	.section	.text._ZL29rocblas_internal_gemmt_kernelIlLi16ELi32ELi8ELc78ELc78ELc85ELb0ELb0EffPKfPfEviT_T9_T10_S3_lS5_S3_lS4_T11_S3_li,"axG",@progbits,_ZL29rocblas_internal_gemmt_kernelIlLi16ELi32ELi8ELc78ELc78ELc85ELb0ELb0EffPKfPfEviT_T9_T10_S3_lS5_S3_lS4_T11_S3_li,comdat
.Lfunc_end162:
	.size	_ZL29rocblas_internal_gemmt_kernelIlLi16ELi32ELi8ELc78ELc78ELc85ELb0ELb0EffPKfPfEviT_T9_T10_S3_lS5_S3_lS4_T11_S3_li, .Lfunc_end162-_ZL29rocblas_internal_gemmt_kernelIlLi16ELi32ELi8ELc78ELc78ELc85ELb0ELb0EffPKfPfEviT_T9_T10_S3_lS5_S3_lS4_T11_S3_li
                                        ; -- End function
	.set _ZL29rocblas_internal_gemmt_kernelIlLi16ELi32ELi8ELc78ELc78ELc85ELb0ELb0EffPKfPfEviT_T9_T10_S3_lS5_S3_lS4_T11_S3_li.num_vgpr, 46
	.set _ZL29rocblas_internal_gemmt_kernelIlLi16ELi32ELi8ELc78ELc78ELc85ELb0ELb0EffPKfPfEviT_T9_T10_S3_lS5_S3_lS4_T11_S3_li.num_agpr, 0
	.set _ZL29rocblas_internal_gemmt_kernelIlLi16ELi32ELi8ELc78ELc78ELc85ELb0ELb0EffPKfPfEviT_T9_T10_S3_lS5_S3_lS4_T11_S3_li.numbered_sgpr, 24
	.set _ZL29rocblas_internal_gemmt_kernelIlLi16ELi32ELi8ELc78ELc78ELc85ELb0ELb0EffPKfPfEviT_T9_T10_S3_lS5_S3_lS4_T11_S3_li.num_named_barrier, 0
	.set _ZL29rocblas_internal_gemmt_kernelIlLi16ELi32ELi8ELc78ELc78ELc85ELb0ELb0EffPKfPfEviT_T9_T10_S3_lS5_S3_lS4_T11_S3_li.private_seg_size, 0
	.set _ZL29rocblas_internal_gemmt_kernelIlLi16ELi32ELi8ELc78ELc78ELc85ELb0ELb0EffPKfPfEviT_T9_T10_S3_lS5_S3_lS4_T11_S3_li.uses_vcc, 1
	.set _ZL29rocblas_internal_gemmt_kernelIlLi16ELi32ELi8ELc78ELc78ELc85ELb0ELb0EffPKfPfEviT_T9_T10_S3_lS5_S3_lS4_T11_S3_li.uses_flat_scratch, 0
	.set _ZL29rocblas_internal_gemmt_kernelIlLi16ELi32ELi8ELc78ELc78ELc85ELb0ELb0EffPKfPfEviT_T9_T10_S3_lS5_S3_lS4_T11_S3_li.has_dyn_sized_stack, 0
	.set _ZL29rocblas_internal_gemmt_kernelIlLi16ELi32ELi8ELc78ELc78ELc85ELb0ELb0EffPKfPfEviT_T9_T10_S3_lS5_S3_lS4_T11_S3_li.has_recursion, 0
	.set _ZL29rocblas_internal_gemmt_kernelIlLi16ELi32ELi8ELc78ELc78ELc85ELb0ELb0EffPKfPfEviT_T9_T10_S3_lS5_S3_lS4_T11_S3_li.has_indirect_call, 0
	.section	.AMDGPU.csdata,"",@progbits
; Kernel info:
; codeLenInByte = 1448
; TotalNumSgprs: 26
; NumVgprs: 46
; ScratchSize: 0
; MemoryBound: 0
; FloatMode: 240
; IeeeMode: 1
; LDSByteSize: 2048 bytes/workgroup (compile time only)
; SGPRBlocks: 0
; VGPRBlocks: 5
; NumSGPRsForWavesPerEU: 26
; NumVGPRsForWavesPerEU: 46
; Occupancy: 16
; WaveLimiterHint : 0
; COMPUTE_PGM_RSRC2:SCRATCH_EN: 0
; COMPUTE_PGM_RSRC2:USER_SGPR: 6
; COMPUTE_PGM_RSRC2:TRAP_HANDLER: 0
; COMPUTE_PGM_RSRC2:TGID_X_EN: 1
; COMPUTE_PGM_RSRC2:TGID_Y_EN: 1
; COMPUTE_PGM_RSRC2:TGID_Z_EN: 1
; COMPUTE_PGM_RSRC2:TIDIG_COMP_CNT: 1
	.section	.text._ZL29rocblas_internal_gemmt_kernelIlLi16ELi32ELi8ELc78ELc84ELc85ELb0ELb0EffPKfPfEviT_T9_T10_S3_lS5_S3_lS4_T11_S3_li,"axG",@progbits,_ZL29rocblas_internal_gemmt_kernelIlLi16ELi32ELi8ELc78ELc84ELc85ELb0ELb0EffPKfPfEviT_T9_T10_S3_lS5_S3_lS4_T11_S3_li,comdat
	.globl	_ZL29rocblas_internal_gemmt_kernelIlLi16ELi32ELi8ELc78ELc84ELc85ELb0ELb0EffPKfPfEviT_T9_T10_S3_lS5_S3_lS4_T11_S3_li ; -- Begin function _ZL29rocblas_internal_gemmt_kernelIlLi16ELi32ELi8ELc78ELc84ELc85ELb0ELb0EffPKfPfEviT_T9_T10_S3_lS5_S3_lS4_T11_S3_li
	.p2align	8
	.type	_ZL29rocblas_internal_gemmt_kernelIlLi16ELi32ELi8ELc78ELc84ELc85ELb0ELb0EffPKfPfEviT_T9_T10_S3_lS5_S3_lS4_T11_S3_li,@function
_ZL29rocblas_internal_gemmt_kernelIlLi16ELi32ELi8ELc78ELc84ELc85ELb0ELb0EffPKfPfEviT_T9_T10_S3_lS5_S3_lS4_T11_S3_li: ; @_ZL29rocblas_internal_gemmt_kernelIlLi16ELi32ELi8ELc78ELc84ELc85ELb0ELb0EffPKfPfEviT_T9_T10_S3_lS5_S3_lS4_T11_S3_li
; %bb.0:
	s_clause 0x2
	s_load_dword s9, s[4:5], 0x48
	s_load_dwordx2 s[2:3], s[4:5], 0x8
	s_load_dword s10, s[4:5], 0x10
	s_waitcnt lgkmcnt(0)
	v_cmp_neq_f32_e64 s0, s9, 1.0
	s_and_b32 vcc_lo, exec_lo, s0
	s_cbranch_vccnz .LBB163_2
; %bb.1:
	v_cmp_neq_f32_e64 s0, s10, 0
	s_cmp_lg_u64 s[2:3], 0
	s_cselect_b32 s1, -1, 0
	s_and_b32 s0, s1, s0
.LBB163_2:
	s_andn2_b32 vcc_lo, exec_lo, s0
	s_cbranch_vccnz .LBB163_28
; %bb.3:
	s_load_dword s11, s[4:5], 0x0
	v_cmp_lt_i64_e64 s0, s[2:3], 1
	v_cmp_eq_f32_e64 s1, s10, 0
	v_mov_b32_e32 v8, 0
	v_mov_b32_e32 v4, 0
	;; [unrolled: 1-line block ×4, first 2 shown]
	s_or_b32 s0, s1, s0
	s_lshl_b32 s24, s6, 5
	s_and_b32 vcc_lo, exec_lo, s0
	s_lshl_b32 s25, s7, 5
	s_cbranch_vccnz .LBB163_12
; %bb.4:
	s_clause 0x1
	s_load_dwordx4 s[20:23], s[4:5], 0x38
	s_load_dwordx8 s[12:19], s[4:5], 0x18
	v_lshl_add_u32 v2, v1, 4, v0
	v_and_b32_e32 v5, 7, v0
	v_lshlrev_b32_e32 v16, 2, v0
	v_lshl_add_u32 v17, v1, 5, 0x400
	v_and_b32_e32 v3, 31, v2
	v_lshrrev_b32_e32 v4, 3, v2
	v_lshrrev_b32_e32 v9, 5, v2
	v_lshlrev_b32_e32 v7, 2, v5
	v_or_b32_e32 v2, s24, v3
	v_lshlrev_b32_e32 v3, 2, v3
	v_add_nc_u32_e32 v6, s25, v4
	v_lshl_or_b32 v4, v4, 5, v7
	s_waitcnt lgkmcnt(0)
	v_cmp_gt_i32_e64 s0, s11, v2
	v_lshl_or_b32 v10, v9, 7, v3
	v_ashrrev_i32_e32 v3, 31, v2
	s_mul_i32 s1, s23, s8
	s_mul_hi_u32 s7, s22, s8
	s_mul_i32 s6, s22, s8
	s_add_i32 s7, s7, s1
	v_ashrrev_i32_e32 v7, 31, v6
	s_lshl_b64 s[6:7], s[6:7], 2
	s_mul_i32 s17, s17, s8
	s_mul_hi_u32 s1, s16, s8
	s_add_u32 s18, s18, s6
	s_mul_i32 s16, s16, s8
	s_addc_u32 s19, s19, s7
	s_add_i32 s17, s1, s17
	v_lshlrev_b64 v[2:3], 2, v[2:3]
	s_lshl_b64 s[6:7], s[16:17], 2
	v_lshlrev_b64 v[7:8], 2, v[6:7]
	s_add_u32 s1, s12, s6
	s_addc_u32 s6, s13, s7
	v_add_nc_u32_e32 v13, 0x400, v4
	v_add_co_u32 v11, vcc_lo, s1, v2
	v_add_co_ci_u32_e64 v12, null, s6, v3, vcc_lo
	v_add_co_u32 v14, vcc_lo, s18, v7
	v_cmp_gt_i32_e64 s1, s11, v6
	v_add_co_ci_u32_e64 v15, null, s19, v8, vcc_lo
	v_mov_b32_e32 v3, 0
	v_mov_b32_e32 v6, 0
	;; [unrolled: 1-line block ×5, first 2 shown]
	s_mov_b64 s[6:7], 0
	s_branch .LBB163_6
.LBB163_5:                              ;   in Loop: Header=BB163_6 Depth=1
	s_or_b32 exec_lo, exec_lo, s12
	s_waitcnt vmcnt(0)
	ds_write_b32 v13, v19
	s_waitcnt lgkmcnt(0)
	s_barrier
	buffer_gl0_inv
	ds_read_b128 v[18:21], v17
	ds_read2_b32 v[34:35], v16 offset1:16
	ds_read_b128 v[22:25], v17 offset:512
	ds_read2_b32 v[36:37], v16 offset0:32 offset1:48
	ds_read2_b32 v[38:39], v16 offset0:64 offset1:80
	;; [unrolled: 1-line block ×3, first 2 shown]
	ds_read_b128 v[26:29], v17 offset:16
	ds_read2_b32 v[42:43], v16 offset0:128 offset1:144
	ds_read_b128 v[30:33], v17 offset:528
	ds_read2_b32 v[44:45], v16 offset0:160 offset1:176
	s_add_u32 s6, s6, 8
	s_addc_u32 s7, s7, 0
	v_cmp_gt_i64_e64 s12, s[2:3], s[6:7]
	s_and_b32 vcc_lo, exec_lo, s12
	s_waitcnt lgkmcnt(8)
	v_fmac_f32_e32 v8, v34, v18
	v_fmac_f32_e32 v4, v35, v18
	s_waitcnt lgkmcnt(7)
	v_fmac_f32_e32 v7, v34, v22
	v_fmac_f32_e32 v6, v35, v22
	ds_read2_b32 v[34:35], v16 offset0:192 offset1:208
	s_waitcnt lgkmcnt(7)
	v_fmac_f32_e32 v8, v36, v19
	v_fmac_f32_e32 v4, v37, v19
	v_fmac_f32_e32 v7, v36, v23
	v_fmac_f32_e32 v6, v37, v23
	ds_read2_b32 v[18:19], v16 offset0:224 offset1:240
	s_waitcnt lgkmcnt(7)
	v_fmac_f32_e32 v8, v38, v20
	v_fmac_f32_e32 v4, v39, v20
	;; [unrolled: 1-line block ×4, first 2 shown]
	s_waitcnt lgkmcnt(0)
	v_fmac_f32_e32 v8, v40, v21
	v_fmac_f32_e32 v4, v41, v21
	;; [unrolled: 1-line block ×4, first 2 shown]
	s_barrier
	v_fmac_f32_e32 v8, v42, v26
	v_fmac_f32_e32 v4, v43, v26
	;; [unrolled: 1-line block ×4, first 2 shown]
	buffer_gl0_inv
	v_fmac_f32_e32 v8, v44, v27
	v_fmac_f32_e32 v4, v45, v27
	;; [unrolled: 1-line block ×12, first 2 shown]
	s_cbranch_vccz .LBB163_12
.LBB163_6:                              ; =>This Inner Loop Header: Depth=1
	v_mov_b32_e32 v18, 0
	s_and_saveexec_b32 s12, s0
	s_cbranch_execz .LBB163_10
; %bb.7:                                ;   in Loop: Header=BB163_6 Depth=1
	v_add_nc_u32_e32 v2, s6, v9
	v_mov_b32_e32 v18, 0
	s_mov_b32 s13, exec_lo
	v_cmpx_gt_u64_e64 s[2:3], v[2:3]
	s_cbranch_execz .LBB163_9
; %bb.8:                                ;   in Loop: Header=BB163_6 Depth=1
	v_mad_u64_u32 v[18:19], null, s14, v2, 0
	v_mad_u64_u32 v[19:20], null, s15, v2, v[19:20]
	v_lshlrev_b64 v[18:19], 2, v[18:19]
	v_add_co_u32 v18, vcc_lo, v11, v18
	v_add_co_ci_u32_e64 v19, null, v12, v19, vcc_lo
	global_load_dword v18, v[18:19], off
.LBB163_9:                              ;   in Loop: Header=BB163_6 Depth=1
	s_or_b32 exec_lo, exec_lo, s13
.LBB163_10:                             ;   in Loop: Header=BB163_6 Depth=1
	s_or_b32 exec_lo, exec_lo, s12
	v_add_nc_u32_e32 v2, s6, v5
	v_mov_b32_e32 v19, 0
	s_waitcnt vmcnt(0)
	ds_write_b32 v10, v18
	v_cmp_gt_u64_e32 vcc_lo, s[2:3], v[2:3]
	s_and_b32 s13, vcc_lo, s1
	s_and_saveexec_b32 s12, s13
	s_cbranch_execz .LBB163_5
; %bb.11:                               ;   in Loop: Header=BB163_6 Depth=1
	v_mad_u64_u32 v[18:19], null, s20, v2, 0
	v_mad_u64_u32 v[19:20], null, s21, v2, v[19:20]
	v_lshlrev_b64 v[18:19], 2, v[18:19]
	v_add_co_u32 v18, vcc_lo, v14, v18
	v_add_co_ci_u32_e64 v19, null, v15, v19, vcc_lo
	global_load_dword v19, v[18:19], off
	s_branch .LBB163_5
.LBB163_12:
	s_clause 0x1
	s_load_dwordx4 s[12:15], s[4:5], 0x50
	s_load_dwordx2 s[2:3], s[4:5], 0x60
	v_add_nc_u32_e32 v10, s25, v1
	v_add_nc_u32_e32 v0, s24, v0
	v_cmp_neq_f32_e64 s4, s9, 0
	v_ashrrev_i32_e32 v1, 31, v10
	s_waitcnt lgkmcnt(0)
	v_cmp_gt_i32_e64 s0, s11, v10
	v_cmp_le_i32_e32 vcc_lo, v0, v10
	v_cndmask_b32_e64 v9, 0, 1, s4
	v_mul_lo_u32 v3, s14, v1
	v_mul_lo_u32 v5, s15, v10
	v_mad_u64_u32 v[1:2], null, s14, v10, 0
	s_mul_i32 s1, s3, s8
	s_mul_hi_u32 s3, s2, s8
	s_mul_i32 s2, s2, s8
	s_add_i32 s3, s3, s1
	s_lshl_b64 s[2:3], s[2:3], 2
	v_add3_u32 v2, v2, v3, v5
	s_add_u32 s2, s12, s2
	s_addc_u32 s3, s13, s3
	s_and_b32 s5, s0, vcc_lo
	v_lshlrev_b64 v[2:3], 2, v[1:2]
	v_ashrrev_i32_e32 v1, 31, v0
	v_add_co_u32 v5, s1, s2, v2
	v_add_co_ci_u32_e64 v11, null, s3, v3, s1
	s_and_saveexec_b32 s1, s5
	s_cbranch_execz .LBB163_16
; %bb.13:
	v_lshlrev_b64 v[2:3], 2, v[0:1]
	v_mul_f32_e32 v8, s10, v8
	v_add_co_u32 v2, vcc_lo, v5, v2
	v_add_co_ci_u32_e64 v3, null, v11, v3, vcc_lo
	s_andn2_b32 vcc_lo, exec_lo, s4
	s_cbranch_vccnz .LBB163_15
; %bb.14:
	global_load_dword v12, v[2:3], off
	s_waitcnt vmcnt(0)
	v_fmac_f32_e32 v8, s9, v12
.LBB163_15:
	global_store_dword v[2:3], v8, off
.LBB163_16:
	s_or_b32 exec_lo, exec_lo, s1
	v_add_nc_u32_e32 v2, 16, v0
	v_cmp_le_i32_e32 vcc_lo, v2, v10
	v_ashrrev_i32_e32 v3, 31, v2
	s_and_b32 s0, s0, vcc_lo
	s_and_saveexec_b32 s1, s0
	s_cbranch_execz .LBB163_20
; %bb.17:
	v_lshlrev_b64 v[12:13], 2, v[2:3]
	v_mul_f32_e32 v8, s10, v4
	v_cmp_ne_u32_e32 vcc_lo, 1, v9
	v_add_co_u32 v4, s0, v5, v12
	v_add_co_ci_u32_e64 v5, null, v11, v13, s0
	s_cbranch_vccnz .LBB163_19
; %bb.18:
	global_load_dword v11, v[4:5], off
	s_waitcnt vmcnt(0)
	v_fmac_f32_e32 v8, s9, v11
.LBB163_19:
	global_store_dword v[4:5], v8, off
.LBB163_20:
	s_or_b32 exec_lo, exec_lo, s1
	v_add_nc_u32_e32 v8, 16, v10
	v_ashrrev_i32_e32 v10, 31, v8
	v_mul_lo_u32 v11, s15, v8
	v_mad_u64_u32 v[4:5], null, s14, v8, 0
	v_cmp_gt_i32_e64 s0, s11, v8
	v_mul_lo_u32 v10, s14, v10
	v_cmp_le_i32_e32 vcc_lo, v0, v8
	v_add3_u32 v5, v5, v10, v11
	v_lshlrev_b64 v[4:5], 2, v[4:5]
	v_add_co_u32 v4, s1, s2, v4
	v_add_co_ci_u32_e64 v5, null, s3, v5, s1
	s_and_b32 s1, s0, vcc_lo
	s_and_saveexec_b32 s2, s1
	s_cbranch_execz .LBB163_24
; %bb.21:
	v_lshlrev_b64 v[0:1], 2, v[0:1]
	v_cmp_ne_u32_e32 vcc_lo, 1, v9
	v_mul_f32_e32 v7, s10, v7
	v_add_co_u32 v0, s1, v4, v0
	v_add_co_ci_u32_e64 v1, null, v5, v1, s1
	s_cbranch_vccnz .LBB163_23
; %bb.22:
	global_load_dword v10, v[0:1], off
	s_waitcnt vmcnt(0)
	v_fmac_f32_e32 v7, s9, v10
.LBB163_23:
	global_store_dword v[0:1], v7, off
.LBB163_24:
	s_or_b32 exec_lo, exec_lo, s2
	v_cmp_le_i32_e32 vcc_lo, v2, v8
	s_and_b32 s0, s0, vcc_lo
	s_and_saveexec_b32 s1, s0
	s_cbranch_execz .LBB163_28
; %bb.25:
	v_lshlrev_b64 v[0:1], 2, v[2:3]
	v_cmp_ne_u32_e32 vcc_lo, 1, v9
	v_mul_f32_e32 v2, s10, v6
	v_add_co_u32 v0, s0, v4, v0
	v_add_co_ci_u32_e64 v1, null, v5, v1, s0
	s_cbranch_vccnz .LBB163_27
; %bb.26:
	global_load_dword v3, v[0:1], off
	s_waitcnt vmcnt(0)
	v_fmac_f32_e32 v2, s9, v3
.LBB163_27:
	global_store_dword v[0:1], v2, off
.LBB163_28:
	s_endpgm
	.section	.rodata,"a",@progbits
	.p2align	6, 0x0
	.amdhsa_kernel _ZL29rocblas_internal_gemmt_kernelIlLi16ELi32ELi8ELc78ELc84ELc85ELb0ELb0EffPKfPfEviT_T9_T10_S3_lS5_S3_lS4_T11_S3_li
		.amdhsa_group_segment_fixed_size 2048
		.amdhsa_private_segment_fixed_size 0
		.amdhsa_kernarg_size 108
		.amdhsa_user_sgpr_count 6
		.amdhsa_user_sgpr_private_segment_buffer 1
		.amdhsa_user_sgpr_dispatch_ptr 0
		.amdhsa_user_sgpr_queue_ptr 0
		.amdhsa_user_sgpr_kernarg_segment_ptr 1
		.amdhsa_user_sgpr_dispatch_id 0
		.amdhsa_user_sgpr_flat_scratch_init 0
		.amdhsa_user_sgpr_private_segment_size 0
		.amdhsa_wavefront_size32 1
		.amdhsa_uses_dynamic_stack 0
		.amdhsa_system_sgpr_private_segment_wavefront_offset 0
		.amdhsa_system_sgpr_workgroup_id_x 1
		.amdhsa_system_sgpr_workgroup_id_y 1
		.amdhsa_system_sgpr_workgroup_id_z 1
		.amdhsa_system_sgpr_workgroup_info 0
		.amdhsa_system_vgpr_workitem_id 1
		.amdhsa_next_free_vgpr 46
		.amdhsa_next_free_sgpr 26
		.amdhsa_reserve_vcc 1
		.amdhsa_reserve_flat_scratch 0
		.amdhsa_float_round_mode_32 0
		.amdhsa_float_round_mode_16_64 0
		.amdhsa_float_denorm_mode_32 3
		.amdhsa_float_denorm_mode_16_64 3
		.amdhsa_dx10_clamp 1
		.amdhsa_ieee_mode 1
		.amdhsa_fp16_overflow 0
		.amdhsa_workgroup_processor_mode 1
		.amdhsa_memory_ordered 1
		.amdhsa_forward_progress 1
		.amdhsa_shared_vgpr_count 0
		.amdhsa_exception_fp_ieee_invalid_op 0
		.amdhsa_exception_fp_denorm_src 0
		.amdhsa_exception_fp_ieee_div_zero 0
		.amdhsa_exception_fp_ieee_overflow 0
		.amdhsa_exception_fp_ieee_underflow 0
		.amdhsa_exception_fp_ieee_inexact 0
		.amdhsa_exception_int_div_zero 0
	.end_amdhsa_kernel
	.section	.text._ZL29rocblas_internal_gemmt_kernelIlLi16ELi32ELi8ELc78ELc84ELc85ELb0ELb0EffPKfPfEviT_T9_T10_S3_lS5_S3_lS4_T11_S3_li,"axG",@progbits,_ZL29rocblas_internal_gemmt_kernelIlLi16ELi32ELi8ELc78ELc84ELc85ELb0ELb0EffPKfPfEviT_T9_T10_S3_lS5_S3_lS4_T11_S3_li,comdat
.Lfunc_end163:
	.size	_ZL29rocblas_internal_gemmt_kernelIlLi16ELi32ELi8ELc78ELc84ELc85ELb0ELb0EffPKfPfEviT_T9_T10_S3_lS5_S3_lS4_T11_S3_li, .Lfunc_end163-_ZL29rocblas_internal_gemmt_kernelIlLi16ELi32ELi8ELc78ELc84ELc85ELb0ELb0EffPKfPfEviT_T9_T10_S3_lS5_S3_lS4_T11_S3_li
                                        ; -- End function
	.set _ZL29rocblas_internal_gemmt_kernelIlLi16ELi32ELi8ELc78ELc84ELc85ELb0ELb0EffPKfPfEviT_T9_T10_S3_lS5_S3_lS4_T11_S3_li.num_vgpr, 46
	.set _ZL29rocblas_internal_gemmt_kernelIlLi16ELi32ELi8ELc78ELc84ELc85ELb0ELb0EffPKfPfEviT_T9_T10_S3_lS5_S3_lS4_T11_S3_li.num_agpr, 0
	.set _ZL29rocblas_internal_gemmt_kernelIlLi16ELi32ELi8ELc78ELc84ELc85ELb0ELb0EffPKfPfEviT_T9_T10_S3_lS5_S3_lS4_T11_S3_li.numbered_sgpr, 26
	.set _ZL29rocblas_internal_gemmt_kernelIlLi16ELi32ELi8ELc78ELc84ELc85ELb0ELb0EffPKfPfEviT_T9_T10_S3_lS5_S3_lS4_T11_S3_li.num_named_barrier, 0
	.set _ZL29rocblas_internal_gemmt_kernelIlLi16ELi32ELi8ELc78ELc84ELc85ELb0ELb0EffPKfPfEviT_T9_T10_S3_lS5_S3_lS4_T11_S3_li.private_seg_size, 0
	.set _ZL29rocblas_internal_gemmt_kernelIlLi16ELi32ELi8ELc78ELc84ELc85ELb0ELb0EffPKfPfEviT_T9_T10_S3_lS5_S3_lS4_T11_S3_li.uses_vcc, 1
	.set _ZL29rocblas_internal_gemmt_kernelIlLi16ELi32ELi8ELc78ELc84ELc85ELb0ELb0EffPKfPfEviT_T9_T10_S3_lS5_S3_lS4_T11_S3_li.uses_flat_scratch, 0
	.set _ZL29rocblas_internal_gemmt_kernelIlLi16ELi32ELi8ELc78ELc84ELc85ELb0ELb0EffPKfPfEviT_T9_T10_S3_lS5_S3_lS4_T11_S3_li.has_dyn_sized_stack, 0
	.set _ZL29rocblas_internal_gemmt_kernelIlLi16ELi32ELi8ELc78ELc84ELc85ELb0ELb0EffPKfPfEviT_T9_T10_S3_lS5_S3_lS4_T11_S3_li.has_recursion, 0
	.set _ZL29rocblas_internal_gemmt_kernelIlLi16ELi32ELi8ELc78ELc84ELc85ELb0ELb0EffPKfPfEviT_T9_T10_S3_lS5_S3_lS4_T11_S3_li.has_indirect_call, 0
	.section	.AMDGPU.csdata,"",@progbits
; Kernel info:
; codeLenInByte = 1436
; TotalNumSgprs: 28
; NumVgprs: 46
; ScratchSize: 0
; MemoryBound: 0
; FloatMode: 240
; IeeeMode: 1
; LDSByteSize: 2048 bytes/workgroup (compile time only)
; SGPRBlocks: 0
; VGPRBlocks: 5
; NumSGPRsForWavesPerEU: 28
; NumVGPRsForWavesPerEU: 46
; Occupancy: 16
; WaveLimiterHint : 0
; COMPUTE_PGM_RSRC2:SCRATCH_EN: 0
; COMPUTE_PGM_RSRC2:USER_SGPR: 6
; COMPUTE_PGM_RSRC2:TRAP_HANDLER: 0
; COMPUTE_PGM_RSRC2:TGID_X_EN: 1
; COMPUTE_PGM_RSRC2:TGID_Y_EN: 1
; COMPUTE_PGM_RSRC2:TGID_Z_EN: 1
; COMPUTE_PGM_RSRC2:TIDIG_COMP_CNT: 1
	.section	.text._ZL29rocblas_internal_gemmt_kernelIlLi16ELi32ELi8ELc78ELc67ELc85ELb0ELb0EffPKfPfEviT_T9_T10_S3_lS5_S3_lS4_T11_S3_li,"axG",@progbits,_ZL29rocblas_internal_gemmt_kernelIlLi16ELi32ELi8ELc78ELc67ELc85ELb0ELb0EffPKfPfEviT_T9_T10_S3_lS5_S3_lS4_T11_S3_li,comdat
	.globl	_ZL29rocblas_internal_gemmt_kernelIlLi16ELi32ELi8ELc78ELc67ELc85ELb0ELb0EffPKfPfEviT_T9_T10_S3_lS5_S3_lS4_T11_S3_li ; -- Begin function _ZL29rocblas_internal_gemmt_kernelIlLi16ELi32ELi8ELc78ELc67ELc85ELb0ELb0EffPKfPfEviT_T9_T10_S3_lS5_S3_lS4_T11_S3_li
	.p2align	8
	.type	_ZL29rocblas_internal_gemmt_kernelIlLi16ELi32ELi8ELc78ELc67ELc85ELb0ELb0EffPKfPfEviT_T9_T10_S3_lS5_S3_lS4_T11_S3_li,@function
_ZL29rocblas_internal_gemmt_kernelIlLi16ELi32ELi8ELc78ELc67ELc85ELb0ELb0EffPKfPfEviT_T9_T10_S3_lS5_S3_lS4_T11_S3_li: ; @_ZL29rocblas_internal_gemmt_kernelIlLi16ELi32ELi8ELc78ELc67ELc85ELb0ELb0EffPKfPfEviT_T9_T10_S3_lS5_S3_lS4_T11_S3_li
; %bb.0:
	s_clause 0x2
	s_load_dword s9, s[4:5], 0x48
	s_load_dwordx2 s[2:3], s[4:5], 0x8
	s_load_dword s10, s[4:5], 0x10
	s_waitcnt lgkmcnt(0)
	v_cmp_neq_f32_e64 s0, s9, 1.0
	s_and_b32 vcc_lo, exec_lo, s0
	s_cbranch_vccnz .LBB164_2
; %bb.1:
	v_cmp_neq_f32_e64 s0, s10, 0
	s_cmp_lg_u64 s[2:3], 0
	s_cselect_b32 s1, -1, 0
	s_and_b32 s0, s1, s0
.LBB164_2:
	s_andn2_b32 vcc_lo, exec_lo, s0
	s_cbranch_vccnz .LBB164_28
; %bb.3:
	s_load_dword s11, s[4:5], 0x0
	v_cmp_lt_i64_e64 s0, s[2:3], 1
	v_cmp_eq_f32_e64 s1, s10, 0
	v_mov_b32_e32 v8, 0
	v_mov_b32_e32 v4, 0
	;; [unrolled: 1-line block ×4, first 2 shown]
	s_or_b32 s0, s1, s0
	s_lshl_b32 s24, s6, 5
	s_and_b32 vcc_lo, exec_lo, s0
	s_lshl_b32 s25, s7, 5
	s_cbranch_vccnz .LBB164_12
; %bb.4:
	s_clause 0x1
	s_load_dwordx4 s[20:23], s[4:5], 0x38
	s_load_dwordx8 s[12:19], s[4:5], 0x18
	v_lshl_add_u32 v2, v1, 4, v0
	v_and_b32_e32 v5, 7, v0
	v_lshlrev_b32_e32 v16, 2, v0
	v_lshl_add_u32 v17, v1, 5, 0x400
	v_and_b32_e32 v3, 31, v2
	v_lshrrev_b32_e32 v4, 3, v2
	v_lshrrev_b32_e32 v9, 5, v2
	v_lshlrev_b32_e32 v7, 2, v5
	v_or_b32_e32 v2, s24, v3
	v_lshlrev_b32_e32 v3, 2, v3
	v_add_nc_u32_e32 v6, s25, v4
	v_lshl_or_b32 v4, v4, 5, v7
	s_waitcnt lgkmcnt(0)
	v_cmp_gt_i32_e64 s0, s11, v2
	v_lshl_or_b32 v10, v9, 7, v3
	v_ashrrev_i32_e32 v3, 31, v2
	s_mul_i32 s1, s23, s8
	s_mul_hi_u32 s7, s22, s8
	s_mul_i32 s6, s22, s8
	s_add_i32 s7, s7, s1
	v_ashrrev_i32_e32 v7, 31, v6
	s_lshl_b64 s[6:7], s[6:7], 2
	s_mul_i32 s17, s17, s8
	s_mul_hi_u32 s1, s16, s8
	s_add_u32 s18, s18, s6
	s_mul_i32 s16, s16, s8
	s_addc_u32 s19, s19, s7
	s_add_i32 s17, s1, s17
	v_lshlrev_b64 v[2:3], 2, v[2:3]
	s_lshl_b64 s[6:7], s[16:17], 2
	v_lshlrev_b64 v[7:8], 2, v[6:7]
	s_add_u32 s1, s12, s6
	s_addc_u32 s6, s13, s7
	v_add_nc_u32_e32 v13, 0x400, v4
	v_add_co_u32 v11, vcc_lo, s1, v2
	v_add_co_ci_u32_e64 v12, null, s6, v3, vcc_lo
	v_add_co_u32 v14, vcc_lo, s18, v7
	v_cmp_gt_i32_e64 s1, s11, v6
	v_add_co_ci_u32_e64 v15, null, s19, v8, vcc_lo
	v_mov_b32_e32 v3, 0
	v_mov_b32_e32 v6, 0
	;; [unrolled: 1-line block ×5, first 2 shown]
	s_mov_b64 s[6:7], 0
	s_branch .LBB164_6
.LBB164_5:                              ;   in Loop: Header=BB164_6 Depth=1
	s_or_b32 exec_lo, exec_lo, s12
	s_waitcnt vmcnt(0)
	ds_write_b32 v13, v19
	s_waitcnt lgkmcnt(0)
	s_barrier
	buffer_gl0_inv
	ds_read_b128 v[18:21], v17
	ds_read2_b32 v[34:35], v16 offset1:16
	ds_read_b128 v[22:25], v17 offset:512
	ds_read2_b32 v[36:37], v16 offset0:32 offset1:48
	ds_read2_b32 v[38:39], v16 offset0:64 offset1:80
	;; [unrolled: 1-line block ×3, first 2 shown]
	ds_read_b128 v[26:29], v17 offset:16
	ds_read2_b32 v[42:43], v16 offset0:128 offset1:144
	ds_read_b128 v[30:33], v17 offset:528
	ds_read2_b32 v[44:45], v16 offset0:160 offset1:176
	s_add_u32 s6, s6, 8
	s_addc_u32 s7, s7, 0
	v_cmp_gt_i64_e64 s12, s[2:3], s[6:7]
	s_and_b32 vcc_lo, exec_lo, s12
	s_waitcnt lgkmcnt(8)
	v_fmac_f32_e32 v8, v34, v18
	v_fmac_f32_e32 v4, v35, v18
	s_waitcnt lgkmcnt(7)
	v_fmac_f32_e32 v7, v34, v22
	v_fmac_f32_e32 v6, v35, v22
	ds_read2_b32 v[34:35], v16 offset0:192 offset1:208
	s_waitcnt lgkmcnt(7)
	v_fmac_f32_e32 v8, v36, v19
	v_fmac_f32_e32 v4, v37, v19
	;; [unrolled: 1-line block ×4, first 2 shown]
	ds_read2_b32 v[18:19], v16 offset0:224 offset1:240
	s_waitcnt lgkmcnt(7)
	v_fmac_f32_e32 v8, v38, v20
	v_fmac_f32_e32 v4, v39, v20
	;; [unrolled: 1-line block ×4, first 2 shown]
	s_waitcnt lgkmcnt(0)
	v_fmac_f32_e32 v8, v40, v21
	v_fmac_f32_e32 v4, v41, v21
	;; [unrolled: 1-line block ×4, first 2 shown]
	s_barrier
	v_fmac_f32_e32 v8, v42, v26
	v_fmac_f32_e32 v4, v43, v26
	;; [unrolled: 1-line block ×4, first 2 shown]
	buffer_gl0_inv
	v_fmac_f32_e32 v8, v44, v27
	v_fmac_f32_e32 v4, v45, v27
	;; [unrolled: 1-line block ×12, first 2 shown]
	s_cbranch_vccz .LBB164_12
.LBB164_6:                              ; =>This Inner Loop Header: Depth=1
	v_mov_b32_e32 v18, 0
	s_and_saveexec_b32 s12, s0
	s_cbranch_execz .LBB164_10
; %bb.7:                                ;   in Loop: Header=BB164_6 Depth=1
	v_add_nc_u32_e32 v2, s6, v9
	v_mov_b32_e32 v18, 0
	s_mov_b32 s13, exec_lo
	v_cmpx_gt_u64_e64 s[2:3], v[2:3]
	s_cbranch_execz .LBB164_9
; %bb.8:                                ;   in Loop: Header=BB164_6 Depth=1
	v_mad_u64_u32 v[18:19], null, s14, v2, 0
	v_mad_u64_u32 v[19:20], null, s15, v2, v[19:20]
	v_lshlrev_b64 v[18:19], 2, v[18:19]
	v_add_co_u32 v18, vcc_lo, v11, v18
	v_add_co_ci_u32_e64 v19, null, v12, v19, vcc_lo
	global_load_dword v18, v[18:19], off
.LBB164_9:                              ;   in Loop: Header=BB164_6 Depth=1
	s_or_b32 exec_lo, exec_lo, s13
.LBB164_10:                             ;   in Loop: Header=BB164_6 Depth=1
	s_or_b32 exec_lo, exec_lo, s12
	v_add_nc_u32_e32 v2, s6, v5
	v_mov_b32_e32 v19, 0
	s_waitcnt vmcnt(0)
	ds_write_b32 v10, v18
	v_cmp_gt_u64_e32 vcc_lo, s[2:3], v[2:3]
	s_and_b32 s13, vcc_lo, s1
	s_and_saveexec_b32 s12, s13
	s_cbranch_execz .LBB164_5
; %bb.11:                               ;   in Loop: Header=BB164_6 Depth=1
	v_mad_u64_u32 v[18:19], null, s20, v2, 0
	v_mad_u64_u32 v[19:20], null, s21, v2, v[19:20]
	v_lshlrev_b64 v[18:19], 2, v[18:19]
	v_add_co_u32 v18, vcc_lo, v14, v18
	v_add_co_ci_u32_e64 v19, null, v15, v19, vcc_lo
	global_load_dword v19, v[18:19], off
	s_branch .LBB164_5
.LBB164_12:
	s_clause 0x1
	s_load_dwordx4 s[12:15], s[4:5], 0x50
	s_load_dwordx2 s[2:3], s[4:5], 0x60
	v_add_nc_u32_e32 v10, s25, v1
	v_add_nc_u32_e32 v0, s24, v0
	v_cmp_neq_f32_e64 s4, s9, 0
	v_ashrrev_i32_e32 v1, 31, v10
	s_waitcnt lgkmcnt(0)
	v_cmp_gt_i32_e64 s0, s11, v10
	v_cmp_le_i32_e32 vcc_lo, v0, v10
	v_cndmask_b32_e64 v9, 0, 1, s4
	v_mul_lo_u32 v3, s14, v1
	v_mul_lo_u32 v5, s15, v10
	v_mad_u64_u32 v[1:2], null, s14, v10, 0
	s_mul_i32 s1, s3, s8
	s_mul_hi_u32 s3, s2, s8
	s_mul_i32 s2, s2, s8
	s_add_i32 s3, s3, s1
	s_lshl_b64 s[2:3], s[2:3], 2
	v_add3_u32 v2, v2, v3, v5
	s_add_u32 s2, s12, s2
	s_addc_u32 s3, s13, s3
	s_and_b32 s5, s0, vcc_lo
	v_lshlrev_b64 v[2:3], 2, v[1:2]
	v_ashrrev_i32_e32 v1, 31, v0
	v_add_co_u32 v5, s1, s2, v2
	v_add_co_ci_u32_e64 v11, null, s3, v3, s1
	s_and_saveexec_b32 s1, s5
	s_cbranch_execz .LBB164_16
; %bb.13:
	v_lshlrev_b64 v[2:3], 2, v[0:1]
	v_mul_f32_e32 v8, s10, v8
	v_add_co_u32 v2, vcc_lo, v5, v2
	v_add_co_ci_u32_e64 v3, null, v11, v3, vcc_lo
	s_andn2_b32 vcc_lo, exec_lo, s4
	s_cbranch_vccnz .LBB164_15
; %bb.14:
	global_load_dword v12, v[2:3], off
	s_waitcnt vmcnt(0)
	v_fmac_f32_e32 v8, s9, v12
.LBB164_15:
	global_store_dword v[2:3], v8, off
.LBB164_16:
	s_or_b32 exec_lo, exec_lo, s1
	v_add_nc_u32_e32 v2, 16, v0
	v_cmp_le_i32_e32 vcc_lo, v2, v10
	v_ashrrev_i32_e32 v3, 31, v2
	s_and_b32 s0, s0, vcc_lo
	s_and_saveexec_b32 s1, s0
	s_cbranch_execz .LBB164_20
; %bb.17:
	v_lshlrev_b64 v[12:13], 2, v[2:3]
	v_mul_f32_e32 v8, s10, v4
	v_cmp_ne_u32_e32 vcc_lo, 1, v9
	v_add_co_u32 v4, s0, v5, v12
	v_add_co_ci_u32_e64 v5, null, v11, v13, s0
	s_cbranch_vccnz .LBB164_19
; %bb.18:
	global_load_dword v11, v[4:5], off
	s_waitcnt vmcnt(0)
	v_fmac_f32_e32 v8, s9, v11
.LBB164_19:
	global_store_dword v[4:5], v8, off
.LBB164_20:
	s_or_b32 exec_lo, exec_lo, s1
	v_add_nc_u32_e32 v8, 16, v10
	v_ashrrev_i32_e32 v10, 31, v8
	v_mul_lo_u32 v11, s15, v8
	v_mad_u64_u32 v[4:5], null, s14, v8, 0
	v_cmp_gt_i32_e64 s0, s11, v8
	v_mul_lo_u32 v10, s14, v10
	v_cmp_le_i32_e32 vcc_lo, v0, v8
	v_add3_u32 v5, v5, v10, v11
	v_lshlrev_b64 v[4:5], 2, v[4:5]
	v_add_co_u32 v4, s1, s2, v4
	v_add_co_ci_u32_e64 v5, null, s3, v5, s1
	s_and_b32 s1, s0, vcc_lo
	s_and_saveexec_b32 s2, s1
	s_cbranch_execz .LBB164_24
; %bb.21:
	v_lshlrev_b64 v[0:1], 2, v[0:1]
	v_cmp_ne_u32_e32 vcc_lo, 1, v9
	v_mul_f32_e32 v7, s10, v7
	v_add_co_u32 v0, s1, v4, v0
	v_add_co_ci_u32_e64 v1, null, v5, v1, s1
	s_cbranch_vccnz .LBB164_23
; %bb.22:
	global_load_dword v10, v[0:1], off
	s_waitcnt vmcnt(0)
	v_fmac_f32_e32 v7, s9, v10
.LBB164_23:
	global_store_dword v[0:1], v7, off
.LBB164_24:
	s_or_b32 exec_lo, exec_lo, s2
	v_cmp_le_i32_e32 vcc_lo, v2, v8
	s_and_b32 s0, s0, vcc_lo
	s_and_saveexec_b32 s1, s0
	s_cbranch_execz .LBB164_28
; %bb.25:
	v_lshlrev_b64 v[0:1], 2, v[2:3]
	v_cmp_ne_u32_e32 vcc_lo, 1, v9
	v_mul_f32_e32 v2, s10, v6
	v_add_co_u32 v0, s0, v4, v0
	v_add_co_ci_u32_e64 v1, null, v5, v1, s0
	s_cbranch_vccnz .LBB164_27
; %bb.26:
	global_load_dword v3, v[0:1], off
	s_waitcnt vmcnt(0)
	v_fmac_f32_e32 v2, s9, v3
.LBB164_27:
	global_store_dword v[0:1], v2, off
.LBB164_28:
	s_endpgm
	.section	.rodata,"a",@progbits
	.p2align	6, 0x0
	.amdhsa_kernel _ZL29rocblas_internal_gemmt_kernelIlLi16ELi32ELi8ELc78ELc67ELc85ELb0ELb0EffPKfPfEviT_T9_T10_S3_lS5_S3_lS4_T11_S3_li
		.amdhsa_group_segment_fixed_size 2048
		.amdhsa_private_segment_fixed_size 0
		.amdhsa_kernarg_size 108
		.amdhsa_user_sgpr_count 6
		.amdhsa_user_sgpr_private_segment_buffer 1
		.amdhsa_user_sgpr_dispatch_ptr 0
		.amdhsa_user_sgpr_queue_ptr 0
		.amdhsa_user_sgpr_kernarg_segment_ptr 1
		.amdhsa_user_sgpr_dispatch_id 0
		.amdhsa_user_sgpr_flat_scratch_init 0
		.amdhsa_user_sgpr_private_segment_size 0
		.amdhsa_wavefront_size32 1
		.amdhsa_uses_dynamic_stack 0
		.amdhsa_system_sgpr_private_segment_wavefront_offset 0
		.amdhsa_system_sgpr_workgroup_id_x 1
		.amdhsa_system_sgpr_workgroup_id_y 1
		.amdhsa_system_sgpr_workgroup_id_z 1
		.amdhsa_system_sgpr_workgroup_info 0
		.amdhsa_system_vgpr_workitem_id 1
		.amdhsa_next_free_vgpr 46
		.amdhsa_next_free_sgpr 26
		.amdhsa_reserve_vcc 1
		.amdhsa_reserve_flat_scratch 0
		.amdhsa_float_round_mode_32 0
		.amdhsa_float_round_mode_16_64 0
		.amdhsa_float_denorm_mode_32 3
		.amdhsa_float_denorm_mode_16_64 3
		.amdhsa_dx10_clamp 1
		.amdhsa_ieee_mode 1
		.amdhsa_fp16_overflow 0
		.amdhsa_workgroup_processor_mode 1
		.amdhsa_memory_ordered 1
		.amdhsa_forward_progress 1
		.amdhsa_shared_vgpr_count 0
		.amdhsa_exception_fp_ieee_invalid_op 0
		.amdhsa_exception_fp_denorm_src 0
		.amdhsa_exception_fp_ieee_div_zero 0
		.amdhsa_exception_fp_ieee_overflow 0
		.amdhsa_exception_fp_ieee_underflow 0
		.amdhsa_exception_fp_ieee_inexact 0
		.amdhsa_exception_int_div_zero 0
	.end_amdhsa_kernel
	.section	.text._ZL29rocblas_internal_gemmt_kernelIlLi16ELi32ELi8ELc78ELc67ELc85ELb0ELb0EffPKfPfEviT_T9_T10_S3_lS5_S3_lS4_T11_S3_li,"axG",@progbits,_ZL29rocblas_internal_gemmt_kernelIlLi16ELi32ELi8ELc78ELc67ELc85ELb0ELb0EffPKfPfEviT_T9_T10_S3_lS5_S3_lS4_T11_S3_li,comdat
.Lfunc_end164:
	.size	_ZL29rocblas_internal_gemmt_kernelIlLi16ELi32ELi8ELc78ELc67ELc85ELb0ELb0EffPKfPfEviT_T9_T10_S3_lS5_S3_lS4_T11_S3_li, .Lfunc_end164-_ZL29rocblas_internal_gemmt_kernelIlLi16ELi32ELi8ELc78ELc67ELc85ELb0ELb0EffPKfPfEviT_T9_T10_S3_lS5_S3_lS4_T11_S3_li
                                        ; -- End function
	.set _ZL29rocblas_internal_gemmt_kernelIlLi16ELi32ELi8ELc78ELc67ELc85ELb0ELb0EffPKfPfEviT_T9_T10_S3_lS5_S3_lS4_T11_S3_li.num_vgpr, 46
	.set _ZL29rocblas_internal_gemmt_kernelIlLi16ELi32ELi8ELc78ELc67ELc85ELb0ELb0EffPKfPfEviT_T9_T10_S3_lS5_S3_lS4_T11_S3_li.num_agpr, 0
	.set _ZL29rocblas_internal_gemmt_kernelIlLi16ELi32ELi8ELc78ELc67ELc85ELb0ELb0EffPKfPfEviT_T9_T10_S3_lS5_S3_lS4_T11_S3_li.numbered_sgpr, 26
	.set _ZL29rocblas_internal_gemmt_kernelIlLi16ELi32ELi8ELc78ELc67ELc85ELb0ELb0EffPKfPfEviT_T9_T10_S3_lS5_S3_lS4_T11_S3_li.num_named_barrier, 0
	.set _ZL29rocblas_internal_gemmt_kernelIlLi16ELi32ELi8ELc78ELc67ELc85ELb0ELb0EffPKfPfEviT_T9_T10_S3_lS5_S3_lS4_T11_S3_li.private_seg_size, 0
	.set _ZL29rocblas_internal_gemmt_kernelIlLi16ELi32ELi8ELc78ELc67ELc85ELb0ELb0EffPKfPfEviT_T9_T10_S3_lS5_S3_lS4_T11_S3_li.uses_vcc, 1
	.set _ZL29rocblas_internal_gemmt_kernelIlLi16ELi32ELi8ELc78ELc67ELc85ELb0ELb0EffPKfPfEviT_T9_T10_S3_lS5_S3_lS4_T11_S3_li.uses_flat_scratch, 0
	.set _ZL29rocblas_internal_gemmt_kernelIlLi16ELi32ELi8ELc78ELc67ELc85ELb0ELb0EffPKfPfEviT_T9_T10_S3_lS5_S3_lS4_T11_S3_li.has_dyn_sized_stack, 0
	.set _ZL29rocblas_internal_gemmt_kernelIlLi16ELi32ELi8ELc78ELc67ELc85ELb0ELb0EffPKfPfEviT_T9_T10_S3_lS5_S3_lS4_T11_S3_li.has_recursion, 0
	.set _ZL29rocblas_internal_gemmt_kernelIlLi16ELi32ELi8ELc78ELc67ELc85ELb0ELb0EffPKfPfEviT_T9_T10_S3_lS5_S3_lS4_T11_S3_li.has_indirect_call, 0
	.section	.AMDGPU.csdata,"",@progbits
; Kernel info:
; codeLenInByte = 1436
; TotalNumSgprs: 28
; NumVgprs: 46
; ScratchSize: 0
; MemoryBound: 0
; FloatMode: 240
; IeeeMode: 1
; LDSByteSize: 2048 bytes/workgroup (compile time only)
; SGPRBlocks: 0
; VGPRBlocks: 5
; NumSGPRsForWavesPerEU: 28
; NumVGPRsForWavesPerEU: 46
; Occupancy: 16
; WaveLimiterHint : 0
; COMPUTE_PGM_RSRC2:SCRATCH_EN: 0
; COMPUTE_PGM_RSRC2:USER_SGPR: 6
; COMPUTE_PGM_RSRC2:TRAP_HANDLER: 0
; COMPUTE_PGM_RSRC2:TGID_X_EN: 1
; COMPUTE_PGM_RSRC2:TGID_Y_EN: 1
; COMPUTE_PGM_RSRC2:TGID_Z_EN: 1
; COMPUTE_PGM_RSRC2:TIDIG_COMP_CNT: 1
	.section	.text._ZL29rocblas_internal_gemmt_kernelIlLi16ELi32ELi8ELc84ELc78ELc85ELb0ELb0EffPKfPfEviT_T9_T10_S3_lS5_S3_lS4_T11_S3_li,"axG",@progbits,_ZL29rocblas_internal_gemmt_kernelIlLi16ELi32ELi8ELc84ELc78ELc85ELb0ELb0EffPKfPfEviT_T9_T10_S3_lS5_S3_lS4_T11_S3_li,comdat
	.globl	_ZL29rocblas_internal_gemmt_kernelIlLi16ELi32ELi8ELc84ELc78ELc85ELb0ELb0EffPKfPfEviT_T9_T10_S3_lS5_S3_lS4_T11_S3_li ; -- Begin function _ZL29rocblas_internal_gemmt_kernelIlLi16ELi32ELi8ELc84ELc78ELc85ELb0ELb0EffPKfPfEviT_T9_T10_S3_lS5_S3_lS4_T11_S3_li
	.p2align	8
	.type	_ZL29rocblas_internal_gemmt_kernelIlLi16ELi32ELi8ELc84ELc78ELc85ELb0ELb0EffPKfPfEviT_T9_T10_S3_lS5_S3_lS4_T11_S3_li,@function
_ZL29rocblas_internal_gemmt_kernelIlLi16ELi32ELi8ELc84ELc78ELc85ELb0ELb0EffPKfPfEviT_T9_T10_S3_lS5_S3_lS4_T11_S3_li: ; @_ZL29rocblas_internal_gemmt_kernelIlLi16ELi32ELi8ELc84ELc78ELc85ELb0ELb0EffPKfPfEviT_T9_T10_S3_lS5_S3_lS4_T11_S3_li
; %bb.0:
	s_clause 0x2
	s_load_dword s9, s[4:5], 0x48
	s_load_dwordx2 s[10:11], s[4:5], 0x8
	s_load_dword s20, s[4:5], 0x10
	s_waitcnt lgkmcnt(0)
	v_cmp_neq_f32_e64 s0, s9, 1.0
	s_and_b32 vcc_lo, exec_lo, s0
	s_cbranch_vccnz .LBB165_2
; %bb.1:
	v_cmp_neq_f32_e64 s0, s20, 0
	s_cmp_lg_u64 s[10:11], 0
	s_cselect_b32 s1, -1, 0
	s_and_b32 s0, s1, s0
.LBB165_2:
	s_andn2_b32 vcc_lo, exec_lo, s0
	s_cbranch_vccnz .LBB165_28
; %bb.3:
	s_load_dword s21, s[4:5], 0x0
	v_cmp_lt_i64_e64 s0, s[10:11], 1
	v_cmp_eq_f32_e64 s1, s20, 0
	v_mov_b32_e32 v8, 0
	v_mov_b32_e32 v4, 0
	;; [unrolled: 1-line block ×4, first 2 shown]
	s_or_b32 s0, s1, s0
	s_lshl_b32 s6, s6, 5
	s_and_b32 vcc_lo, exec_lo, s0
	s_lshl_b32 s7, s7, 5
	s_cbranch_vccnz .LBB165_12
; %bb.4:
	s_clause 0x1
	s_load_dwordx4 s[0:3], s[4:5], 0x38
	s_load_dwordx8 s[12:19], s[4:5], 0x18
	v_lshl_add_u32 v4, v1, 4, v0
	v_and_b32_e32 v5, 7, v0
	v_lshl_add_u32 v17, v1, 5, 0x400
	v_lshrrev_b32_e32 v8, 3, v4
	v_and_b32_e32 v10, 31, v4
	v_lshlrev_b32_e32 v16, 2, v5
	v_lshrrev_b32_e32 v9, 5, v4
	v_add_nc_u32_e32 v11, s7, v8
	v_or_b32_e32 v12, s6, v10
	v_lshlrev_b32_e32 v4, 2, v10
	v_lshl_or_b32 v8, v8, 5, v16
	v_lshlrev_b32_e32 v16, 2, v0
	v_ashrrev_i32_e32 v6, 31, v11
	v_lshl_or_b32 v10, v9, 7, v4
	s_waitcnt lgkmcnt(0)
	s_mul_i32 s3, s3, s8
	s_mul_hi_u32 s22, s2, s8
	s_mul_i32 s2, s2, s8
	s_add_i32 s3, s22, s3
	s_mul_i32 s17, s17, s8
	s_lshl_b64 s[2:3], s[2:3], 2
	s_mul_hi_u32 s23, s16, s8
	v_mul_lo_u32 v13, s15, v12
	s_add_u32 s15, s18, s2
	s_mul_i32 s16, s16, s8
	s_addc_u32 s18, s19, s3
	s_add_i32 s17, s23, s17
	v_mad_u64_u32 v[2:3], null, s14, v12, 0
	s_lshl_b64 s[2:3], s[16:17], 2
	v_mul_lo_u32 v14, s0, v6
	v_mul_lo_u32 v15, s1, v11
	v_mad_u64_u32 v[6:7], null, s0, v11, 0
	s_add_u32 s2, s12, s2
	s_addc_u32 s3, s13, s3
	s_ashr_i32 s0, s6, 31
	v_cmp_gt_i32_e64 s1, s21, v11
	s_mul_i32 s0, s14, s0
	v_add_nc_u32_e32 v11, 0x400, v8
	v_add3_u32 v3, v3, s0, v13
	v_add3_u32 v7, v7, v14, v15
	v_cmp_gt_i32_e64 s0, s21, v12
	v_mov_b32_e32 v4, 0
	v_mov_b32_e32 v8, 0
	v_lshlrev_b64 v[2:3], 2, v[2:3]
	v_lshlrev_b64 v[6:7], 2, v[6:7]
	v_add_co_u32 v12, vcc_lo, s2, v2
	v_add_co_ci_u32_e64 v13, null, s3, v3, vcc_lo
	v_add_co_u32 v14, vcc_lo, s15, v6
	v_add_co_ci_u32_e64 v15, null, s18, v7, vcc_lo
	v_mov_b32_e32 v3, 0
	v_mov_b32_e32 v6, 0
	v_mov_b32_e32 v7, 0
	s_mov_b64 s[2:3], 0
	s_branch .LBB165_6
.LBB165_5:                              ;   in Loop: Header=BB165_6 Depth=1
	s_or_b32 exec_lo, exec_lo, s12
	s_waitcnt vmcnt(0)
	ds_write_b32 v11, v19
	s_waitcnt lgkmcnt(0)
	s_barrier
	buffer_gl0_inv
	ds_read_b128 v[18:21], v17
	ds_read2_b32 v[34:35], v16 offset1:16
	ds_read_b128 v[22:25], v17 offset:512
	ds_read2_b32 v[36:37], v16 offset0:32 offset1:48
	ds_read2_b32 v[38:39], v16 offset0:64 offset1:80
	;; [unrolled: 1-line block ×3, first 2 shown]
	ds_read_b128 v[26:29], v17 offset:16
	ds_read2_b32 v[42:43], v16 offset0:128 offset1:144
	ds_read_b128 v[30:33], v17 offset:528
	ds_read2_b32 v[44:45], v16 offset0:160 offset1:176
	s_add_u32 s2, s2, 8
	s_addc_u32 s3, s3, 0
	v_cmp_gt_i64_e64 s12, s[10:11], s[2:3]
	s_and_b32 vcc_lo, exec_lo, s12
	s_waitcnt lgkmcnt(8)
	v_fmac_f32_e32 v8, v34, v18
	v_fmac_f32_e32 v4, v35, v18
	s_waitcnt lgkmcnt(7)
	v_fmac_f32_e32 v7, v34, v22
	v_fmac_f32_e32 v6, v35, v22
	ds_read2_b32 v[34:35], v16 offset0:192 offset1:208
	s_waitcnt lgkmcnt(7)
	v_fmac_f32_e32 v8, v36, v19
	v_fmac_f32_e32 v4, v37, v19
	;; [unrolled: 1-line block ×4, first 2 shown]
	ds_read2_b32 v[18:19], v16 offset0:224 offset1:240
	s_waitcnt lgkmcnt(7)
	v_fmac_f32_e32 v8, v38, v20
	v_fmac_f32_e32 v4, v39, v20
	;; [unrolled: 1-line block ×4, first 2 shown]
	s_waitcnt lgkmcnt(0)
	v_fmac_f32_e32 v8, v40, v21
	v_fmac_f32_e32 v4, v41, v21
	;; [unrolled: 1-line block ×4, first 2 shown]
	s_barrier
	v_fmac_f32_e32 v8, v42, v26
	v_fmac_f32_e32 v4, v43, v26
	v_fmac_f32_e32 v7, v42, v30
	v_fmac_f32_e32 v6, v43, v30
	buffer_gl0_inv
	v_fmac_f32_e32 v8, v44, v27
	v_fmac_f32_e32 v4, v45, v27
	;; [unrolled: 1-line block ×12, first 2 shown]
	s_cbranch_vccz .LBB165_12
.LBB165_6:                              ; =>This Inner Loop Header: Depth=1
	v_mov_b32_e32 v18, 0
	s_and_saveexec_b32 s12, s0
	s_cbranch_execz .LBB165_10
; %bb.7:                                ;   in Loop: Header=BB165_6 Depth=1
	v_add_nc_u32_e32 v2, s2, v9
	v_mov_b32_e32 v18, 0
	s_mov_b32 s13, exec_lo
	v_cmpx_gt_u64_e64 s[10:11], v[2:3]
	s_cbranch_execz .LBB165_9
; %bb.8:                                ;   in Loop: Header=BB165_6 Depth=1
	v_lshlrev_b64 v[18:19], 2, v[2:3]
	v_add_co_u32 v18, vcc_lo, v12, v18
	v_add_co_ci_u32_e64 v19, null, v13, v19, vcc_lo
	global_load_dword v18, v[18:19], off
.LBB165_9:                              ;   in Loop: Header=BB165_6 Depth=1
	s_or_b32 exec_lo, exec_lo, s13
.LBB165_10:                             ;   in Loop: Header=BB165_6 Depth=1
	s_or_b32 exec_lo, exec_lo, s12
	v_add_nc_u32_e32 v2, s2, v5
	v_mov_b32_e32 v19, 0
	s_waitcnt vmcnt(0)
	ds_write_b32 v10, v18
	v_cmp_gt_u64_e32 vcc_lo, s[10:11], v[2:3]
	s_and_b32 s13, vcc_lo, s1
	s_and_saveexec_b32 s12, s13
	s_cbranch_execz .LBB165_5
; %bb.11:                               ;   in Loop: Header=BB165_6 Depth=1
	v_lshlrev_b64 v[18:19], 2, v[2:3]
	v_add_co_u32 v18, vcc_lo, v14, v18
	v_add_co_ci_u32_e64 v19, null, v15, v19, vcc_lo
	global_load_dword v19, v[18:19], off
	s_branch .LBB165_5
.LBB165_12:
	s_clause 0x1
	s_load_dwordx4 s[12:15], s[4:5], 0x50
	s_load_dwordx2 s[2:3], s[4:5], 0x60
	v_add_nc_u32_e32 v10, s7, v1
	v_add_nc_u32_e32 v0, s6, v0
	v_cmp_neq_f32_e64 s4, s9, 0
	v_ashrrev_i32_e32 v1, 31, v10
	s_waitcnt lgkmcnt(0)
	v_cmp_gt_i32_e64 s0, s21, v10
	v_cmp_le_i32_e32 vcc_lo, v0, v10
	v_cndmask_b32_e64 v9, 0, 1, s4
	v_mul_lo_u32 v3, s14, v1
	v_mul_lo_u32 v5, s15, v10
	v_mad_u64_u32 v[1:2], null, s14, v10, 0
	s_mul_i32 s1, s3, s8
	s_mul_hi_u32 s3, s2, s8
	s_mul_i32 s2, s2, s8
	s_add_i32 s3, s3, s1
	s_lshl_b64 s[2:3], s[2:3], 2
	v_add3_u32 v2, v2, v3, v5
	s_add_u32 s2, s12, s2
	s_addc_u32 s3, s13, s3
	s_and_b32 s5, s0, vcc_lo
	v_lshlrev_b64 v[2:3], 2, v[1:2]
	v_ashrrev_i32_e32 v1, 31, v0
	v_add_co_u32 v5, s1, s2, v2
	v_add_co_ci_u32_e64 v11, null, s3, v3, s1
	s_and_saveexec_b32 s1, s5
	s_cbranch_execz .LBB165_16
; %bb.13:
	v_lshlrev_b64 v[2:3], 2, v[0:1]
	v_mul_f32_e32 v8, s20, v8
	v_add_co_u32 v2, vcc_lo, v5, v2
	v_add_co_ci_u32_e64 v3, null, v11, v3, vcc_lo
	s_andn2_b32 vcc_lo, exec_lo, s4
	s_cbranch_vccnz .LBB165_15
; %bb.14:
	global_load_dword v12, v[2:3], off
	s_waitcnt vmcnt(0)
	v_fmac_f32_e32 v8, s9, v12
.LBB165_15:
	global_store_dword v[2:3], v8, off
.LBB165_16:
	s_or_b32 exec_lo, exec_lo, s1
	v_add_nc_u32_e32 v2, 16, v0
	v_cmp_le_i32_e32 vcc_lo, v2, v10
	v_ashrrev_i32_e32 v3, 31, v2
	s_and_b32 s0, s0, vcc_lo
	s_and_saveexec_b32 s1, s0
	s_cbranch_execz .LBB165_20
; %bb.17:
	v_lshlrev_b64 v[12:13], 2, v[2:3]
	v_mul_f32_e32 v8, s20, v4
	v_cmp_ne_u32_e32 vcc_lo, 1, v9
	v_add_co_u32 v4, s0, v5, v12
	v_add_co_ci_u32_e64 v5, null, v11, v13, s0
	s_cbranch_vccnz .LBB165_19
; %bb.18:
	global_load_dword v11, v[4:5], off
	s_waitcnt vmcnt(0)
	v_fmac_f32_e32 v8, s9, v11
.LBB165_19:
	global_store_dword v[4:5], v8, off
.LBB165_20:
	s_or_b32 exec_lo, exec_lo, s1
	v_add_nc_u32_e32 v8, 16, v10
	v_ashrrev_i32_e32 v10, 31, v8
	v_mul_lo_u32 v11, s15, v8
	v_mad_u64_u32 v[4:5], null, s14, v8, 0
	v_cmp_gt_i32_e64 s0, s21, v8
	v_mul_lo_u32 v10, s14, v10
	v_cmp_le_i32_e32 vcc_lo, v0, v8
	v_add3_u32 v5, v5, v10, v11
	v_lshlrev_b64 v[4:5], 2, v[4:5]
	v_add_co_u32 v4, s1, s2, v4
	v_add_co_ci_u32_e64 v5, null, s3, v5, s1
	s_and_b32 s1, s0, vcc_lo
	s_and_saveexec_b32 s2, s1
	s_cbranch_execz .LBB165_24
; %bb.21:
	v_lshlrev_b64 v[0:1], 2, v[0:1]
	v_cmp_ne_u32_e32 vcc_lo, 1, v9
	v_mul_f32_e32 v7, s20, v7
	v_add_co_u32 v0, s1, v4, v0
	v_add_co_ci_u32_e64 v1, null, v5, v1, s1
	s_cbranch_vccnz .LBB165_23
; %bb.22:
	global_load_dword v10, v[0:1], off
	s_waitcnt vmcnt(0)
	v_fmac_f32_e32 v7, s9, v10
.LBB165_23:
	global_store_dword v[0:1], v7, off
.LBB165_24:
	s_or_b32 exec_lo, exec_lo, s2
	v_cmp_le_i32_e32 vcc_lo, v2, v8
	s_and_b32 s0, s0, vcc_lo
	s_and_saveexec_b32 s1, s0
	s_cbranch_execz .LBB165_28
; %bb.25:
	v_lshlrev_b64 v[0:1], 2, v[2:3]
	v_cmp_ne_u32_e32 vcc_lo, 1, v9
	v_mul_f32_e32 v2, s20, v6
	v_add_co_u32 v0, s0, v4, v0
	v_add_co_ci_u32_e64 v1, null, v5, v1, s0
	s_cbranch_vccnz .LBB165_27
; %bb.26:
	global_load_dword v3, v[0:1], off
	s_waitcnt vmcnt(0)
	v_fmac_f32_e32 v2, s9, v3
.LBB165_27:
	global_store_dword v[0:1], v2, off
.LBB165_28:
	s_endpgm
	.section	.rodata,"a",@progbits
	.p2align	6, 0x0
	.amdhsa_kernel _ZL29rocblas_internal_gemmt_kernelIlLi16ELi32ELi8ELc84ELc78ELc85ELb0ELb0EffPKfPfEviT_T9_T10_S3_lS5_S3_lS4_T11_S3_li
		.amdhsa_group_segment_fixed_size 2048
		.amdhsa_private_segment_fixed_size 0
		.amdhsa_kernarg_size 108
		.amdhsa_user_sgpr_count 6
		.amdhsa_user_sgpr_private_segment_buffer 1
		.amdhsa_user_sgpr_dispatch_ptr 0
		.amdhsa_user_sgpr_queue_ptr 0
		.amdhsa_user_sgpr_kernarg_segment_ptr 1
		.amdhsa_user_sgpr_dispatch_id 0
		.amdhsa_user_sgpr_flat_scratch_init 0
		.amdhsa_user_sgpr_private_segment_size 0
		.amdhsa_wavefront_size32 1
		.amdhsa_uses_dynamic_stack 0
		.amdhsa_system_sgpr_private_segment_wavefront_offset 0
		.amdhsa_system_sgpr_workgroup_id_x 1
		.amdhsa_system_sgpr_workgroup_id_y 1
		.amdhsa_system_sgpr_workgroup_id_z 1
		.amdhsa_system_sgpr_workgroup_info 0
		.amdhsa_system_vgpr_workitem_id 1
		.amdhsa_next_free_vgpr 46
		.amdhsa_next_free_sgpr 24
		.amdhsa_reserve_vcc 1
		.amdhsa_reserve_flat_scratch 0
		.amdhsa_float_round_mode_32 0
		.amdhsa_float_round_mode_16_64 0
		.amdhsa_float_denorm_mode_32 3
		.amdhsa_float_denorm_mode_16_64 3
		.amdhsa_dx10_clamp 1
		.amdhsa_ieee_mode 1
		.amdhsa_fp16_overflow 0
		.amdhsa_workgroup_processor_mode 1
		.amdhsa_memory_ordered 1
		.amdhsa_forward_progress 1
		.amdhsa_shared_vgpr_count 0
		.amdhsa_exception_fp_ieee_invalid_op 0
		.amdhsa_exception_fp_denorm_src 0
		.amdhsa_exception_fp_ieee_div_zero 0
		.amdhsa_exception_fp_ieee_overflow 0
		.amdhsa_exception_fp_ieee_underflow 0
		.amdhsa_exception_fp_ieee_inexact 0
		.amdhsa_exception_int_div_zero 0
	.end_amdhsa_kernel
	.section	.text._ZL29rocblas_internal_gemmt_kernelIlLi16ELi32ELi8ELc84ELc78ELc85ELb0ELb0EffPKfPfEviT_T9_T10_S3_lS5_S3_lS4_T11_S3_li,"axG",@progbits,_ZL29rocblas_internal_gemmt_kernelIlLi16ELi32ELi8ELc84ELc78ELc85ELb0ELb0EffPKfPfEviT_T9_T10_S3_lS5_S3_lS4_T11_S3_li,comdat
.Lfunc_end165:
	.size	_ZL29rocblas_internal_gemmt_kernelIlLi16ELi32ELi8ELc84ELc78ELc85ELb0ELb0EffPKfPfEviT_T9_T10_S3_lS5_S3_lS4_T11_S3_li, .Lfunc_end165-_ZL29rocblas_internal_gemmt_kernelIlLi16ELi32ELi8ELc84ELc78ELc85ELb0ELb0EffPKfPfEviT_T9_T10_S3_lS5_S3_lS4_T11_S3_li
                                        ; -- End function
	.set _ZL29rocblas_internal_gemmt_kernelIlLi16ELi32ELi8ELc84ELc78ELc85ELb0ELb0EffPKfPfEviT_T9_T10_S3_lS5_S3_lS4_T11_S3_li.num_vgpr, 46
	.set _ZL29rocblas_internal_gemmt_kernelIlLi16ELi32ELi8ELc84ELc78ELc85ELb0ELb0EffPKfPfEviT_T9_T10_S3_lS5_S3_lS4_T11_S3_li.num_agpr, 0
	.set _ZL29rocblas_internal_gemmt_kernelIlLi16ELi32ELi8ELc84ELc78ELc85ELb0ELb0EffPKfPfEviT_T9_T10_S3_lS5_S3_lS4_T11_S3_li.numbered_sgpr, 24
	.set _ZL29rocblas_internal_gemmt_kernelIlLi16ELi32ELi8ELc84ELc78ELc85ELb0ELb0EffPKfPfEviT_T9_T10_S3_lS5_S3_lS4_T11_S3_li.num_named_barrier, 0
	.set _ZL29rocblas_internal_gemmt_kernelIlLi16ELi32ELi8ELc84ELc78ELc85ELb0ELb0EffPKfPfEviT_T9_T10_S3_lS5_S3_lS4_T11_S3_li.private_seg_size, 0
	.set _ZL29rocblas_internal_gemmt_kernelIlLi16ELi32ELi8ELc84ELc78ELc85ELb0ELb0EffPKfPfEviT_T9_T10_S3_lS5_S3_lS4_T11_S3_li.uses_vcc, 1
	.set _ZL29rocblas_internal_gemmt_kernelIlLi16ELi32ELi8ELc84ELc78ELc85ELb0ELb0EffPKfPfEviT_T9_T10_S3_lS5_S3_lS4_T11_S3_li.uses_flat_scratch, 0
	.set _ZL29rocblas_internal_gemmt_kernelIlLi16ELi32ELi8ELc84ELc78ELc85ELb0ELb0EffPKfPfEviT_T9_T10_S3_lS5_S3_lS4_T11_S3_li.has_dyn_sized_stack, 0
	.set _ZL29rocblas_internal_gemmt_kernelIlLi16ELi32ELi8ELc84ELc78ELc85ELb0ELb0EffPKfPfEviT_T9_T10_S3_lS5_S3_lS4_T11_S3_li.has_recursion, 0
	.set _ZL29rocblas_internal_gemmt_kernelIlLi16ELi32ELi8ELc84ELc78ELc85ELb0ELb0EffPKfPfEviT_T9_T10_S3_lS5_S3_lS4_T11_S3_li.has_indirect_call, 0
	.section	.AMDGPU.csdata,"",@progbits
; Kernel info:
; codeLenInByte = 1464
; TotalNumSgprs: 26
; NumVgprs: 46
; ScratchSize: 0
; MemoryBound: 0
; FloatMode: 240
; IeeeMode: 1
; LDSByteSize: 2048 bytes/workgroup (compile time only)
; SGPRBlocks: 0
; VGPRBlocks: 5
; NumSGPRsForWavesPerEU: 26
; NumVGPRsForWavesPerEU: 46
; Occupancy: 16
; WaveLimiterHint : 0
; COMPUTE_PGM_RSRC2:SCRATCH_EN: 0
; COMPUTE_PGM_RSRC2:USER_SGPR: 6
; COMPUTE_PGM_RSRC2:TRAP_HANDLER: 0
; COMPUTE_PGM_RSRC2:TGID_X_EN: 1
; COMPUTE_PGM_RSRC2:TGID_Y_EN: 1
; COMPUTE_PGM_RSRC2:TGID_Z_EN: 1
; COMPUTE_PGM_RSRC2:TIDIG_COMP_CNT: 1
	.section	.text._ZL29rocblas_internal_gemmt_kernelIlLi16ELi32ELi8ELc84ELc84ELc85ELb0ELb0EffPKfPfEviT_T9_T10_S3_lS5_S3_lS4_T11_S3_li,"axG",@progbits,_ZL29rocblas_internal_gemmt_kernelIlLi16ELi32ELi8ELc84ELc84ELc85ELb0ELb0EffPKfPfEviT_T9_T10_S3_lS5_S3_lS4_T11_S3_li,comdat
	.globl	_ZL29rocblas_internal_gemmt_kernelIlLi16ELi32ELi8ELc84ELc84ELc85ELb0ELb0EffPKfPfEviT_T9_T10_S3_lS5_S3_lS4_T11_S3_li ; -- Begin function _ZL29rocblas_internal_gemmt_kernelIlLi16ELi32ELi8ELc84ELc84ELc85ELb0ELb0EffPKfPfEviT_T9_T10_S3_lS5_S3_lS4_T11_S3_li
	.p2align	8
	.type	_ZL29rocblas_internal_gemmt_kernelIlLi16ELi32ELi8ELc84ELc84ELc85ELb0ELb0EffPKfPfEviT_T9_T10_S3_lS5_S3_lS4_T11_S3_li,@function
_ZL29rocblas_internal_gemmt_kernelIlLi16ELi32ELi8ELc84ELc84ELc85ELb0ELb0EffPKfPfEviT_T9_T10_S3_lS5_S3_lS4_T11_S3_li: ; @_ZL29rocblas_internal_gemmt_kernelIlLi16ELi32ELi8ELc84ELc84ELc85ELb0ELb0EffPKfPfEviT_T9_T10_S3_lS5_S3_lS4_T11_S3_li
; %bb.0:
	s_clause 0x2
	s_load_dword s9, s[4:5], 0x48
	s_load_dwordx2 s[2:3], s[4:5], 0x8
	s_load_dword s10, s[4:5], 0x10
	s_waitcnt lgkmcnt(0)
	v_cmp_neq_f32_e64 s0, s9, 1.0
	s_and_b32 vcc_lo, exec_lo, s0
	s_cbranch_vccnz .LBB166_2
; %bb.1:
	v_cmp_neq_f32_e64 s0, s10, 0
	s_cmp_lg_u64 s[2:3], 0
	s_cselect_b32 s1, -1, 0
	s_and_b32 s0, s1, s0
.LBB166_2:
	s_andn2_b32 vcc_lo, exec_lo, s0
	s_cbranch_vccnz .LBB166_28
; %bb.3:
	s_load_dword s11, s[4:5], 0x0
	v_cmp_lt_i64_e64 s0, s[2:3], 1
	v_cmp_eq_f32_e64 s1, s10, 0
	v_mov_b32_e32 v8, 0
	v_mov_b32_e32 v4, 0
	;; [unrolled: 1-line block ×4, first 2 shown]
	s_or_b32 s0, s1, s0
	s_lshl_b32 s24, s6, 5
	s_and_b32 vcc_lo, exec_lo, s0
	s_lshl_b32 s25, s7, 5
	s_cbranch_vccnz .LBB166_12
; %bb.4:
	s_clause 0x1
	s_load_dwordx4 s[20:23], s[4:5], 0x38
	s_load_dwordx8 s[12:19], s[4:5], 0x18
	v_lshl_add_u32 v2, v1, 4, v0
	v_and_b32_e32 v5, 7, v0
	v_lshlrev_b32_e32 v9, 2, v0
	v_lshl_add_u32 v17, v1, 5, 0x400
	v_and_b32_e32 v3, 31, v2
	v_lshrrev_b32_e32 v4, 3, v2
	v_lshrrev_b32_e32 v10, 5, v2
	v_lshlrev_b32_e32 v8, 2, v5
	v_or_b32_e32 v11, s24, v3
	v_add_nc_u32_e32 v2, s25, v4
	v_lshlrev_b32_e32 v12, 2, v3
	v_lshl_or_b32 v8, v4, 5, v8
	v_ashrrev_i32_e32 v3, 31, v2
	s_waitcnt lgkmcnt(0)
	s_mul_i32 s1, s23, s8
	s_mul_hi_u32 s6, s22, s8
	s_mul_i32 s0, s22, s8
	s_add_i32 s1, s6, s1
	s_mul_i32 s7, s17, s8
	s_lshl_b64 s[0:1], s[0:1], 2
	s_mul_hi_u32 s17, s16, s8
	v_mul_lo_u32 v13, s15, v11
	s_add_u32 s15, s18, s0
	s_mul_i32 s6, s16, s8
	s_addc_u32 s16, s19, s1
	s_add_i32 s7, s17, s7
	v_mad_u64_u32 v[6:7], null, s14, v11, 0
	s_lshl_b64 s[0:1], s[6:7], 2
	v_lshlrev_b64 v[3:4], 2, v[2:3]
	s_add_u32 s6, s12, s0
	s_addc_u32 s7, s13, s1
	s_ashr_i32 s0, s24, 31
	s_mul_i32 s1, s14, s0
	v_cmp_gt_i32_e64 s0, s11, v11
	v_add3_u32 v7, v7, s1, v13
	v_add_co_u32 v13, vcc_lo, s15, v3
	v_add_co_ci_u32_e64 v14, null, s16, v4, vcc_lo
	v_lshlrev_b64 v[6:7], 2, v[6:7]
	v_lshl_or_b32 v11, v10, 7, v12
	v_cmp_gt_i32_e64 s1, s11, v2
	v_add_nc_u32_e32 v12, 0x400, v8
	v_mov_b32_e32 v3, 0
	v_mov_b32_e32 v4, 0
	v_add_co_u32 v15, vcc_lo, s6, v6
	v_add_co_ci_u32_e64 v16, null, s7, v7, vcc_lo
	v_mov_b32_e32 v6, 0
	v_mov_b32_e32 v7, 0
	;; [unrolled: 1-line block ×3, first 2 shown]
	s_mov_b64 s[6:7], 0
	s_branch .LBB166_6
.LBB166_5:                              ;   in Loop: Header=BB166_6 Depth=1
	s_or_b32 exec_lo, exec_lo, s12
	s_waitcnt vmcnt(0)
	ds_write_b32 v12, v19
	s_waitcnt lgkmcnt(0)
	s_barrier
	buffer_gl0_inv
	ds_read_b128 v[18:21], v17
	ds_read2_b32 v[34:35], v9 offset1:16
	ds_read_b128 v[22:25], v17 offset:512
	ds_read2_b32 v[36:37], v9 offset0:32 offset1:48
	ds_read2_b32 v[38:39], v9 offset0:64 offset1:80
	;; [unrolled: 1-line block ×3, first 2 shown]
	ds_read_b128 v[26:29], v17 offset:16
	ds_read2_b32 v[42:43], v9 offset0:128 offset1:144
	ds_read_b128 v[30:33], v17 offset:528
	ds_read2_b32 v[44:45], v9 offset0:160 offset1:176
	s_add_u32 s6, s6, 8
	s_addc_u32 s7, s7, 0
	v_cmp_gt_i64_e64 s12, s[2:3], s[6:7]
	s_and_b32 vcc_lo, exec_lo, s12
	s_waitcnt lgkmcnt(8)
	v_fmac_f32_e32 v8, v34, v18
	v_fmac_f32_e32 v4, v35, v18
	s_waitcnt lgkmcnt(7)
	v_fmac_f32_e32 v7, v34, v22
	v_fmac_f32_e32 v6, v35, v22
	ds_read2_b32 v[34:35], v9 offset0:192 offset1:208
	s_waitcnt lgkmcnt(7)
	v_fmac_f32_e32 v8, v36, v19
	v_fmac_f32_e32 v4, v37, v19
	;; [unrolled: 1-line block ×4, first 2 shown]
	ds_read2_b32 v[18:19], v9 offset0:224 offset1:240
	s_waitcnt lgkmcnt(7)
	v_fmac_f32_e32 v8, v38, v20
	v_fmac_f32_e32 v4, v39, v20
	;; [unrolled: 1-line block ×4, first 2 shown]
	s_waitcnt lgkmcnt(0)
	v_fmac_f32_e32 v8, v40, v21
	v_fmac_f32_e32 v4, v41, v21
	;; [unrolled: 1-line block ×4, first 2 shown]
	s_barrier
	v_fmac_f32_e32 v8, v42, v26
	v_fmac_f32_e32 v4, v43, v26
	;; [unrolled: 1-line block ×4, first 2 shown]
	buffer_gl0_inv
	v_fmac_f32_e32 v8, v44, v27
	v_fmac_f32_e32 v4, v45, v27
	v_fmac_f32_e32 v7, v44, v31
	v_fmac_f32_e32 v6, v45, v31
	v_fmac_f32_e32 v8, v34, v28
	v_fmac_f32_e32 v4, v35, v28
	v_fmac_f32_e32 v7, v34, v32
	v_fmac_f32_e32 v6, v35, v32
	v_fmac_f32_e32 v8, v18, v29
	v_fmac_f32_e32 v4, v19, v29
	v_fmac_f32_e32 v7, v18, v33
	v_fmac_f32_e32 v6, v19, v33
	s_cbranch_vccz .LBB166_12
.LBB166_6:                              ; =>This Inner Loop Header: Depth=1
	v_mov_b32_e32 v18, 0
	s_and_saveexec_b32 s12, s0
	s_cbranch_execz .LBB166_10
; %bb.7:                                ;   in Loop: Header=BB166_6 Depth=1
	v_add_nc_u32_e32 v2, s6, v10
	v_mov_b32_e32 v18, 0
	s_mov_b32 s13, exec_lo
	v_cmpx_gt_u64_e64 s[2:3], v[2:3]
	s_cbranch_execz .LBB166_9
; %bb.8:                                ;   in Loop: Header=BB166_6 Depth=1
	v_lshlrev_b64 v[18:19], 2, v[2:3]
	v_add_co_u32 v18, vcc_lo, v15, v18
	v_add_co_ci_u32_e64 v19, null, v16, v19, vcc_lo
	global_load_dword v18, v[18:19], off
.LBB166_9:                              ;   in Loop: Header=BB166_6 Depth=1
	s_or_b32 exec_lo, exec_lo, s13
.LBB166_10:                             ;   in Loop: Header=BB166_6 Depth=1
	s_or_b32 exec_lo, exec_lo, s12
	v_add_nc_u32_e32 v2, s6, v5
	v_mov_b32_e32 v19, 0
	s_waitcnt vmcnt(0)
	ds_write_b32 v11, v18
	v_cmp_gt_u64_e32 vcc_lo, s[2:3], v[2:3]
	s_and_b32 s13, vcc_lo, s1
	s_and_saveexec_b32 s12, s13
	s_cbranch_execz .LBB166_5
; %bb.11:                               ;   in Loop: Header=BB166_6 Depth=1
	v_mad_u64_u32 v[18:19], null, s20, v2, 0
	v_mad_u64_u32 v[19:20], null, s21, v2, v[19:20]
	v_lshlrev_b64 v[18:19], 2, v[18:19]
	v_add_co_u32 v18, vcc_lo, v13, v18
	v_add_co_ci_u32_e64 v19, null, v14, v19, vcc_lo
	global_load_dword v19, v[18:19], off
	s_branch .LBB166_5
.LBB166_12:
	s_clause 0x1
	s_load_dwordx4 s[12:15], s[4:5], 0x50
	s_load_dwordx2 s[2:3], s[4:5], 0x60
	v_add_nc_u32_e32 v10, s25, v1
	v_add_nc_u32_e32 v0, s24, v0
	v_cmp_neq_f32_e64 s4, s9, 0
	v_ashrrev_i32_e32 v1, 31, v10
	s_waitcnt lgkmcnt(0)
	v_cmp_gt_i32_e64 s0, s11, v10
	v_cmp_le_i32_e32 vcc_lo, v0, v10
	v_cndmask_b32_e64 v9, 0, 1, s4
	v_mul_lo_u32 v3, s14, v1
	v_mul_lo_u32 v5, s15, v10
	v_mad_u64_u32 v[1:2], null, s14, v10, 0
	s_mul_i32 s1, s3, s8
	s_mul_hi_u32 s3, s2, s8
	s_mul_i32 s2, s2, s8
	s_add_i32 s3, s3, s1
	s_lshl_b64 s[2:3], s[2:3], 2
	v_add3_u32 v2, v2, v3, v5
	s_add_u32 s2, s12, s2
	s_addc_u32 s3, s13, s3
	s_and_b32 s5, s0, vcc_lo
	v_lshlrev_b64 v[2:3], 2, v[1:2]
	v_ashrrev_i32_e32 v1, 31, v0
	v_add_co_u32 v5, s1, s2, v2
	v_add_co_ci_u32_e64 v11, null, s3, v3, s1
	s_and_saveexec_b32 s1, s5
	s_cbranch_execz .LBB166_16
; %bb.13:
	v_lshlrev_b64 v[2:3], 2, v[0:1]
	v_mul_f32_e32 v8, s10, v8
	v_add_co_u32 v2, vcc_lo, v5, v2
	v_add_co_ci_u32_e64 v3, null, v11, v3, vcc_lo
	s_andn2_b32 vcc_lo, exec_lo, s4
	s_cbranch_vccnz .LBB166_15
; %bb.14:
	global_load_dword v12, v[2:3], off
	s_waitcnt vmcnt(0)
	v_fmac_f32_e32 v8, s9, v12
.LBB166_15:
	global_store_dword v[2:3], v8, off
.LBB166_16:
	s_or_b32 exec_lo, exec_lo, s1
	v_add_nc_u32_e32 v2, 16, v0
	v_cmp_le_i32_e32 vcc_lo, v2, v10
	v_ashrrev_i32_e32 v3, 31, v2
	s_and_b32 s0, s0, vcc_lo
	s_and_saveexec_b32 s1, s0
	s_cbranch_execz .LBB166_20
; %bb.17:
	v_lshlrev_b64 v[12:13], 2, v[2:3]
	v_mul_f32_e32 v8, s10, v4
	v_cmp_ne_u32_e32 vcc_lo, 1, v9
	v_add_co_u32 v4, s0, v5, v12
	v_add_co_ci_u32_e64 v5, null, v11, v13, s0
	s_cbranch_vccnz .LBB166_19
; %bb.18:
	global_load_dword v11, v[4:5], off
	s_waitcnt vmcnt(0)
	v_fmac_f32_e32 v8, s9, v11
.LBB166_19:
	global_store_dword v[4:5], v8, off
.LBB166_20:
	s_or_b32 exec_lo, exec_lo, s1
	v_add_nc_u32_e32 v8, 16, v10
	v_ashrrev_i32_e32 v10, 31, v8
	v_mul_lo_u32 v11, s15, v8
	v_mad_u64_u32 v[4:5], null, s14, v8, 0
	v_cmp_gt_i32_e64 s0, s11, v8
	v_mul_lo_u32 v10, s14, v10
	v_cmp_le_i32_e32 vcc_lo, v0, v8
	v_add3_u32 v5, v5, v10, v11
	v_lshlrev_b64 v[4:5], 2, v[4:5]
	v_add_co_u32 v4, s1, s2, v4
	v_add_co_ci_u32_e64 v5, null, s3, v5, s1
	s_and_b32 s1, s0, vcc_lo
	s_and_saveexec_b32 s2, s1
	s_cbranch_execz .LBB166_24
; %bb.21:
	v_lshlrev_b64 v[0:1], 2, v[0:1]
	v_cmp_ne_u32_e32 vcc_lo, 1, v9
	v_mul_f32_e32 v7, s10, v7
	v_add_co_u32 v0, s1, v4, v0
	v_add_co_ci_u32_e64 v1, null, v5, v1, s1
	s_cbranch_vccnz .LBB166_23
; %bb.22:
	global_load_dword v10, v[0:1], off
	s_waitcnt vmcnt(0)
	v_fmac_f32_e32 v7, s9, v10
.LBB166_23:
	global_store_dword v[0:1], v7, off
.LBB166_24:
	s_or_b32 exec_lo, exec_lo, s2
	v_cmp_le_i32_e32 vcc_lo, v2, v8
	s_and_b32 s0, s0, vcc_lo
	s_and_saveexec_b32 s1, s0
	s_cbranch_execz .LBB166_28
; %bb.25:
	v_lshlrev_b64 v[0:1], 2, v[2:3]
	v_cmp_ne_u32_e32 vcc_lo, 1, v9
	v_mul_f32_e32 v2, s10, v6
	v_add_co_u32 v0, s0, v4, v0
	v_add_co_ci_u32_e64 v1, null, v5, v1, s0
	s_cbranch_vccnz .LBB166_27
; %bb.26:
	global_load_dword v3, v[0:1], off
	s_waitcnt vmcnt(0)
	v_fmac_f32_e32 v2, s9, v3
.LBB166_27:
	global_store_dword v[0:1], v2, off
.LBB166_28:
	s_endpgm
	.section	.rodata,"a",@progbits
	.p2align	6, 0x0
	.amdhsa_kernel _ZL29rocblas_internal_gemmt_kernelIlLi16ELi32ELi8ELc84ELc84ELc85ELb0ELb0EffPKfPfEviT_T9_T10_S3_lS5_S3_lS4_T11_S3_li
		.amdhsa_group_segment_fixed_size 2048
		.amdhsa_private_segment_fixed_size 0
		.amdhsa_kernarg_size 108
		.amdhsa_user_sgpr_count 6
		.amdhsa_user_sgpr_private_segment_buffer 1
		.amdhsa_user_sgpr_dispatch_ptr 0
		.amdhsa_user_sgpr_queue_ptr 0
		.amdhsa_user_sgpr_kernarg_segment_ptr 1
		.amdhsa_user_sgpr_dispatch_id 0
		.amdhsa_user_sgpr_flat_scratch_init 0
		.amdhsa_user_sgpr_private_segment_size 0
		.amdhsa_wavefront_size32 1
		.amdhsa_uses_dynamic_stack 0
		.amdhsa_system_sgpr_private_segment_wavefront_offset 0
		.amdhsa_system_sgpr_workgroup_id_x 1
		.amdhsa_system_sgpr_workgroup_id_y 1
		.amdhsa_system_sgpr_workgroup_id_z 1
		.amdhsa_system_sgpr_workgroup_info 0
		.amdhsa_system_vgpr_workitem_id 1
		.amdhsa_next_free_vgpr 46
		.amdhsa_next_free_sgpr 26
		.amdhsa_reserve_vcc 1
		.amdhsa_reserve_flat_scratch 0
		.amdhsa_float_round_mode_32 0
		.amdhsa_float_round_mode_16_64 0
		.amdhsa_float_denorm_mode_32 3
		.amdhsa_float_denorm_mode_16_64 3
		.amdhsa_dx10_clamp 1
		.amdhsa_ieee_mode 1
		.amdhsa_fp16_overflow 0
		.amdhsa_workgroup_processor_mode 1
		.amdhsa_memory_ordered 1
		.amdhsa_forward_progress 1
		.amdhsa_shared_vgpr_count 0
		.amdhsa_exception_fp_ieee_invalid_op 0
		.amdhsa_exception_fp_denorm_src 0
		.amdhsa_exception_fp_ieee_div_zero 0
		.amdhsa_exception_fp_ieee_overflow 0
		.amdhsa_exception_fp_ieee_underflow 0
		.amdhsa_exception_fp_ieee_inexact 0
		.amdhsa_exception_int_div_zero 0
	.end_amdhsa_kernel
	.section	.text._ZL29rocblas_internal_gemmt_kernelIlLi16ELi32ELi8ELc84ELc84ELc85ELb0ELb0EffPKfPfEviT_T9_T10_S3_lS5_S3_lS4_T11_S3_li,"axG",@progbits,_ZL29rocblas_internal_gemmt_kernelIlLi16ELi32ELi8ELc84ELc84ELc85ELb0ELb0EffPKfPfEviT_T9_T10_S3_lS5_S3_lS4_T11_S3_li,comdat
.Lfunc_end166:
	.size	_ZL29rocblas_internal_gemmt_kernelIlLi16ELi32ELi8ELc84ELc84ELc85ELb0ELb0EffPKfPfEviT_T9_T10_S3_lS5_S3_lS4_T11_S3_li, .Lfunc_end166-_ZL29rocblas_internal_gemmt_kernelIlLi16ELi32ELi8ELc84ELc84ELc85ELb0ELb0EffPKfPfEviT_T9_T10_S3_lS5_S3_lS4_T11_S3_li
                                        ; -- End function
	.set _ZL29rocblas_internal_gemmt_kernelIlLi16ELi32ELi8ELc84ELc84ELc85ELb0ELb0EffPKfPfEviT_T9_T10_S3_lS5_S3_lS4_T11_S3_li.num_vgpr, 46
	.set _ZL29rocblas_internal_gemmt_kernelIlLi16ELi32ELi8ELc84ELc84ELc85ELb0ELb0EffPKfPfEviT_T9_T10_S3_lS5_S3_lS4_T11_S3_li.num_agpr, 0
	.set _ZL29rocblas_internal_gemmt_kernelIlLi16ELi32ELi8ELc84ELc84ELc85ELb0ELb0EffPKfPfEviT_T9_T10_S3_lS5_S3_lS4_T11_S3_li.numbered_sgpr, 26
	.set _ZL29rocblas_internal_gemmt_kernelIlLi16ELi32ELi8ELc84ELc84ELc85ELb0ELb0EffPKfPfEviT_T9_T10_S3_lS5_S3_lS4_T11_S3_li.num_named_barrier, 0
	.set _ZL29rocblas_internal_gemmt_kernelIlLi16ELi32ELi8ELc84ELc84ELc85ELb0ELb0EffPKfPfEviT_T9_T10_S3_lS5_S3_lS4_T11_S3_li.private_seg_size, 0
	.set _ZL29rocblas_internal_gemmt_kernelIlLi16ELi32ELi8ELc84ELc84ELc85ELb0ELb0EffPKfPfEviT_T9_T10_S3_lS5_S3_lS4_T11_S3_li.uses_vcc, 1
	.set _ZL29rocblas_internal_gemmt_kernelIlLi16ELi32ELi8ELc84ELc84ELc85ELb0ELb0EffPKfPfEviT_T9_T10_S3_lS5_S3_lS4_T11_S3_li.uses_flat_scratch, 0
	.set _ZL29rocblas_internal_gemmt_kernelIlLi16ELi32ELi8ELc84ELc84ELc85ELb0ELb0EffPKfPfEviT_T9_T10_S3_lS5_S3_lS4_T11_S3_li.has_dyn_sized_stack, 0
	.set _ZL29rocblas_internal_gemmt_kernelIlLi16ELi32ELi8ELc84ELc84ELc85ELb0ELb0EffPKfPfEviT_T9_T10_S3_lS5_S3_lS4_T11_S3_li.has_recursion, 0
	.set _ZL29rocblas_internal_gemmt_kernelIlLi16ELi32ELi8ELc84ELc84ELc85ELb0ELb0EffPKfPfEviT_T9_T10_S3_lS5_S3_lS4_T11_S3_li.has_indirect_call, 0
	.section	.AMDGPU.csdata,"",@progbits
; Kernel info:
; codeLenInByte = 1448
; TotalNumSgprs: 28
; NumVgprs: 46
; ScratchSize: 0
; MemoryBound: 0
; FloatMode: 240
; IeeeMode: 1
; LDSByteSize: 2048 bytes/workgroup (compile time only)
; SGPRBlocks: 0
; VGPRBlocks: 5
; NumSGPRsForWavesPerEU: 28
; NumVGPRsForWavesPerEU: 46
; Occupancy: 16
; WaveLimiterHint : 0
; COMPUTE_PGM_RSRC2:SCRATCH_EN: 0
; COMPUTE_PGM_RSRC2:USER_SGPR: 6
; COMPUTE_PGM_RSRC2:TRAP_HANDLER: 0
; COMPUTE_PGM_RSRC2:TGID_X_EN: 1
; COMPUTE_PGM_RSRC2:TGID_Y_EN: 1
; COMPUTE_PGM_RSRC2:TGID_Z_EN: 1
; COMPUTE_PGM_RSRC2:TIDIG_COMP_CNT: 1
	.section	.text._ZL29rocblas_internal_gemmt_kernelIlLi16ELi32ELi8ELc84ELc67ELc85ELb0ELb0EffPKfPfEviT_T9_T10_S3_lS5_S3_lS4_T11_S3_li,"axG",@progbits,_ZL29rocblas_internal_gemmt_kernelIlLi16ELi32ELi8ELc84ELc67ELc85ELb0ELb0EffPKfPfEviT_T9_T10_S3_lS5_S3_lS4_T11_S3_li,comdat
	.globl	_ZL29rocblas_internal_gemmt_kernelIlLi16ELi32ELi8ELc84ELc67ELc85ELb0ELb0EffPKfPfEviT_T9_T10_S3_lS5_S3_lS4_T11_S3_li ; -- Begin function _ZL29rocblas_internal_gemmt_kernelIlLi16ELi32ELi8ELc84ELc67ELc85ELb0ELb0EffPKfPfEviT_T9_T10_S3_lS5_S3_lS4_T11_S3_li
	.p2align	8
	.type	_ZL29rocblas_internal_gemmt_kernelIlLi16ELi32ELi8ELc84ELc67ELc85ELb0ELb0EffPKfPfEviT_T9_T10_S3_lS5_S3_lS4_T11_S3_li,@function
_ZL29rocblas_internal_gemmt_kernelIlLi16ELi32ELi8ELc84ELc67ELc85ELb0ELb0EffPKfPfEviT_T9_T10_S3_lS5_S3_lS4_T11_S3_li: ; @_ZL29rocblas_internal_gemmt_kernelIlLi16ELi32ELi8ELc84ELc67ELc85ELb0ELb0EffPKfPfEviT_T9_T10_S3_lS5_S3_lS4_T11_S3_li
; %bb.0:
	s_clause 0x2
	s_load_dword s9, s[4:5], 0x48
	s_load_dwordx2 s[2:3], s[4:5], 0x8
	s_load_dword s10, s[4:5], 0x10
	s_waitcnt lgkmcnt(0)
	v_cmp_neq_f32_e64 s0, s9, 1.0
	s_and_b32 vcc_lo, exec_lo, s0
	s_cbranch_vccnz .LBB167_2
; %bb.1:
	v_cmp_neq_f32_e64 s0, s10, 0
	s_cmp_lg_u64 s[2:3], 0
	s_cselect_b32 s1, -1, 0
	s_and_b32 s0, s1, s0
.LBB167_2:
	s_andn2_b32 vcc_lo, exec_lo, s0
	s_cbranch_vccnz .LBB167_28
; %bb.3:
	s_load_dword s11, s[4:5], 0x0
	v_cmp_lt_i64_e64 s0, s[2:3], 1
	v_cmp_eq_f32_e64 s1, s10, 0
	v_mov_b32_e32 v8, 0
	v_mov_b32_e32 v4, 0
	;; [unrolled: 1-line block ×4, first 2 shown]
	s_or_b32 s0, s1, s0
	s_lshl_b32 s24, s6, 5
	s_and_b32 vcc_lo, exec_lo, s0
	s_lshl_b32 s25, s7, 5
	s_cbranch_vccnz .LBB167_12
; %bb.4:
	s_clause 0x1
	s_load_dwordx4 s[20:23], s[4:5], 0x38
	s_load_dwordx8 s[12:19], s[4:5], 0x18
	v_lshl_add_u32 v2, v1, 4, v0
	v_and_b32_e32 v5, 7, v0
	v_lshlrev_b32_e32 v9, 2, v0
	v_lshl_add_u32 v17, v1, 5, 0x400
	v_and_b32_e32 v3, 31, v2
	v_lshrrev_b32_e32 v4, 3, v2
	v_lshrrev_b32_e32 v10, 5, v2
	v_lshlrev_b32_e32 v8, 2, v5
	v_or_b32_e32 v11, s24, v3
	v_add_nc_u32_e32 v2, s25, v4
	v_lshlrev_b32_e32 v12, 2, v3
	v_lshl_or_b32 v8, v4, 5, v8
	v_ashrrev_i32_e32 v3, 31, v2
	s_waitcnt lgkmcnt(0)
	s_mul_i32 s1, s23, s8
	s_mul_hi_u32 s6, s22, s8
	s_mul_i32 s0, s22, s8
	s_add_i32 s1, s6, s1
	s_mul_i32 s7, s17, s8
	s_lshl_b64 s[0:1], s[0:1], 2
	s_mul_hi_u32 s17, s16, s8
	v_mul_lo_u32 v13, s15, v11
	s_add_u32 s15, s18, s0
	s_mul_i32 s6, s16, s8
	s_addc_u32 s16, s19, s1
	s_add_i32 s7, s17, s7
	v_mad_u64_u32 v[6:7], null, s14, v11, 0
	s_lshl_b64 s[0:1], s[6:7], 2
	v_lshlrev_b64 v[3:4], 2, v[2:3]
	s_add_u32 s6, s12, s0
	s_addc_u32 s7, s13, s1
	s_ashr_i32 s0, s24, 31
	s_mul_i32 s1, s14, s0
	v_cmp_gt_i32_e64 s0, s11, v11
	v_add3_u32 v7, v7, s1, v13
	v_add_co_u32 v13, vcc_lo, s15, v3
	v_add_co_ci_u32_e64 v14, null, s16, v4, vcc_lo
	v_lshlrev_b64 v[6:7], 2, v[6:7]
	v_lshl_or_b32 v11, v10, 7, v12
	v_cmp_gt_i32_e64 s1, s11, v2
	v_add_nc_u32_e32 v12, 0x400, v8
	v_mov_b32_e32 v3, 0
	v_mov_b32_e32 v4, 0
	v_add_co_u32 v15, vcc_lo, s6, v6
	v_add_co_ci_u32_e64 v16, null, s7, v7, vcc_lo
	v_mov_b32_e32 v6, 0
	v_mov_b32_e32 v7, 0
	;; [unrolled: 1-line block ×3, first 2 shown]
	s_mov_b64 s[6:7], 0
	s_branch .LBB167_6
.LBB167_5:                              ;   in Loop: Header=BB167_6 Depth=1
	s_or_b32 exec_lo, exec_lo, s12
	s_waitcnt vmcnt(0)
	ds_write_b32 v12, v19
	s_waitcnt lgkmcnt(0)
	s_barrier
	buffer_gl0_inv
	ds_read_b128 v[18:21], v17
	ds_read2_b32 v[34:35], v9 offset1:16
	ds_read_b128 v[22:25], v17 offset:512
	ds_read2_b32 v[36:37], v9 offset0:32 offset1:48
	ds_read2_b32 v[38:39], v9 offset0:64 offset1:80
	;; [unrolled: 1-line block ×3, first 2 shown]
	ds_read_b128 v[26:29], v17 offset:16
	ds_read2_b32 v[42:43], v9 offset0:128 offset1:144
	ds_read_b128 v[30:33], v17 offset:528
	ds_read2_b32 v[44:45], v9 offset0:160 offset1:176
	s_add_u32 s6, s6, 8
	s_addc_u32 s7, s7, 0
	v_cmp_gt_i64_e64 s12, s[2:3], s[6:7]
	s_and_b32 vcc_lo, exec_lo, s12
	s_waitcnt lgkmcnt(8)
	v_fmac_f32_e32 v8, v34, v18
	v_fmac_f32_e32 v4, v35, v18
	s_waitcnt lgkmcnt(7)
	v_fmac_f32_e32 v7, v34, v22
	v_fmac_f32_e32 v6, v35, v22
	ds_read2_b32 v[34:35], v9 offset0:192 offset1:208
	s_waitcnt lgkmcnt(7)
	v_fmac_f32_e32 v8, v36, v19
	v_fmac_f32_e32 v4, v37, v19
	;; [unrolled: 1-line block ×4, first 2 shown]
	ds_read2_b32 v[18:19], v9 offset0:224 offset1:240
	s_waitcnt lgkmcnt(7)
	v_fmac_f32_e32 v8, v38, v20
	v_fmac_f32_e32 v4, v39, v20
	;; [unrolled: 1-line block ×4, first 2 shown]
	s_waitcnt lgkmcnt(0)
	v_fmac_f32_e32 v8, v40, v21
	v_fmac_f32_e32 v4, v41, v21
	;; [unrolled: 1-line block ×4, first 2 shown]
	s_barrier
	v_fmac_f32_e32 v8, v42, v26
	v_fmac_f32_e32 v4, v43, v26
	;; [unrolled: 1-line block ×4, first 2 shown]
	buffer_gl0_inv
	v_fmac_f32_e32 v8, v44, v27
	v_fmac_f32_e32 v4, v45, v27
	;; [unrolled: 1-line block ×12, first 2 shown]
	s_cbranch_vccz .LBB167_12
.LBB167_6:                              ; =>This Inner Loop Header: Depth=1
	v_mov_b32_e32 v18, 0
	s_and_saveexec_b32 s12, s0
	s_cbranch_execz .LBB167_10
; %bb.7:                                ;   in Loop: Header=BB167_6 Depth=1
	v_add_nc_u32_e32 v2, s6, v10
	v_mov_b32_e32 v18, 0
	s_mov_b32 s13, exec_lo
	v_cmpx_gt_u64_e64 s[2:3], v[2:3]
	s_cbranch_execz .LBB167_9
; %bb.8:                                ;   in Loop: Header=BB167_6 Depth=1
	v_lshlrev_b64 v[18:19], 2, v[2:3]
	v_add_co_u32 v18, vcc_lo, v15, v18
	v_add_co_ci_u32_e64 v19, null, v16, v19, vcc_lo
	global_load_dword v18, v[18:19], off
.LBB167_9:                              ;   in Loop: Header=BB167_6 Depth=1
	s_or_b32 exec_lo, exec_lo, s13
.LBB167_10:                             ;   in Loop: Header=BB167_6 Depth=1
	s_or_b32 exec_lo, exec_lo, s12
	v_add_nc_u32_e32 v2, s6, v5
	v_mov_b32_e32 v19, 0
	s_waitcnt vmcnt(0)
	ds_write_b32 v11, v18
	v_cmp_gt_u64_e32 vcc_lo, s[2:3], v[2:3]
	s_and_b32 s13, vcc_lo, s1
	s_and_saveexec_b32 s12, s13
	s_cbranch_execz .LBB167_5
; %bb.11:                               ;   in Loop: Header=BB167_6 Depth=1
	v_mad_u64_u32 v[18:19], null, s20, v2, 0
	v_mad_u64_u32 v[19:20], null, s21, v2, v[19:20]
	v_lshlrev_b64 v[18:19], 2, v[18:19]
	v_add_co_u32 v18, vcc_lo, v13, v18
	v_add_co_ci_u32_e64 v19, null, v14, v19, vcc_lo
	global_load_dword v19, v[18:19], off
	s_branch .LBB167_5
.LBB167_12:
	s_clause 0x1
	s_load_dwordx4 s[12:15], s[4:5], 0x50
	s_load_dwordx2 s[2:3], s[4:5], 0x60
	v_add_nc_u32_e32 v10, s25, v1
	v_add_nc_u32_e32 v0, s24, v0
	v_cmp_neq_f32_e64 s4, s9, 0
	v_ashrrev_i32_e32 v1, 31, v10
	s_waitcnt lgkmcnt(0)
	v_cmp_gt_i32_e64 s0, s11, v10
	v_cmp_le_i32_e32 vcc_lo, v0, v10
	v_cndmask_b32_e64 v9, 0, 1, s4
	v_mul_lo_u32 v3, s14, v1
	v_mul_lo_u32 v5, s15, v10
	v_mad_u64_u32 v[1:2], null, s14, v10, 0
	s_mul_i32 s1, s3, s8
	s_mul_hi_u32 s3, s2, s8
	s_mul_i32 s2, s2, s8
	s_add_i32 s3, s3, s1
	s_lshl_b64 s[2:3], s[2:3], 2
	v_add3_u32 v2, v2, v3, v5
	s_add_u32 s2, s12, s2
	s_addc_u32 s3, s13, s3
	s_and_b32 s5, s0, vcc_lo
	v_lshlrev_b64 v[2:3], 2, v[1:2]
	v_ashrrev_i32_e32 v1, 31, v0
	v_add_co_u32 v5, s1, s2, v2
	v_add_co_ci_u32_e64 v11, null, s3, v3, s1
	s_and_saveexec_b32 s1, s5
	s_cbranch_execz .LBB167_16
; %bb.13:
	v_lshlrev_b64 v[2:3], 2, v[0:1]
	v_mul_f32_e32 v8, s10, v8
	v_add_co_u32 v2, vcc_lo, v5, v2
	v_add_co_ci_u32_e64 v3, null, v11, v3, vcc_lo
	s_andn2_b32 vcc_lo, exec_lo, s4
	s_cbranch_vccnz .LBB167_15
; %bb.14:
	global_load_dword v12, v[2:3], off
	s_waitcnt vmcnt(0)
	v_fmac_f32_e32 v8, s9, v12
.LBB167_15:
	global_store_dword v[2:3], v8, off
.LBB167_16:
	s_or_b32 exec_lo, exec_lo, s1
	v_add_nc_u32_e32 v2, 16, v0
	v_cmp_le_i32_e32 vcc_lo, v2, v10
	v_ashrrev_i32_e32 v3, 31, v2
	s_and_b32 s0, s0, vcc_lo
	s_and_saveexec_b32 s1, s0
	s_cbranch_execz .LBB167_20
; %bb.17:
	v_lshlrev_b64 v[12:13], 2, v[2:3]
	v_mul_f32_e32 v8, s10, v4
	v_cmp_ne_u32_e32 vcc_lo, 1, v9
	v_add_co_u32 v4, s0, v5, v12
	v_add_co_ci_u32_e64 v5, null, v11, v13, s0
	s_cbranch_vccnz .LBB167_19
; %bb.18:
	global_load_dword v11, v[4:5], off
	s_waitcnt vmcnt(0)
	v_fmac_f32_e32 v8, s9, v11
.LBB167_19:
	global_store_dword v[4:5], v8, off
.LBB167_20:
	s_or_b32 exec_lo, exec_lo, s1
	v_add_nc_u32_e32 v8, 16, v10
	v_ashrrev_i32_e32 v10, 31, v8
	v_mul_lo_u32 v11, s15, v8
	v_mad_u64_u32 v[4:5], null, s14, v8, 0
	v_cmp_gt_i32_e64 s0, s11, v8
	v_mul_lo_u32 v10, s14, v10
	v_cmp_le_i32_e32 vcc_lo, v0, v8
	v_add3_u32 v5, v5, v10, v11
	v_lshlrev_b64 v[4:5], 2, v[4:5]
	v_add_co_u32 v4, s1, s2, v4
	v_add_co_ci_u32_e64 v5, null, s3, v5, s1
	s_and_b32 s1, s0, vcc_lo
	s_and_saveexec_b32 s2, s1
	s_cbranch_execz .LBB167_24
; %bb.21:
	v_lshlrev_b64 v[0:1], 2, v[0:1]
	v_cmp_ne_u32_e32 vcc_lo, 1, v9
	v_mul_f32_e32 v7, s10, v7
	v_add_co_u32 v0, s1, v4, v0
	v_add_co_ci_u32_e64 v1, null, v5, v1, s1
	s_cbranch_vccnz .LBB167_23
; %bb.22:
	global_load_dword v10, v[0:1], off
	s_waitcnt vmcnt(0)
	v_fmac_f32_e32 v7, s9, v10
.LBB167_23:
	global_store_dword v[0:1], v7, off
.LBB167_24:
	s_or_b32 exec_lo, exec_lo, s2
	v_cmp_le_i32_e32 vcc_lo, v2, v8
	s_and_b32 s0, s0, vcc_lo
	s_and_saveexec_b32 s1, s0
	s_cbranch_execz .LBB167_28
; %bb.25:
	v_lshlrev_b64 v[0:1], 2, v[2:3]
	v_cmp_ne_u32_e32 vcc_lo, 1, v9
	v_mul_f32_e32 v2, s10, v6
	v_add_co_u32 v0, s0, v4, v0
	v_add_co_ci_u32_e64 v1, null, v5, v1, s0
	s_cbranch_vccnz .LBB167_27
; %bb.26:
	global_load_dword v3, v[0:1], off
	s_waitcnt vmcnt(0)
	v_fmac_f32_e32 v2, s9, v3
.LBB167_27:
	global_store_dword v[0:1], v2, off
.LBB167_28:
	s_endpgm
	.section	.rodata,"a",@progbits
	.p2align	6, 0x0
	.amdhsa_kernel _ZL29rocblas_internal_gemmt_kernelIlLi16ELi32ELi8ELc84ELc67ELc85ELb0ELb0EffPKfPfEviT_T9_T10_S3_lS5_S3_lS4_T11_S3_li
		.amdhsa_group_segment_fixed_size 2048
		.amdhsa_private_segment_fixed_size 0
		.amdhsa_kernarg_size 108
		.amdhsa_user_sgpr_count 6
		.amdhsa_user_sgpr_private_segment_buffer 1
		.amdhsa_user_sgpr_dispatch_ptr 0
		.amdhsa_user_sgpr_queue_ptr 0
		.amdhsa_user_sgpr_kernarg_segment_ptr 1
		.amdhsa_user_sgpr_dispatch_id 0
		.amdhsa_user_sgpr_flat_scratch_init 0
		.amdhsa_user_sgpr_private_segment_size 0
		.amdhsa_wavefront_size32 1
		.amdhsa_uses_dynamic_stack 0
		.amdhsa_system_sgpr_private_segment_wavefront_offset 0
		.amdhsa_system_sgpr_workgroup_id_x 1
		.amdhsa_system_sgpr_workgroup_id_y 1
		.amdhsa_system_sgpr_workgroup_id_z 1
		.amdhsa_system_sgpr_workgroup_info 0
		.amdhsa_system_vgpr_workitem_id 1
		.amdhsa_next_free_vgpr 46
		.amdhsa_next_free_sgpr 26
		.amdhsa_reserve_vcc 1
		.amdhsa_reserve_flat_scratch 0
		.amdhsa_float_round_mode_32 0
		.amdhsa_float_round_mode_16_64 0
		.amdhsa_float_denorm_mode_32 3
		.amdhsa_float_denorm_mode_16_64 3
		.amdhsa_dx10_clamp 1
		.amdhsa_ieee_mode 1
		.amdhsa_fp16_overflow 0
		.amdhsa_workgroup_processor_mode 1
		.amdhsa_memory_ordered 1
		.amdhsa_forward_progress 1
		.amdhsa_shared_vgpr_count 0
		.amdhsa_exception_fp_ieee_invalid_op 0
		.amdhsa_exception_fp_denorm_src 0
		.amdhsa_exception_fp_ieee_div_zero 0
		.amdhsa_exception_fp_ieee_overflow 0
		.amdhsa_exception_fp_ieee_underflow 0
		.amdhsa_exception_fp_ieee_inexact 0
		.amdhsa_exception_int_div_zero 0
	.end_amdhsa_kernel
	.section	.text._ZL29rocblas_internal_gemmt_kernelIlLi16ELi32ELi8ELc84ELc67ELc85ELb0ELb0EffPKfPfEviT_T9_T10_S3_lS5_S3_lS4_T11_S3_li,"axG",@progbits,_ZL29rocblas_internal_gemmt_kernelIlLi16ELi32ELi8ELc84ELc67ELc85ELb0ELb0EffPKfPfEviT_T9_T10_S3_lS5_S3_lS4_T11_S3_li,comdat
.Lfunc_end167:
	.size	_ZL29rocblas_internal_gemmt_kernelIlLi16ELi32ELi8ELc84ELc67ELc85ELb0ELb0EffPKfPfEviT_T9_T10_S3_lS5_S3_lS4_T11_S3_li, .Lfunc_end167-_ZL29rocblas_internal_gemmt_kernelIlLi16ELi32ELi8ELc84ELc67ELc85ELb0ELb0EffPKfPfEviT_T9_T10_S3_lS5_S3_lS4_T11_S3_li
                                        ; -- End function
	.set _ZL29rocblas_internal_gemmt_kernelIlLi16ELi32ELi8ELc84ELc67ELc85ELb0ELb0EffPKfPfEviT_T9_T10_S3_lS5_S3_lS4_T11_S3_li.num_vgpr, 46
	.set _ZL29rocblas_internal_gemmt_kernelIlLi16ELi32ELi8ELc84ELc67ELc85ELb0ELb0EffPKfPfEviT_T9_T10_S3_lS5_S3_lS4_T11_S3_li.num_agpr, 0
	.set _ZL29rocblas_internal_gemmt_kernelIlLi16ELi32ELi8ELc84ELc67ELc85ELb0ELb0EffPKfPfEviT_T9_T10_S3_lS5_S3_lS4_T11_S3_li.numbered_sgpr, 26
	.set _ZL29rocblas_internal_gemmt_kernelIlLi16ELi32ELi8ELc84ELc67ELc85ELb0ELb0EffPKfPfEviT_T9_T10_S3_lS5_S3_lS4_T11_S3_li.num_named_barrier, 0
	.set _ZL29rocblas_internal_gemmt_kernelIlLi16ELi32ELi8ELc84ELc67ELc85ELb0ELb0EffPKfPfEviT_T9_T10_S3_lS5_S3_lS4_T11_S3_li.private_seg_size, 0
	.set _ZL29rocblas_internal_gemmt_kernelIlLi16ELi32ELi8ELc84ELc67ELc85ELb0ELb0EffPKfPfEviT_T9_T10_S3_lS5_S3_lS4_T11_S3_li.uses_vcc, 1
	.set _ZL29rocblas_internal_gemmt_kernelIlLi16ELi32ELi8ELc84ELc67ELc85ELb0ELb0EffPKfPfEviT_T9_T10_S3_lS5_S3_lS4_T11_S3_li.uses_flat_scratch, 0
	.set _ZL29rocblas_internal_gemmt_kernelIlLi16ELi32ELi8ELc84ELc67ELc85ELb0ELb0EffPKfPfEviT_T9_T10_S3_lS5_S3_lS4_T11_S3_li.has_dyn_sized_stack, 0
	.set _ZL29rocblas_internal_gemmt_kernelIlLi16ELi32ELi8ELc84ELc67ELc85ELb0ELb0EffPKfPfEviT_T9_T10_S3_lS5_S3_lS4_T11_S3_li.has_recursion, 0
	.set _ZL29rocblas_internal_gemmt_kernelIlLi16ELi32ELi8ELc84ELc67ELc85ELb0ELb0EffPKfPfEviT_T9_T10_S3_lS5_S3_lS4_T11_S3_li.has_indirect_call, 0
	.section	.AMDGPU.csdata,"",@progbits
; Kernel info:
; codeLenInByte = 1448
; TotalNumSgprs: 28
; NumVgprs: 46
; ScratchSize: 0
; MemoryBound: 0
; FloatMode: 240
; IeeeMode: 1
; LDSByteSize: 2048 bytes/workgroup (compile time only)
; SGPRBlocks: 0
; VGPRBlocks: 5
; NumSGPRsForWavesPerEU: 28
; NumVGPRsForWavesPerEU: 46
; Occupancy: 16
; WaveLimiterHint : 0
; COMPUTE_PGM_RSRC2:SCRATCH_EN: 0
; COMPUTE_PGM_RSRC2:USER_SGPR: 6
; COMPUTE_PGM_RSRC2:TRAP_HANDLER: 0
; COMPUTE_PGM_RSRC2:TGID_X_EN: 1
; COMPUTE_PGM_RSRC2:TGID_Y_EN: 1
; COMPUTE_PGM_RSRC2:TGID_Z_EN: 1
; COMPUTE_PGM_RSRC2:TIDIG_COMP_CNT: 1
	.section	.text._ZL29rocblas_internal_gemmt_kernelIlLi16ELi32ELi8ELc67ELc78ELc85ELb0ELb0EffPKfPfEviT_T9_T10_S3_lS5_S3_lS4_T11_S3_li,"axG",@progbits,_ZL29rocblas_internal_gemmt_kernelIlLi16ELi32ELi8ELc67ELc78ELc85ELb0ELb0EffPKfPfEviT_T9_T10_S3_lS5_S3_lS4_T11_S3_li,comdat
	.globl	_ZL29rocblas_internal_gemmt_kernelIlLi16ELi32ELi8ELc67ELc78ELc85ELb0ELb0EffPKfPfEviT_T9_T10_S3_lS5_S3_lS4_T11_S3_li ; -- Begin function _ZL29rocblas_internal_gemmt_kernelIlLi16ELi32ELi8ELc67ELc78ELc85ELb0ELb0EffPKfPfEviT_T9_T10_S3_lS5_S3_lS4_T11_S3_li
	.p2align	8
	.type	_ZL29rocblas_internal_gemmt_kernelIlLi16ELi32ELi8ELc67ELc78ELc85ELb0ELb0EffPKfPfEviT_T9_T10_S3_lS5_S3_lS4_T11_S3_li,@function
_ZL29rocblas_internal_gemmt_kernelIlLi16ELi32ELi8ELc67ELc78ELc85ELb0ELb0EffPKfPfEviT_T9_T10_S3_lS5_S3_lS4_T11_S3_li: ; @_ZL29rocblas_internal_gemmt_kernelIlLi16ELi32ELi8ELc67ELc78ELc85ELb0ELb0EffPKfPfEviT_T9_T10_S3_lS5_S3_lS4_T11_S3_li
; %bb.0:
	s_clause 0x2
	s_load_dword s9, s[4:5], 0x48
	s_load_dwordx2 s[10:11], s[4:5], 0x8
	s_load_dword s20, s[4:5], 0x10
	s_waitcnt lgkmcnt(0)
	v_cmp_neq_f32_e64 s0, s9, 1.0
	s_and_b32 vcc_lo, exec_lo, s0
	s_cbranch_vccnz .LBB168_2
; %bb.1:
	v_cmp_neq_f32_e64 s0, s20, 0
	s_cmp_lg_u64 s[10:11], 0
	s_cselect_b32 s1, -1, 0
	s_and_b32 s0, s1, s0
.LBB168_2:
	s_andn2_b32 vcc_lo, exec_lo, s0
	s_cbranch_vccnz .LBB168_28
; %bb.3:
	s_load_dword s21, s[4:5], 0x0
	v_cmp_lt_i64_e64 s0, s[10:11], 1
	v_cmp_eq_f32_e64 s1, s20, 0
	v_mov_b32_e32 v8, 0
	v_mov_b32_e32 v4, 0
	;; [unrolled: 1-line block ×4, first 2 shown]
	s_or_b32 s0, s1, s0
	s_lshl_b32 s6, s6, 5
	s_and_b32 vcc_lo, exec_lo, s0
	s_lshl_b32 s7, s7, 5
	s_cbranch_vccnz .LBB168_12
; %bb.4:
	s_clause 0x1
	s_load_dwordx4 s[0:3], s[4:5], 0x38
	s_load_dwordx8 s[12:19], s[4:5], 0x18
	v_lshl_add_u32 v4, v1, 4, v0
	v_and_b32_e32 v5, 7, v0
	v_lshl_add_u32 v17, v1, 5, 0x400
	v_lshrrev_b32_e32 v8, 3, v4
	v_and_b32_e32 v10, 31, v4
	v_lshlrev_b32_e32 v16, 2, v5
	v_lshrrev_b32_e32 v9, 5, v4
	v_add_nc_u32_e32 v11, s7, v8
	v_or_b32_e32 v12, s6, v10
	v_lshlrev_b32_e32 v4, 2, v10
	v_lshl_or_b32 v8, v8, 5, v16
	v_lshlrev_b32_e32 v16, 2, v0
	v_ashrrev_i32_e32 v6, 31, v11
	v_lshl_or_b32 v10, v9, 7, v4
	s_waitcnt lgkmcnt(0)
	s_mul_i32 s3, s3, s8
	s_mul_hi_u32 s22, s2, s8
	s_mul_i32 s2, s2, s8
	s_add_i32 s3, s22, s3
	s_mul_i32 s17, s17, s8
	s_lshl_b64 s[2:3], s[2:3], 2
	s_mul_hi_u32 s23, s16, s8
	v_mul_lo_u32 v13, s15, v12
	s_add_u32 s15, s18, s2
	s_mul_i32 s16, s16, s8
	s_addc_u32 s18, s19, s3
	s_add_i32 s17, s23, s17
	v_mad_u64_u32 v[2:3], null, s14, v12, 0
	s_lshl_b64 s[2:3], s[16:17], 2
	v_mul_lo_u32 v14, s0, v6
	v_mul_lo_u32 v15, s1, v11
	v_mad_u64_u32 v[6:7], null, s0, v11, 0
	s_add_u32 s2, s12, s2
	s_addc_u32 s3, s13, s3
	s_ashr_i32 s0, s6, 31
	v_cmp_gt_i32_e64 s1, s21, v11
	s_mul_i32 s0, s14, s0
	v_add_nc_u32_e32 v11, 0x400, v8
	v_add3_u32 v3, v3, s0, v13
	v_add3_u32 v7, v7, v14, v15
	v_cmp_gt_i32_e64 s0, s21, v12
	v_mov_b32_e32 v4, 0
	v_mov_b32_e32 v8, 0
	v_lshlrev_b64 v[2:3], 2, v[2:3]
	v_lshlrev_b64 v[6:7], 2, v[6:7]
	v_add_co_u32 v12, vcc_lo, s2, v2
	v_add_co_ci_u32_e64 v13, null, s3, v3, vcc_lo
	v_add_co_u32 v14, vcc_lo, s15, v6
	v_add_co_ci_u32_e64 v15, null, s18, v7, vcc_lo
	v_mov_b32_e32 v3, 0
	v_mov_b32_e32 v6, 0
	;; [unrolled: 1-line block ×3, first 2 shown]
	s_mov_b64 s[2:3], 0
	s_branch .LBB168_6
.LBB168_5:                              ;   in Loop: Header=BB168_6 Depth=1
	s_or_b32 exec_lo, exec_lo, s12
	s_waitcnt vmcnt(0)
	ds_write_b32 v11, v19
	s_waitcnt lgkmcnt(0)
	s_barrier
	buffer_gl0_inv
	ds_read_b128 v[18:21], v17
	ds_read2_b32 v[34:35], v16 offset1:16
	ds_read_b128 v[22:25], v17 offset:512
	ds_read2_b32 v[36:37], v16 offset0:32 offset1:48
	ds_read2_b32 v[38:39], v16 offset0:64 offset1:80
	;; [unrolled: 1-line block ×3, first 2 shown]
	ds_read_b128 v[26:29], v17 offset:16
	ds_read2_b32 v[42:43], v16 offset0:128 offset1:144
	ds_read_b128 v[30:33], v17 offset:528
	ds_read2_b32 v[44:45], v16 offset0:160 offset1:176
	s_add_u32 s2, s2, 8
	s_addc_u32 s3, s3, 0
	v_cmp_gt_i64_e64 s12, s[10:11], s[2:3]
	s_and_b32 vcc_lo, exec_lo, s12
	s_waitcnt lgkmcnt(8)
	v_fmac_f32_e32 v8, v34, v18
	v_fmac_f32_e32 v4, v35, v18
	s_waitcnt lgkmcnt(7)
	v_fmac_f32_e32 v7, v34, v22
	v_fmac_f32_e32 v6, v35, v22
	ds_read2_b32 v[34:35], v16 offset0:192 offset1:208
	s_waitcnt lgkmcnt(7)
	v_fmac_f32_e32 v8, v36, v19
	v_fmac_f32_e32 v4, v37, v19
	;; [unrolled: 1-line block ×4, first 2 shown]
	ds_read2_b32 v[18:19], v16 offset0:224 offset1:240
	s_waitcnt lgkmcnt(7)
	v_fmac_f32_e32 v8, v38, v20
	v_fmac_f32_e32 v4, v39, v20
	;; [unrolled: 1-line block ×4, first 2 shown]
	s_waitcnt lgkmcnt(0)
	v_fmac_f32_e32 v8, v40, v21
	v_fmac_f32_e32 v4, v41, v21
	;; [unrolled: 1-line block ×4, first 2 shown]
	s_barrier
	v_fmac_f32_e32 v8, v42, v26
	v_fmac_f32_e32 v4, v43, v26
	;; [unrolled: 1-line block ×4, first 2 shown]
	buffer_gl0_inv
	v_fmac_f32_e32 v8, v44, v27
	v_fmac_f32_e32 v4, v45, v27
	;; [unrolled: 1-line block ×12, first 2 shown]
	s_cbranch_vccz .LBB168_12
.LBB168_6:                              ; =>This Inner Loop Header: Depth=1
	v_mov_b32_e32 v18, 0
	s_and_saveexec_b32 s12, s0
	s_cbranch_execz .LBB168_10
; %bb.7:                                ;   in Loop: Header=BB168_6 Depth=1
	v_add_nc_u32_e32 v2, s2, v9
	v_mov_b32_e32 v18, 0
	s_mov_b32 s13, exec_lo
	v_cmpx_gt_u64_e64 s[10:11], v[2:3]
	s_cbranch_execz .LBB168_9
; %bb.8:                                ;   in Loop: Header=BB168_6 Depth=1
	v_lshlrev_b64 v[18:19], 2, v[2:3]
	v_add_co_u32 v18, vcc_lo, v12, v18
	v_add_co_ci_u32_e64 v19, null, v13, v19, vcc_lo
	global_load_dword v18, v[18:19], off
.LBB168_9:                              ;   in Loop: Header=BB168_6 Depth=1
	s_or_b32 exec_lo, exec_lo, s13
.LBB168_10:                             ;   in Loop: Header=BB168_6 Depth=1
	s_or_b32 exec_lo, exec_lo, s12
	v_add_nc_u32_e32 v2, s2, v5
	v_mov_b32_e32 v19, 0
	s_waitcnt vmcnt(0)
	ds_write_b32 v10, v18
	v_cmp_gt_u64_e32 vcc_lo, s[10:11], v[2:3]
	s_and_b32 s13, vcc_lo, s1
	s_and_saveexec_b32 s12, s13
	s_cbranch_execz .LBB168_5
; %bb.11:                               ;   in Loop: Header=BB168_6 Depth=1
	v_lshlrev_b64 v[18:19], 2, v[2:3]
	v_add_co_u32 v18, vcc_lo, v14, v18
	v_add_co_ci_u32_e64 v19, null, v15, v19, vcc_lo
	global_load_dword v19, v[18:19], off
	s_branch .LBB168_5
.LBB168_12:
	s_clause 0x1
	s_load_dwordx4 s[12:15], s[4:5], 0x50
	s_load_dwordx2 s[2:3], s[4:5], 0x60
	v_add_nc_u32_e32 v10, s7, v1
	v_add_nc_u32_e32 v0, s6, v0
	v_cmp_neq_f32_e64 s4, s9, 0
	v_ashrrev_i32_e32 v1, 31, v10
	s_waitcnt lgkmcnt(0)
	v_cmp_gt_i32_e64 s0, s21, v10
	v_cmp_le_i32_e32 vcc_lo, v0, v10
	v_cndmask_b32_e64 v9, 0, 1, s4
	v_mul_lo_u32 v3, s14, v1
	v_mul_lo_u32 v5, s15, v10
	v_mad_u64_u32 v[1:2], null, s14, v10, 0
	s_mul_i32 s1, s3, s8
	s_mul_hi_u32 s3, s2, s8
	s_mul_i32 s2, s2, s8
	s_add_i32 s3, s3, s1
	s_lshl_b64 s[2:3], s[2:3], 2
	v_add3_u32 v2, v2, v3, v5
	s_add_u32 s2, s12, s2
	s_addc_u32 s3, s13, s3
	s_and_b32 s5, s0, vcc_lo
	v_lshlrev_b64 v[2:3], 2, v[1:2]
	v_ashrrev_i32_e32 v1, 31, v0
	v_add_co_u32 v5, s1, s2, v2
	v_add_co_ci_u32_e64 v11, null, s3, v3, s1
	s_and_saveexec_b32 s1, s5
	s_cbranch_execz .LBB168_16
; %bb.13:
	v_lshlrev_b64 v[2:3], 2, v[0:1]
	v_mul_f32_e32 v8, s20, v8
	v_add_co_u32 v2, vcc_lo, v5, v2
	v_add_co_ci_u32_e64 v3, null, v11, v3, vcc_lo
	s_andn2_b32 vcc_lo, exec_lo, s4
	s_cbranch_vccnz .LBB168_15
; %bb.14:
	global_load_dword v12, v[2:3], off
	s_waitcnt vmcnt(0)
	v_fmac_f32_e32 v8, s9, v12
.LBB168_15:
	global_store_dword v[2:3], v8, off
.LBB168_16:
	s_or_b32 exec_lo, exec_lo, s1
	v_add_nc_u32_e32 v2, 16, v0
	v_cmp_le_i32_e32 vcc_lo, v2, v10
	v_ashrrev_i32_e32 v3, 31, v2
	s_and_b32 s0, s0, vcc_lo
	s_and_saveexec_b32 s1, s0
	s_cbranch_execz .LBB168_20
; %bb.17:
	v_lshlrev_b64 v[12:13], 2, v[2:3]
	v_mul_f32_e32 v8, s20, v4
	v_cmp_ne_u32_e32 vcc_lo, 1, v9
	v_add_co_u32 v4, s0, v5, v12
	v_add_co_ci_u32_e64 v5, null, v11, v13, s0
	s_cbranch_vccnz .LBB168_19
; %bb.18:
	global_load_dword v11, v[4:5], off
	s_waitcnt vmcnt(0)
	v_fmac_f32_e32 v8, s9, v11
.LBB168_19:
	global_store_dword v[4:5], v8, off
.LBB168_20:
	s_or_b32 exec_lo, exec_lo, s1
	v_add_nc_u32_e32 v8, 16, v10
	v_ashrrev_i32_e32 v10, 31, v8
	v_mul_lo_u32 v11, s15, v8
	v_mad_u64_u32 v[4:5], null, s14, v8, 0
	v_cmp_gt_i32_e64 s0, s21, v8
	v_mul_lo_u32 v10, s14, v10
	v_cmp_le_i32_e32 vcc_lo, v0, v8
	v_add3_u32 v5, v5, v10, v11
	v_lshlrev_b64 v[4:5], 2, v[4:5]
	v_add_co_u32 v4, s1, s2, v4
	v_add_co_ci_u32_e64 v5, null, s3, v5, s1
	s_and_b32 s1, s0, vcc_lo
	s_and_saveexec_b32 s2, s1
	s_cbranch_execz .LBB168_24
; %bb.21:
	v_lshlrev_b64 v[0:1], 2, v[0:1]
	v_cmp_ne_u32_e32 vcc_lo, 1, v9
	v_mul_f32_e32 v7, s20, v7
	v_add_co_u32 v0, s1, v4, v0
	v_add_co_ci_u32_e64 v1, null, v5, v1, s1
	s_cbranch_vccnz .LBB168_23
; %bb.22:
	global_load_dword v10, v[0:1], off
	s_waitcnt vmcnt(0)
	v_fmac_f32_e32 v7, s9, v10
.LBB168_23:
	global_store_dword v[0:1], v7, off
.LBB168_24:
	s_or_b32 exec_lo, exec_lo, s2
	v_cmp_le_i32_e32 vcc_lo, v2, v8
	s_and_b32 s0, s0, vcc_lo
	s_and_saveexec_b32 s1, s0
	s_cbranch_execz .LBB168_28
; %bb.25:
	v_lshlrev_b64 v[0:1], 2, v[2:3]
	v_cmp_ne_u32_e32 vcc_lo, 1, v9
	v_mul_f32_e32 v2, s20, v6
	v_add_co_u32 v0, s0, v4, v0
	v_add_co_ci_u32_e64 v1, null, v5, v1, s0
	s_cbranch_vccnz .LBB168_27
; %bb.26:
	global_load_dword v3, v[0:1], off
	s_waitcnt vmcnt(0)
	v_fmac_f32_e32 v2, s9, v3
.LBB168_27:
	global_store_dword v[0:1], v2, off
.LBB168_28:
	s_endpgm
	.section	.rodata,"a",@progbits
	.p2align	6, 0x0
	.amdhsa_kernel _ZL29rocblas_internal_gemmt_kernelIlLi16ELi32ELi8ELc67ELc78ELc85ELb0ELb0EffPKfPfEviT_T9_T10_S3_lS5_S3_lS4_T11_S3_li
		.amdhsa_group_segment_fixed_size 2048
		.amdhsa_private_segment_fixed_size 0
		.amdhsa_kernarg_size 108
		.amdhsa_user_sgpr_count 6
		.amdhsa_user_sgpr_private_segment_buffer 1
		.amdhsa_user_sgpr_dispatch_ptr 0
		.amdhsa_user_sgpr_queue_ptr 0
		.amdhsa_user_sgpr_kernarg_segment_ptr 1
		.amdhsa_user_sgpr_dispatch_id 0
		.amdhsa_user_sgpr_flat_scratch_init 0
		.amdhsa_user_sgpr_private_segment_size 0
		.amdhsa_wavefront_size32 1
		.amdhsa_uses_dynamic_stack 0
		.amdhsa_system_sgpr_private_segment_wavefront_offset 0
		.amdhsa_system_sgpr_workgroup_id_x 1
		.amdhsa_system_sgpr_workgroup_id_y 1
		.amdhsa_system_sgpr_workgroup_id_z 1
		.amdhsa_system_sgpr_workgroup_info 0
		.amdhsa_system_vgpr_workitem_id 1
		.amdhsa_next_free_vgpr 46
		.amdhsa_next_free_sgpr 24
		.amdhsa_reserve_vcc 1
		.amdhsa_reserve_flat_scratch 0
		.amdhsa_float_round_mode_32 0
		.amdhsa_float_round_mode_16_64 0
		.amdhsa_float_denorm_mode_32 3
		.amdhsa_float_denorm_mode_16_64 3
		.amdhsa_dx10_clamp 1
		.amdhsa_ieee_mode 1
		.amdhsa_fp16_overflow 0
		.amdhsa_workgroup_processor_mode 1
		.amdhsa_memory_ordered 1
		.amdhsa_forward_progress 1
		.amdhsa_shared_vgpr_count 0
		.amdhsa_exception_fp_ieee_invalid_op 0
		.amdhsa_exception_fp_denorm_src 0
		.amdhsa_exception_fp_ieee_div_zero 0
		.amdhsa_exception_fp_ieee_overflow 0
		.amdhsa_exception_fp_ieee_underflow 0
		.amdhsa_exception_fp_ieee_inexact 0
		.amdhsa_exception_int_div_zero 0
	.end_amdhsa_kernel
	.section	.text._ZL29rocblas_internal_gemmt_kernelIlLi16ELi32ELi8ELc67ELc78ELc85ELb0ELb0EffPKfPfEviT_T9_T10_S3_lS5_S3_lS4_T11_S3_li,"axG",@progbits,_ZL29rocblas_internal_gemmt_kernelIlLi16ELi32ELi8ELc67ELc78ELc85ELb0ELb0EffPKfPfEviT_T9_T10_S3_lS5_S3_lS4_T11_S3_li,comdat
.Lfunc_end168:
	.size	_ZL29rocblas_internal_gemmt_kernelIlLi16ELi32ELi8ELc67ELc78ELc85ELb0ELb0EffPKfPfEviT_T9_T10_S3_lS5_S3_lS4_T11_S3_li, .Lfunc_end168-_ZL29rocblas_internal_gemmt_kernelIlLi16ELi32ELi8ELc67ELc78ELc85ELb0ELb0EffPKfPfEviT_T9_T10_S3_lS5_S3_lS4_T11_S3_li
                                        ; -- End function
	.set _ZL29rocblas_internal_gemmt_kernelIlLi16ELi32ELi8ELc67ELc78ELc85ELb0ELb0EffPKfPfEviT_T9_T10_S3_lS5_S3_lS4_T11_S3_li.num_vgpr, 46
	.set _ZL29rocblas_internal_gemmt_kernelIlLi16ELi32ELi8ELc67ELc78ELc85ELb0ELb0EffPKfPfEviT_T9_T10_S3_lS5_S3_lS4_T11_S3_li.num_agpr, 0
	.set _ZL29rocblas_internal_gemmt_kernelIlLi16ELi32ELi8ELc67ELc78ELc85ELb0ELb0EffPKfPfEviT_T9_T10_S3_lS5_S3_lS4_T11_S3_li.numbered_sgpr, 24
	.set _ZL29rocblas_internal_gemmt_kernelIlLi16ELi32ELi8ELc67ELc78ELc85ELb0ELb0EffPKfPfEviT_T9_T10_S3_lS5_S3_lS4_T11_S3_li.num_named_barrier, 0
	.set _ZL29rocblas_internal_gemmt_kernelIlLi16ELi32ELi8ELc67ELc78ELc85ELb0ELb0EffPKfPfEviT_T9_T10_S3_lS5_S3_lS4_T11_S3_li.private_seg_size, 0
	.set _ZL29rocblas_internal_gemmt_kernelIlLi16ELi32ELi8ELc67ELc78ELc85ELb0ELb0EffPKfPfEviT_T9_T10_S3_lS5_S3_lS4_T11_S3_li.uses_vcc, 1
	.set _ZL29rocblas_internal_gemmt_kernelIlLi16ELi32ELi8ELc67ELc78ELc85ELb0ELb0EffPKfPfEviT_T9_T10_S3_lS5_S3_lS4_T11_S3_li.uses_flat_scratch, 0
	.set _ZL29rocblas_internal_gemmt_kernelIlLi16ELi32ELi8ELc67ELc78ELc85ELb0ELb0EffPKfPfEviT_T9_T10_S3_lS5_S3_lS4_T11_S3_li.has_dyn_sized_stack, 0
	.set _ZL29rocblas_internal_gemmt_kernelIlLi16ELi32ELi8ELc67ELc78ELc85ELb0ELb0EffPKfPfEviT_T9_T10_S3_lS5_S3_lS4_T11_S3_li.has_recursion, 0
	.set _ZL29rocblas_internal_gemmt_kernelIlLi16ELi32ELi8ELc67ELc78ELc85ELb0ELb0EffPKfPfEviT_T9_T10_S3_lS5_S3_lS4_T11_S3_li.has_indirect_call, 0
	.section	.AMDGPU.csdata,"",@progbits
; Kernel info:
; codeLenInByte = 1464
; TotalNumSgprs: 26
; NumVgprs: 46
; ScratchSize: 0
; MemoryBound: 0
; FloatMode: 240
; IeeeMode: 1
; LDSByteSize: 2048 bytes/workgroup (compile time only)
; SGPRBlocks: 0
; VGPRBlocks: 5
; NumSGPRsForWavesPerEU: 26
; NumVGPRsForWavesPerEU: 46
; Occupancy: 16
; WaveLimiterHint : 0
; COMPUTE_PGM_RSRC2:SCRATCH_EN: 0
; COMPUTE_PGM_RSRC2:USER_SGPR: 6
; COMPUTE_PGM_RSRC2:TRAP_HANDLER: 0
; COMPUTE_PGM_RSRC2:TGID_X_EN: 1
; COMPUTE_PGM_RSRC2:TGID_Y_EN: 1
; COMPUTE_PGM_RSRC2:TGID_Z_EN: 1
; COMPUTE_PGM_RSRC2:TIDIG_COMP_CNT: 1
	.section	.text._ZL29rocblas_internal_gemmt_kernelIlLi16ELi32ELi8ELc67ELc84ELc85ELb0ELb0EffPKfPfEviT_T9_T10_S3_lS5_S3_lS4_T11_S3_li,"axG",@progbits,_ZL29rocblas_internal_gemmt_kernelIlLi16ELi32ELi8ELc67ELc84ELc85ELb0ELb0EffPKfPfEviT_T9_T10_S3_lS5_S3_lS4_T11_S3_li,comdat
	.globl	_ZL29rocblas_internal_gemmt_kernelIlLi16ELi32ELi8ELc67ELc84ELc85ELb0ELb0EffPKfPfEviT_T9_T10_S3_lS5_S3_lS4_T11_S3_li ; -- Begin function _ZL29rocblas_internal_gemmt_kernelIlLi16ELi32ELi8ELc67ELc84ELc85ELb0ELb0EffPKfPfEviT_T9_T10_S3_lS5_S3_lS4_T11_S3_li
	.p2align	8
	.type	_ZL29rocblas_internal_gemmt_kernelIlLi16ELi32ELi8ELc67ELc84ELc85ELb0ELb0EffPKfPfEviT_T9_T10_S3_lS5_S3_lS4_T11_S3_li,@function
_ZL29rocblas_internal_gemmt_kernelIlLi16ELi32ELi8ELc67ELc84ELc85ELb0ELb0EffPKfPfEviT_T9_T10_S3_lS5_S3_lS4_T11_S3_li: ; @_ZL29rocblas_internal_gemmt_kernelIlLi16ELi32ELi8ELc67ELc84ELc85ELb0ELb0EffPKfPfEviT_T9_T10_S3_lS5_S3_lS4_T11_S3_li
; %bb.0:
	s_clause 0x2
	s_load_dword s9, s[4:5], 0x48
	s_load_dwordx2 s[2:3], s[4:5], 0x8
	s_load_dword s10, s[4:5], 0x10
	s_waitcnt lgkmcnt(0)
	v_cmp_neq_f32_e64 s0, s9, 1.0
	s_and_b32 vcc_lo, exec_lo, s0
	s_cbranch_vccnz .LBB169_2
; %bb.1:
	v_cmp_neq_f32_e64 s0, s10, 0
	s_cmp_lg_u64 s[2:3], 0
	s_cselect_b32 s1, -1, 0
	s_and_b32 s0, s1, s0
.LBB169_2:
	s_andn2_b32 vcc_lo, exec_lo, s0
	s_cbranch_vccnz .LBB169_28
; %bb.3:
	s_load_dword s11, s[4:5], 0x0
	v_cmp_lt_i64_e64 s0, s[2:3], 1
	v_cmp_eq_f32_e64 s1, s10, 0
	v_mov_b32_e32 v8, 0
	v_mov_b32_e32 v4, 0
	v_mov_b32_e32 v7, 0
	v_mov_b32_e32 v6, 0
	s_or_b32 s0, s1, s0
	s_lshl_b32 s24, s6, 5
	s_and_b32 vcc_lo, exec_lo, s0
	s_lshl_b32 s25, s7, 5
	s_cbranch_vccnz .LBB169_12
; %bb.4:
	s_clause 0x1
	s_load_dwordx4 s[20:23], s[4:5], 0x38
	s_load_dwordx8 s[12:19], s[4:5], 0x18
	v_lshl_add_u32 v2, v1, 4, v0
	v_and_b32_e32 v5, 7, v0
	v_lshlrev_b32_e32 v9, 2, v0
	v_lshl_add_u32 v17, v1, 5, 0x400
	v_and_b32_e32 v3, 31, v2
	v_lshrrev_b32_e32 v4, 3, v2
	v_lshrrev_b32_e32 v10, 5, v2
	v_lshlrev_b32_e32 v8, 2, v5
	v_or_b32_e32 v11, s24, v3
	v_add_nc_u32_e32 v2, s25, v4
	v_lshlrev_b32_e32 v12, 2, v3
	v_lshl_or_b32 v8, v4, 5, v8
	v_ashrrev_i32_e32 v3, 31, v2
	s_waitcnt lgkmcnt(0)
	s_mul_i32 s1, s23, s8
	s_mul_hi_u32 s6, s22, s8
	s_mul_i32 s0, s22, s8
	s_add_i32 s1, s6, s1
	s_mul_i32 s7, s17, s8
	s_lshl_b64 s[0:1], s[0:1], 2
	s_mul_hi_u32 s17, s16, s8
	v_mul_lo_u32 v13, s15, v11
	s_add_u32 s15, s18, s0
	s_mul_i32 s6, s16, s8
	s_addc_u32 s16, s19, s1
	s_add_i32 s7, s17, s7
	v_mad_u64_u32 v[6:7], null, s14, v11, 0
	s_lshl_b64 s[0:1], s[6:7], 2
	v_lshlrev_b64 v[3:4], 2, v[2:3]
	s_add_u32 s6, s12, s0
	s_addc_u32 s7, s13, s1
	s_ashr_i32 s0, s24, 31
	s_mul_i32 s1, s14, s0
	v_cmp_gt_i32_e64 s0, s11, v11
	v_add3_u32 v7, v7, s1, v13
	v_add_co_u32 v13, vcc_lo, s15, v3
	v_add_co_ci_u32_e64 v14, null, s16, v4, vcc_lo
	v_lshlrev_b64 v[6:7], 2, v[6:7]
	v_lshl_or_b32 v11, v10, 7, v12
	v_cmp_gt_i32_e64 s1, s11, v2
	v_add_nc_u32_e32 v12, 0x400, v8
	v_mov_b32_e32 v3, 0
	v_mov_b32_e32 v4, 0
	v_add_co_u32 v15, vcc_lo, s6, v6
	v_add_co_ci_u32_e64 v16, null, s7, v7, vcc_lo
	v_mov_b32_e32 v6, 0
	v_mov_b32_e32 v7, 0
	;; [unrolled: 1-line block ×3, first 2 shown]
	s_mov_b64 s[6:7], 0
	s_branch .LBB169_6
.LBB169_5:                              ;   in Loop: Header=BB169_6 Depth=1
	s_or_b32 exec_lo, exec_lo, s12
	s_waitcnt vmcnt(0)
	ds_write_b32 v12, v19
	s_waitcnt lgkmcnt(0)
	s_barrier
	buffer_gl0_inv
	ds_read_b128 v[18:21], v17
	ds_read2_b32 v[34:35], v9 offset1:16
	ds_read_b128 v[22:25], v17 offset:512
	ds_read2_b32 v[36:37], v9 offset0:32 offset1:48
	ds_read2_b32 v[38:39], v9 offset0:64 offset1:80
	;; [unrolled: 1-line block ×3, first 2 shown]
	ds_read_b128 v[26:29], v17 offset:16
	ds_read2_b32 v[42:43], v9 offset0:128 offset1:144
	ds_read_b128 v[30:33], v17 offset:528
	ds_read2_b32 v[44:45], v9 offset0:160 offset1:176
	s_add_u32 s6, s6, 8
	s_addc_u32 s7, s7, 0
	v_cmp_gt_i64_e64 s12, s[2:3], s[6:7]
	s_and_b32 vcc_lo, exec_lo, s12
	s_waitcnt lgkmcnt(8)
	v_fmac_f32_e32 v8, v34, v18
	v_fmac_f32_e32 v4, v35, v18
	s_waitcnt lgkmcnt(7)
	v_fmac_f32_e32 v7, v34, v22
	v_fmac_f32_e32 v6, v35, v22
	ds_read2_b32 v[34:35], v9 offset0:192 offset1:208
	s_waitcnt lgkmcnt(7)
	v_fmac_f32_e32 v8, v36, v19
	v_fmac_f32_e32 v4, v37, v19
	;; [unrolled: 1-line block ×4, first 2 shown]
	ds_read2_b32 v[18:19], v9 offset0:224 offset1:240
	s_waitcnt lgkmcnt(7)
	v_fmac_f32_e32 v8, v38, v20
	v_fmac_f32_e32 v4, v39, v20
	;; [unrolled: 1-line block ×4, first 2 shown]
	s_waitcnt lgkmcnt(0)
	v_fmac_f32_e32 v8, v40, v21
	v_fmac_f32_e32 v4, v41, v21
	;; [unrolled: 1-line block ×4, first 2 shown]
	s_barrier
	v_fmac_f32_e32 v8, v42, v26
	v_fmac_f32_e32 v4, v43, v26
	;; [unrolled: 1-line block ×4, first 2 shown]
	buffer_gl0_inv
	v_fmac_f32_e32 v8, v44, v27
	v_fmac_f32_e32 v4, v45, v27
	;; [unrolled: 1-line block ×12, first 2 shown]
	s_cbranch_vccz .LBB169_12
.LBB169_6:                              ; =>This Inner Loop Header: Depth=1
	v_mov_b32_e32 v18, 0
	s_and_saveexec_b32 s12, s0
	s_cbranch_execz .LBB169_10
; %bb.7:                                ;   in Loop: Header=BB169_6 Depth=1
	v_add_nc_u32_e32 v2, s6, v10
	v_mov_b32_e32 v18, 0
	s_mov_b32 s13, exec_lo
	v_cmpx_gt_u64_e64 s[2:3], v[2:3]
	s_cbranch_execz .LBB169_9
; %bb.8:                                ;   in Loop: Header=BB169_6 Depth=1
	v_lshlrev_b64 v[18:19], 2, v[2:3]
	v_add_co_u32 v18, vcc_lo, v15, v18
	v_add_co_ci_u32_e64 v19, null, v16, v19, vcc_lo
	global_load_dword v18, v[18:19], off
.LBB169_9:                              ;   in Loop: Header=BB169_6 Depth=1
	s_or_b32 exec_lo, exec_lo, s13
.LBB169_10:                             ;   in Loop: Header=BB169_6 Depth=1
	s_or_b32 exec_lo, exec_lo, s12
	v_add_nc_u32_e32 v2, s6, v5
	v_mov_b32_e32 v19, 0
	s_waitcnt vmcnt(0)
	ds_write_b32 v11, v18
	v_cmp_gt_u64_e32 vcc_lo, s[2:3], v[2:3]
	s_and_b32 s13, vcc_lo, s1
	s_and_saveexec_b32 s12, s13
	s_cbranch_execz .LBB169_5
; %bb.11:                               ;   in Loop: Header=BB169_6 Depth=1
	v_mad_u64_u32 v[18:19], null, s20, v2, 0
	v_mad_u64_u32 v[19:20], null, s21, v2, v[19:20]
	v_lshlrev_b64 v[18:19], 2, v[18:19]
	v_add_co_u32 v18, vcc_lo, v13, v18
	v_add_co_ci_u32_e64 v19, null, v14, v19, vcc_lo
	global_load_dword v19, v[18:19], off
	s_branch .LBB169_5
.LBB169_12:
	s_clause 0x1
	s_load_dwordx4 s[12:15], s[4:5], 0x50
	s_load_dwordx2 s[2:3], s[4:5], 0x60
	v_add_nc_u32_e32 v10, s25, v1
	v_add_nc_u32_e32 v0, s24, v0
	v_cmp_neq_f32_e64 s4, s9, 0
	v_ashrrev_i32_e32 v1, 31, v10
	s_waitcnt lgkmcnt(0)
	v_cmp_gt_i32_e64 s0, s11, v10
	v_cmp_le_i32_e32 vcc_lo, v0, v10
	v_cndmask_b32_e64 v9, 0, 1, s4
	v_mul_lo_u32 v3, s14, v1
	v_mul_lo_u32 v5, s15, v10
	v_mad_u64_u32 v[1:2], null, s14, v10, 0
	s_mul_i32 s1, s3, s8
	s_mul_hi_u32 s3, s2, s8
	s_mul_i32 s2, s2, s8
	s_add_i32 s3, s3, s1
	s_lshl_b64 s[2:3], s[2:3], 2
	v_add3_u32 v2, v2, v3, v5
	s_add_u32 s2, s12, s2
	s_addc_u32 s3, s13, s3
	s_and_b32 s5, s0, vcc_lo
	v_lshlrev_b64 v[2:3], 2, v[1:2]
	v_ashrrev_i32_e32 v1, 31, v0
	v_add_co_u32 v5, s1, s2, v2
	v_add_co_ci_u32_e64 v11, null, s3, v3, s1
	s_and_saveexec_b32 s1, s5
	s_cbranch_execz .LBB169_16
; %bb.13:
	v_lshlrev_b64 v[2:3], 2, v[0:1]
	v_mul_f32_e32 v8, s10, v8
	v_add_co_u32 v2, vcc_lo, v5, v2
	v_add_co_ci_u32_e64 v3, null, v11, v3, vcc_lo
	s_andn2_b32 vcc_lo, exec_lo, s4
	s_cbranch_vccnz .LBB169_15
; %bb.14:
	global_load_dword v12, v[2:3], off
	s_waitcnt vmcnt(0)
	v_fmac_f32_e32 v8, s9, v12
.LBB169_15:
	global_store_dword v[2:3], v8, off
.LBB169_16:
	s_or_b32 exec_lo, exec_lo, s1
	v_add_nc_u32_e32 v2, 16, v0
	v_cmp_le_i32_e32 vcc_lo, v2, v10
	v_ashrrev_i32_e32 v3, 31, v2
	s_and_b32 s0, s0, vcc_lo
	s_and_saveexec_b32 s1, s0
	s_cbranch_execz .LBB169_20
; %bb.17:
	v_lshlrev_b64 v[12:13], 2, v[2:3]
	v_mul_f32_e32 v8, s10, v4
	v_cmp_ne_u32_e32 vcc_lo, 1, v9
	v_add_co_u32 v4, s0, v5, v12
	v_add_co_ci_u32_e64 v5, null, v11, v13, s0
	s_cbranch_vccnz .LBB169_19
; %bb.18:
	global_load_dword v11, v[4:5], off
	s_waitcnt vmcnt(0)
	v_fmac_f32_e32 v8, s9, v11
.LBB169_19:
	global_store_dword v[4:5], v8, off
.LBB169_20:
	s_or_b32 exec_lo, exec_lo, s1
	v_add_nc_u32_e32 v8, 16, v10
	v_ashrrev_i32_e32 v10, 31, v8
	v_mul_lo_u32 v11, s15, v8
	v_mad_u64_u32 v[4:5], null, s14, v8, 0
	v_cmp_gt_i32_e64 s0, s11, v8
	v_mul_lo_u32 v10, s14, v10
	v_cmp_le_i32_e32 vcc_lo, v0, v8
	v_add3_u32 v5, v5, v10, v11
	v_lshlrev_b64 v[4:5], 2, v[4:5]
	v_add_co_u32 v4, s1, s2, v4
	v_add_co_ci_u32_e64 v5, null, s3, v5, s1
	s_and_b32 s1, s0, vcc_lo
	s_and_saveexec_b32 s2, s1
	s_cbranch_execz .LBB169_24
; %bb.21:
	v_lshlrev_b64 v[0:1], 2, v[0:1]
	v_cmp_ne_u32_e32 vcc_lo, 1, v9
	v_mul_f32_e32 v7, s10, v7
	v_add_co_u32 v0, s1, v4, v0
	v_add_co_ci_u32_e64 v1, null, v5, v1, s1
	s_cbranch_vccnz .LBB169_23
; %bb.22:
	global_load_dword v10, v[0:1], off
	s_waitcnt vmcnt(0)
	v_fmac_f32_e32 v7, s9, v10
.LBB169_23:
	global_store_dword v[0:1], v7, off
.LBB169_24:
	s_or_b32 exec_lo, exec_lo, s2
	v_cmp_le_i32_e32 vcc_lo, v2, v8
	s_and_b32 s0, s0, vcc_lo
	s_and_saveexec_b32 s1, s0
	s_cbranch_execz .LBB169_28
; %bb.25:
	v_lshlrev_b64 v[0:1], 2, v[2:3]
	v_cmp_ne_u32_e32 vcc_lo, 1, v9
	v_mul_f32_e32 v2, s10, v6
	v_add_co_u32 v0, s0, v4, v0
	v_add_co_ci_u32_e64 v1, null, v5, v1, s0
	s_cbranch_vccnz .LBB169_27
; %bb.26:
	global_load_dword v3, v[0:1], off
	s_waitcnt vmcnt(0)
	v_fmac_f32_e32 v2, s9, v3
.LBB169_27:
	global_store_dword v[0:1], v2, off
.LBB169_28:
	s_endpgm
	.section	.rodata,"a",@progbits
	.p2align	6, 0x0
	.amdhsa_kernel _ZL29rocblas_internal_gemmt_kernelIlLi16ELi32ELi8ELc67ELc84ELc85ELb0ELb0EffPKfPfEviT_T9_T10_S3_lS5_S3_lS4_T11_S3_li
		.amdhsa_group_segment_fixed_size 2048
		.amdhsa_private_segment_fixed_size 0
		.amdhsa_kernarg_size 108
		.amdhsa_user_sgpr_count 6
		.amdhsa_user_sgpr_private_segment_buffer 1
		.amdhsa_user_sgpr_dispatch_ptr 0
		.amdhsa_user_sgpr_queue_ptr 0
		.amdhsa_user_sgpr_kernarg_segment_ptr 1
		.amdhsa_user_sgpr_dispatch_id 0
		.amdhsa_user_sgpr_flat_scratch_init 0
		.amdhsa_user_sgpr_private_segment_size 0
		.amdhsa_wavefront_size32 1
		.amdhsa_uses_dynamic_stack 0
		.amdhsa_system_sgpr_private_segment_wavefront_offset 0
		.amdhsa_system_sgpr_workgroup_id_x 1
		.amdhsa_system_sgpr_workgroup_id_y 1
		.amdhsa_system_sgpr_workgroup_id_z 1
		.amdhsa_system_sgpr_workgroup_info 0
		.amdhsa_system_vgpr_workitem_id 1
		.amdhsa_next_free_vgpr 46
		.amdhsa_next_free_sgpr 26
		.amdhsa_reserve_vcc 1
		.amdhsa_reserve_flat_scratch 0
		.amdhsa_float_round_mode_32 0
		.amdhsa_float_round_mode_16_64 0
		.amdhsa_float_denorm_mode_32 3
		.amdhsa_float_denorm_mode_16_64 3
		.amdhsa_dx10_clamp 1
		.amdhsa_ieee_mode 1
		.amdhsa_fp16_overflow 0
		.amdhsa_workgroup_processor_mode 1
		.amdhsa_memory_ordered 1
		.amdhsa_forward_progress 1
		.amdhsa_shared_vgpr_count 0
		.amdhsa_exception_fp_ieee_invalid_op 0
		.amdhsa_exception_fp_denorm_src 0
		.amdhsa_exception_fp_ieee_div_zero 0
		.amdhsa_exception_fp_ieee_overflow 0
		.amdhsa_exception_fp_ieee_underflow 0
		.amdhsa_exception_fp_ieee_inexact 0
		.amdhsa_exception_int_div_zero 0
	.end_amdhsa_kernel
	.section	.text._ZL29rocblas_internal_gemmt_kernelIlLi16ELi32ELi8ELc67ELc84ELc85ELb0ELb0EffPKfPfEviT_T9_T10_S3_lS5_S3_lS4_T11_S3_li,"axG",@progbits,_ZL29rocblas_internal_gemmt_kernelIlLi16ELi32ELi8ELc67ELc84ELc85ELb0ELb0EffPKfPfEviT_T9_T10_S3_lS5_S3_lS4_T11_S3_li,comdat
.Lfunc_end169:
	.size	_ZL29rocblas_internal_gemmt_kernelIlLi16ELi32ELi8ELc67ELc84ELc85ELb0ELb0EffPKfPfEviT_T9_T10_S3_lS5_S3_lS4_T11_S3_li, .Lfunc_end169-_ZL29rocblas_internal_gemmt_kernelIlLi16ELi32ELi8ELc67ELc84ELc85ELb0ELb0EffPKfPfEviT_T9_T10_S3_lS5_S3_lS4_T11_S3_li
                                        ; -- End function
	.set _ZL29rocblas_internal_gemmt_kernelIlLi16ELi32ELi8ELc67ELc84ELc85ELb0ELb0EffPKfPfEviT_T9_T10_S3_lS5_S3_lS4_T11_S3_li.num_vgpr, 46
	.set _ZL29rocblas_internal_gemmt_kernelIlLi16ELi32ELi8ELc67ELc84ELc85ELb0ELb0EffPKfPfEviT_T9_T10_S3_lS5_S3_lS4_T11_S3_li.num_agpr, 0
	.set _ZL29rocblas_internal_gemmt_kernelIlLi16ELi32ELi8ELc67ELc84ELc85ELb0ELb0EffPKfPfEviT_T9_T10_S3_lS5_S3_lS4_T11_S3_li.numbered_sgpr, 26
	.set _ZL29rocblas_internal_gemmt_kernelIlLi16ELi32ELi8ELc67ELc84ELc85ELb0ELb0EffPKfPfEviT_T9_T10_S3_lS5_S3_lS4_T11_S3_li.num_named_barrier, 0
	.set _ZL29rocblas_internal_gemmt_kernelIlLi16ELi32ELi8ELc67ELc84ELc85ELb0ELb0EffPKfPfEviT_T9_T10_S3_lS5_S3_lS4_T11_S3_li.private_seg_size, 0
	.set _ZL29rocblas_internal_gemmt_kernelIlLi16ELi32ELi8ELc67ELc84ELc85ELb0ELb0EffPKfPfEviT_T9_T10_S3_lS5_S3_lS4_T11_S3_li.uses_vcc, 1
	.set _ZL29rocblas_internal_gemmt_kernelIlLi16ELi32ELi8ELc67ELc84ELc85ELb0ELb0EffPKfPfEviT_T9_T10_S3_lS5_S3_lS4_T11_S3_li.uses_flat_scratch, 0
	.set _ZL29rocblas_internal_gemmt_kernelIlLi16ELi32ELi8ELc67ELc84ELc85ELb0ELb0EffPKfPfEviT_T9_T10_S3_lS5_S3_lS4_T11_S3_li.has_dyn_sized_stack, 0
	.set _ZL29rocblas_internal_gemmt_kernelIlLi16ELi32ELi8ELc67ELc84ELc85ELb0ELb0EffPKfPfEviT_T9_T10_S3_lS5_S3_lS4_T11_S3_li.has_recursion, 0
	.set _ZL29rocblas_internal_gemmt_kernelIlLi16ELi32ELi8ELc67ELc84ELc85ELb0ELb0EffPKfPfEviT_T9_T10_S3_lS5_S3_lS4_T11_S3_li.has_indirect_call, 0
	.section	.AMDGPU.csdata,"",@progbits
; Kernel info:
; codeLenInByte = 1448
; TotalNumSgprs: 28
; NumVgprs: 46
; ScratchSize: 0
; MemoryBound: 0
; FloatMode: 240
; IeeeMode: 1
; LDSByteSize: 2048 bytes/workgroup (compile time only)
; SGPRBlocks: 0
; VGPRBlocks: 5
; NumSGPRsForWavesPerEU: 28
; NumVGPRsForWavesPerEU: 46
; Occupancy: 16
; WaveLimiterHint : 0
; COMPUTE_PGM_RSRC2:SCRATCH_EN: 0
; COMPUTE_PGM_RSRC2:USER_SGPR: 6
; COMPUTE_PGM_RSRC2:TRAP_HANDLER: 0
; COMPUTE_PGM_RSRC2:TGID_X_EN: 1
; COMPUTE_PGM_RSRC2:TGID_Y_EN: 1
; COMPUTE_PGM_RSRC2:TGID_Z_EN: 1
; COMPUTE_PGM_RSRC2:TIDIG_COMP_CNT: 1
	.section	.text._ZL29rocblas_internal_gemmt_kernelIlLi16ELi32ELi8ELc67ELc67ELc85ELb0ELb0EffPKfPfEviT_T9_T10_S3_lS5_S3_lS4_T11_S3_li,"axG",@progbits,_ZL29rocblas_internal_gemmt_kernelIlLi16ELi32ELi8ELc67ELc67ELc85ELb0ELb0EffPKfPfEviT_T9_T10_S3_lS5_S3_lS4_T11_S3_li,comdat
	.globl	_ZL29rocblas_internal_gemmt_kernelIlLi16ELi32ELi8ELc67ELc67ELc85ELb0ELb0EffPKfPfEviT_T9_T10_S3_lS5_S3_lS4_T11_S3_li ; -- Begin function _ZL29rocblas_internal_gemmt_kernelIlLi16ELi32ELi8ELc67ELc67ELc85ELb0ELb0EffPKfPfEviT_T9_T10_S3_lS5_S3_lS4_T11_S3_li
	.p2align	8
	.type	_ZL29rocblas_internal_gemmt_kernelIlLi16ELi32ELi8ELc67ELc67ELc85ELb0ELb0EffPKfPfEviT_T9_T10_S3_lS5_S3_lS4_T11_S3_li,@function
_ZL29rocblas_internal_gemmt_kernelIlLi16ELi32ELi8ELc67ELc67ELc85ELb0ELb0EffPKfPfEviT_T9_T10_S3_lS5_S3_lS4_T11_S3_li: ; @_ZL29rocblas_internal_gemmt_kernelIlLi16ELi32ELi8ELc67ELc67ELc85ELb0ELb0EffPKfPfEviT_T9_T10_S3_lS5_S3_lS4_T11_S3_li
; %bb.0:
	s_clause 0x2
	s_load_dword s9, s[4:5], 0x48
	s_load_dwordx2 s[2:3], s[4:5], 0x8
	s_load_dword s10, s[4:5], 0x10
	s_waitcnt lgkmcnt(0)
	v_cmp_neq_f32_e64 s0, s9, 1.0
	s_and_b32 vcc_lo, exec_lo, s0
	s_cbranch_vccnz .LBB170_2
; %bb.1:
	v_cmp_neq_f32_e64 s0, s10, 0
	s_cmp_lg_u64 s[2:3], 0
	s_cselect_b32 s1, -1, 0
	s_and_b32 s0, s1, s0
.LBB170_2:
	s_andn2_b32 vcc_lo, exec_lo, s0
	s_cbranch_vccnz .LBB170_28
; %bb.3:
	s_load_dword s11, s[4:5], 0x0
	v_cmp_lt_i64_e64 s0, s[2:3], 1
	v_cmp_eq_f32_e64 s1, s10, 0
	v_mov_b32_e32 v8, 0
	v_mov_b32_e32 v4, 0
	;; [unrolled: 1-line block ×4, first 2 shown]
	s_or_b32 s0, s1, s0
	s_lshl_b32 s24, s6, 5
	s_and_b32 vcc_lo, exec_lo, s0
	s_lshl_b32 s25, s7, 5
	s_cbranch_vccnz .LBB170_12
; %bb.4:
	s_clause 0x1
	s_load_dwordx4 s[20:23], s[4:5], 0x38
	s_load_dwordx8 s[12:19], s[4:5], 0x18
	v_lshl_add_u32 v2, v1, 4, v0
	v_and_b32_e32 v5, 7, v0
	v_lshlrev_b32_e32 v9, 2, v0
	v_lshl_add_u32 v17, v1, 5, 0x400
	v_and_b32_e32 v3, 31, v2
	v_lshrrev_b32_e32 v4, 3, v2
	v_lshrrev_b32_e32 v10, 5, v2
	v_lshlrev_b32_e32 v8, 2, v5
	v_or_b32_e32 v11, s24, v3
	v_add_nc_u32_e32 v2, s25, v4
	v_lshlrev_b32_e32 v12, 2, v3
	v_lshl_or_b32 v8, v4, 5, v8
	v_ashrrev_i32_e32 v3, 31, v2
	s_waitcnt lgkmcnt(0)
	s_mul_i32 s1, s23, s8
	s_mul_hi_u32 s6, s22, s8
	s_mul_i32 s0, s22, s8
	s_add_i32 s1, s6, s1
	s_mul_i32 s7, s17, s8
	s_lshl_b64 s[0:1], s[0:1], 2
	s_mul_hi_u32 s17, s16, s8
	v_mul_lo_u32 v13, s15, v11
	s_add_u32 s15, s18, s0
	s_mul_i32 s6, s16, s8
	s_addc_u32 s16, s19, s1
	s_add_i32 s7, s17, s7
	v_mad_u64_u32 v[6:7], null, s14, v11, 0
	s_lshl_b64 s[0:1], s[6:7], 2
	v_lshlrev_b64 v[3:4], 2, v[2:3]
	s_add_u32 s6, s12, s0
	s_addc_u32 s7, s13, s1
	s_ashr_i32 s0, s24, 31
	s_mul_i32 s1, s14, s0
	v_cmp_gt_i32_e64 s0, s11, v11
	v_add3_u32 v7, v7, s1, v13
	v_add_co_u32 v13, vcc_lo, s15, v3
	v_add_co_ci_u32_e64 v14, null, s16, v4, vcc_lo
	v_lshlrev_b64 v[6:7], 2, v[6:7]
	v_lshl_or_b32 v11, v10, 7, v12
	v_cmp_gt_i32_e64 s1, s11, v2
	v_add_nc_u32_e32 v12, 0x400, v8
	v_mov_b32_e32 v3, 0
	v_mov_b32_e32 v4, 0
	v_add_co_u32 v15, vcc_lo, s6, v6
	v_add_co_ci_u32_e64 v16, null, s7, v7, vcc_lo
	v_mov_b32_e32 v6, 0
	v_mov_b32_e32 v7, 0
	;; [unrolled: 1-line block ×3, first 2 shown]
	s_mov_b64 s[6:7], 0
	s_branch .LBB170_6
.LBB170_5:                              ;   in Loop: Header=BB170_6 Depth=1
	s_or_b32 exec_lo, exec_lo, s12
	s_waitcnt vmcnt(0)
	ds_write_b32 v12, v19
	s_waitcnt lgkmcnt(0)
	s_barrier
	buffer_gl0_inv
	ds_read_b128 v[18:21], v17
	ds_read2_b32 v[34:35], v9 offset1:16
	ds_read_b128 v[22:25], v17 offset:512
	ds_read2_b32 v[36:37], v9 offset0:32 offset1:48
	ds_read2_b32 v[38:39], v9 offset0:64 offset1:80
	;; [unrolled: 1-line block ×3, first 2 shown]
	ds_read_b128 v[26:29], v17 offset:16
	ds_read2_b32 v[42:43], v9 offset0:128 offset1:144
	ds_read_b128 v[30:33], v17 offset:528
	ds_read2_b32 v[44:45], v9 offset0:160 offset1:176
	s_add_u32 s6, s6, 8
	s_addc_u32 s7, s7, 0
	v_cmp_gt_i64_e64 s12, s[2:3], s[6:7]
	s_and_b32 vcc_lo, exec_lo, s12
	s_waitcnt lgkmcnt(8)
	v_fmac_f32_e32 v8, v34, v18
	v_fmac_f32_e32 v4, v35, v18
	s_waitcnt lgkmcnt(7)
	v_fmac_f32_e32 v7, v34, v22
	v_fmac_f32_e32 v6, v35, v22
	ds_read2_b32 v[34:35], v9 offset0:192 offset1:208
	s_waitcnt lgkmcnt(7)
	v_fmac_f32_e32 v8, v36, v19
	v_fmac_f32_e32 v4, v37, v19
	;; [unrolled: 1-line block ×4, first 2 shown]
	ds_read2_b32 v[18:19], v9 offset0:224 offset1:240
	s_waitcnt lgkmcnt(7)
	v_fmac_f32_e32 v8, v38, v20
	v_fmac_f32_e32 v4, v39, v20
	;; [unrolled: 1-line block ×4, first 2 shown]
	s_waitcnt lgkmcnt(0)
	v_fmac_f32_e32 v8, v40, v21
	v_fmac_f32_e32 v4, v41, v21
	;; [unrolled: 1-line block ×4, first 2 shown]
	s_barrier
	v_fmac_f32_e32 v8, v42, v26
	v_fmac_f32_e32 v4, v43, v26
	;; [unrolled: 1-line block ×4, first 2 shown]
	buffer_gl0_inv
	v_fmac_f32_e32 v8, v44, v27
	v_fmac_f32_e32 v4, v45, v27
	;; [unrolled: 1-line block ×12, first 2 shown]
	s_cbranch_vccz .LBB170_12
.LBB170_6:                              ; =>This Inner Loop Header: Depth=1
	v_mov_b32_e32 v18, 0
	s_and_saveexec_b32 s12, s0
	s_cbranch_execz .LBB170_10
; %bb.7:                                ;   in Loop: Header=BB170_6 Depth=1
	v_add_nc_u32_e32 v2, s6, v10
	v_mov_b32_e32 v18, 0
	s_mov_b32 s13, exec_lo
	v_cmpx_gt_u64_e64 s[2:3], v[2:3]
	s_cbranch_execz .LBB170_9
; %bb.8:                                ;   in Loop: Header=BB170_6 Depth=1
	v_lshlrev_b64 v[18:19], 2, v[2:3]
	v_add_co_u32 v18, vcc_lo, v15, v18
	v_add_co_ci_u32_e64 v19, null, v16, v19, vcc_lo
	global_load_dword v18, v[18:19], off
.LBB170_9:                              ;   in Loop: Header=BB170_6 Depth=1
	s_or_b32 exec_lo, exec_lo, s13
.LBB170_10:                             ;   in Loop: Header=BB170_6 Depth=1
	s_or_b32 exec_lo, exec_lo, s12
	v_add_nc_u32_e32 v2, s6, v5
	v_mov_b32_e32 v19, 0
	s_waitcnt vmcnt(0)
	ds_write_b32 v11, v18
	v_cmp_gt_u64_e32 vcc_lo, s[2:3], v[2:3]
	s_and_b32 s13, vcc_lo, s1
	s_and_saveexec_b32 s12, s13
	s_cbranch_execz .LBB170_5
; %bb.11:                               ;   in Loop: Header=BB170_6 Depth=1
	v_mad_u64_u32 v[18:19], null, s20, v2, 0
	v_mad_u64_u32 v[19:20], null, s21, v2, v[19:20]
	v_lshlrev_b64 v[18:19], 2, v[18:19]
	v_add_co_u32 v18, vcc_lo, v13, v18
	v_add_co_ci_u32_e64 v19, null, v14, v19, vcc_lo
	global_load_dword v19, v[18:19], off
	s_branch .LBB170_5
.LBB170_12:
	s_clause 0x1
	s_load_dwordx4 s[12:15], s[4:5], 0x50
	s_load_dwordx2 s[2:3], s[4:5], 0x60
	v_add_nc_u32_e32 v10, s25, v1
	v_add_nc_u32_e32 v0, s24, v0
	v_cmp_neq_f32_e64 s4, s9, 0
	v_ashrrev_i32_e32 v1, 31, v10
	s_waitcnt lgkmcnt(0)
	v_cmp_gt_i32_e64 s0, s11, v10
	v_cmp_le_i32_e32 vcc_lo, v0, v10
	v_cndmask_b32_e64 v9, 0, 1, s4
	v_mul_lo_u32 v3, s14, v1
	v_mul_lo_u32 v5, s15, v10
	v_mad_u64_u32 v[1:2], null, s14, v10, 0
	s_mul_i32 s1, s3, s8
	s_mul_hi_u32 s3, s2, s8
	s_mul_i32 s2, s2, s8
	s_add_i32 s3, s3, s1
	s_lshl_b64 s[2:3], s[2:3], 2
	v_add3_u32 v2, v2, v3, v5
	s_add_u32 s2, s12, s2
	s_addc_u32 s3, s13, s3
	s_and_b32 s5, s0, vcc_lo
	v_lshlrev_b64 v[2:3], 2, v[1:2]
	v_ashrrev_i32_e32 v1, 31, v0
	v_add_co_u32 v5, s1, s2, v2
	v_add_co_ci_u32_e64 v11, null, s3, v3, s1
	s_and_saveexec_b32 s1, s5
	s_cbranch_execz .LBB170_16
; %bb.13:
	v_lshlrev_b64 v[2:3], 2, v[0:1]
	v_mul_f32_e32 v8, s10, v8
	v_add_co_u32 v2, vcc_lo, v5, v2
	v_add_co_ci_u32_e64 v3, null, v11, v3, vcc_lo
	s_andn2_b32 vcc_lo, exec_lo, s4
	s_cbranch_vccnz .LBB170_15
; %bb.14:
	global_load_dword v12, v[2:3], off
	s_waitcnt vmcnt(0)
	v_fmac_f32_e32 v8, s9, v12
.LBB170_15:
	global_store_dword v[2:3], v8, off
.LBB170_16:
	s_or_b32 exec_lo, exec_lo, s1
	v_add_nc_u32_e32 v2, 16, v0
	v_cmp_le_i32_e32 vcc_lo, v2, v10
	v_ashrrev_i32_e32 v3, 31, v2
	s_and_b32 s0, s0, vcc_lo
	s_and_saveexec_b32 s1, s0
	s_cbranch_execz .LBB170_20
; %bb.17:
	v_lshlrev_b64 v[12:13], 2, v[2:3]
	v_mul_f32_e32 v8, s10, v4
	v_cmp_ne_u32_e32 vcc_lo, 1, v9
	v_add_co_u32 v4, s0, v5, v12
	v_add_co_ci_u32_e64 v5, null, v11, v13, s0
	s_cbranch_vccnz .LBB170_19
; %bb.18:
	global_load_dword v11, v[4:5], off
	s_waitcnt vmcnt(0)
	v_fmac_f32_e32 v8, s9, v11
.LBB170_19:
	global_store_dword v[4:5], v8, off
.LBB170_20:
	s_or_b32 exec_lo, exec_lo, s1
	v_add_nc_u32_e32 v8, 16, v10
	v_ashrrev_i32_e32 v10, 31, v8
	v_mul_lo_u32 v11, s15, v8
	v_mad_u64_u32 v[4:5], null, s14, v8, 0
	v_cmp_gt_i32_e64 s0, s11, v8
	v_mul_lo_u32 v10, s14, v10
	v_cmp_le_i32_e32 vcc_lo, v0, v8
	v_add3_u32 v5, v5, v10, v11
	v_lshlrev_b64 v[4:5], 2, v[4:5]
	v_add_co_u32 v4, s1, s2, v4
	v_add_co_ci_u32_e64 v5, null, s3, v5, s1
	s_and_b32 s1, s0, vcc_lo
	s_and_saveexec_b32 s2, s1
	s_cbranch_execz .LBB170_24
; %bb.21:
	v_lshlrev_b64 v[0:1], 2, v[0:1]
	v_cmp_ne_u32_e32 vcc_lo, 1, v9
	v_mul_f32_e32 v7, s10, v7
	v_add_co_u32 v0, s1, v4, v0
	v_add_co_ci_u32_e64 v1, null, v5, v1, s1
	s_cbranch_vccnz .LBB170_23
; %bb.22:
	global_load_dword v10, v[0:1], off
	s_waitcnt vmcnt(0)
	v_fmac_f32_e32 v7, s9, v10
.LBB170_23:
	global_store_dword v[0:1], v7, off
.LBB170_24:
	s_or_b32 exec_lo, exec_lo, s2
	v_cmp_le_i32_e32 vcc_lo, v2, v8
	s_and_b32 s0, s0, vcc_lo
	s_and_saveexec_b32 s1, s0
	s_cbranch_execz .LBB170_28
; %bb.25:
	v_lshlrev_b64 v[0:1], 2, v[2:3]
	v_cmp_ne_u32_e32 vcc_lo, 1, v9
	v_mul_f32_e32 v2, s10, v6
	v_add_co_u32 v0, s0, v4, v0
	v_add_co_ci_u32_e64 v1, null, v5, v1, s0
	s_cbranch_vccnz .LBB170_27
; %bb.26:
	global_load_dword v3, v[0:1], off
	s_waitcnt vmcnt(0)
	v_fmac_f32_e32 v2, s9, v3
.LBB170_27:
	global_store_dword v[0:1], v2, off
.LBB170_28:
	s_endpgm
	.section	.rodata,"a",@progbits
	.p2align	6, 0x0
	.amdhsa_kernel _ZL29rocblas_internal_gemmt_kernelIlLi16ELi32ELi8ELc67ELc67ELc85ELb0ELb0EffPKfPfEviT_T9_T10_S3_lS5_S3_lS4_T11_S3_li
		.amdhsa_group_segment_fixed_size 2048
		.amdhsa_private_segment_fixed_size 0
		.amdhsa_kernarg_size 108
		.amdhsa_user_sgpr_count 6
		.amdhsa_user_sgpr_private_segment_buffer 1
		.amdhsa_user_sgpr_dispatch_ptr 0
		.amdhsa_user_sgpr_queue_ptr 0
		.amdhsa_user_sgpr_kernarg_segment_ptr 1
		.amdhsa_user_sgpr_dispatch_id 0
		.amdhsa_user_sgpr_flat_scratch_init 0
		.amdhsa_user_sgpr_private_segment_size 0
		.amdhsa_wavefront_size32 1
		.amdhsa_uses_dynamic_stack 0
		.amdhsa_system_sgpr_private_segment_wavefront_offset 0
		.amdhsa_system_sgpr_workgroup_id_x 1
		.amdhsa_system_sgpr_workgroup_id_y 1
		.amdhsa_system_sgpr_workgroup_id_z 1
		.amdhsa_system_sgpr_workgroup_info 0
		.amdhsa_system_vgpr_workitem_id 1
		.amdhsa_next_free_vgpr 46
		.amdhsa_next_free_sgpr 26
		.amdhsa_reserve_vcc 1
		.amdhsa_reserve_flat_scratch 0
		.amdhsa_float_round_mode_32 0
		.amdhsa_float_round_mode_16_64 0
		.amdhsa_float_denorm_mode_32 3
		.amdhsa_float_denorm_mode_16_64 3
		.amdhsa_dx10_clamp 1
		.amdhsa_ieee_mode 1
		.amdhsa_fp16_overflow 0
		.amdhsa_workgroup_processor_mode 1
		.amdhsa_memory_ordered 1
		.amdhsa_forward_progress 1
		.amdhsa_shared_vgpr_count 0
		.amdhsa_exception_fp_ieee_invalid_op 0
		.amdhsa_exception_fp_denorm_src 0
		.amdhsa_exception_fp_ieee_div_zero 0
		.amdhsa_exception_fp_ieee_overflow 0
		.amdhsa_exception_fp_ieee_underflow 0
		.amdhsa_exception_fp_ieee_inexact 0
		.amdhsa_exception_int_div_zero 0
	.end_amdhsa_kernel
	.section	.text._ZL29rocblas_internal_gemmt_kernelIlLi16ELi32ELi8ELc67ELc67ELc85ELb0ELb0EffPKfPfEviT_T9_T10_S3_lS5_S3_lS4_T11_S3_li,"axG",@progbits,_ZL29rocblas_internal_gemmt_kernelIlLi16ELi32ELi8ELc67ELc67ELc85ELb0ELb0EffPKfPfEviT_T9_T10_S3_lS5_S3_lS4_T11_S3_li,comdat
.Lfunc_end170:
	.size	_ZL29rocblas_internal_gemmt_kernelIlLi16ELi32ELi8ELc67ELc67ELc85ELb0ELb0EffPKfPfEviT_T9_T10_S3_lS5_S3_lS4_T11_S3_li, .Lfunc_end170-_ZL29rocblas_internal_gemmt_kernelIlLi16ELi32ELi8ELc67ELc67ELc85ELb0ELb0EffPKfPfEviT_T9_T10_S3_lS5_S3_lS4_T11_S3_li
                                        ; -- End function
	.set _ZL29rocblas_internal_gemmt_kernelIlLi16ELi32ELi8ELc67ELc67ELc85ELb0ELb0EffPKfPfEviT_T9_T10_S3_lS5_S3_lS4_T11_S3_li.num_vgpr, 46
	.set _ZL29rocblas_internal_gemmt_kernelIlLi16ELi32ELi8ELc67ELc67ELc85ELb0ELb0EffPKfPfEviT_T9_T10_S3_lS5_S3_lS4_T11_S3_li.num_agpr, 0
	.set _ZL29rocblas_internal_gemmt_kernelIlLi16ELi32ELi8ELc67ELc67ELc85ELb0ELb0EffPKfPfEviT_T9_T10_S3_lS5_S3_lS4_T11_S3_li.numbered_sgpr, 26
	.set _ZL29rocblas_internal_gemmt_kernelIlLi16ELi32ELi8ELc67ELc67ELc85ELb0ELb0EffPKfPfEviT_T9_T10_S3_lS5_S3_lS4_T11_S3_li.num_named_barrier, 0
	.set _ZL29rocblas_internal_gemmt_kernelIlLi16ELi32ELi8ELc67ELc67ELc85ELb0ELb0EffPKfPfEviT_T9_T10_S3_lS5_S3_lS4_T11_S3_li.private_seg_size, 0
	.set _ZL29rocblas_internal_gemmt_kernelIlLi16ELi32ELi8ELc67ELc67ELc85ELb0ELb0EffPKfPfEviT_T9_T10_S3_lS5_S3_lS4_T11_S3_li.uses_vcc, 1
	.set _ZL29rocblas_internal_gemmt_kernelIlLi16ELi32ELi8ELc67ELc67ELc85ELb0ELb0EffPKfPfEviT_T9_T10_S3_lS5_S3_lS4_T11_S3_li.uses_flat_scratch, 0
	.set _ZL29rocblas_internal_gemmt_kernelIlLi16ELi32ELi8ELc67ELc67ELc85ELb0ELb0EffPKfPfEviT_T9_T10_S3_lS5_S3_lS4_T11_S3_li.has_dyn_sized_stack, 0
	.set _ZL29rocblas_internal_gemmt_kernelIlLi16ELi32ELi8ELc67ELc67ELc85ELb0ELb0EffPKfPfEviT_T9_T10_S3_lS5_S3_lS4_T11_S3_li.has_recursion, 0
	.set _ZL29rocblas_internal_gemmt_kernelIlLi16ELi32ELi8ELc67ELc67ELc85ELb0ELb0EffPKfPfEviT_T9_T10_S3_lS5_S3_lS4_T11_S3_li.has_indirect_call, 0
	.section	.AMDGPU.csdata,"",@progbits
; Kernel info:
; codeLenInByte = 1448
; TotalNumSgprs: 28
; NumVgprs: 46
; ScratchSize: 0
; MemoryBound: 0
; FloatMode: 240
; IeeeMode: 1
; LDSByteSize: 2048 bytes/workgroup (compile time only)
; SGPRBlocks: 0
; VGPRBlocks: 5
; NumSGPRsForWavesPerEU: 28
; NumVGPRsForWavesPerEU: 46
; Occupancy: 16
; WaveLimiterHint : 0
; COMPUTE_PGM_RSRC2:SCRATCH_EN: 0
; COMPUTE_PGM_RSRC2:USER_SGPR: 6
; COMPUTE_PGM_RSRC2:TRAP_HANDLER: 0
; COMPUTE_PGM_RSRC2:TGID_X_EN: 1
; COMPUTE_PGM_RSRC2:TGID_Y_EN: 1
; COMPUTE_PGM_RSRC2:TGID_Z_EN: 1
; COMPUTE_PGM_RSRC2:TIDIG_COMP_CNT: 1
	.section	.text._ZL29rocblas_internal_gemmt_kernelIlLi16ELi32ELi8ELc78ELc78ELc76ELb0ELb0EffPKfPfEviT_T9_T10_S3_lS5_S3_lS4_T11_S3_li,"axG",@progbits,_ZL29rocblas_internal_gemmt_kernelIlLi16ELi32ELi8ELc78ELc78ELc76ELb0ELb0EffPKfPfEviT_T9_T10_S3_lS5_S3_lS4_T11_S3_li,comdat
	.globl	_ZL29rocblas_internal_gemmt_kernelIlLi16ELi32ELi8ELc78ELc78ELc76ELb0ELb0EffPKfPfEviT_T9_T10_S3_lS5_S3_lS4_T11_S3_li ; -- Begin function _ZL29rocblas_internal_gemmt_kernelIlLi16ELi32ELi8ELc78ELc78ELc76ELb0ELb0EffPKfPfEviT_T9_T10_S3_lS5_S3_lS4_T11_S3_li
	.p2align	8
	.type	_ZL29rocblas_internal_gemmt_kernelIlLi16ELi32ELi8ELc78ELc78ELc76ELb0ELb0EffPKfPfEviT_T9_T10_S3_lS5_S3_lS4_T11_S3_li,@function
_ZL29rocblas_internal_gemmt_kernelIlLi16ELi32ELi8ELc78ELc78ELc76ELb0ELb0EffPKfPfEviT_T9_T10_S3_lS5_S3_lS4_T11_S3_li: ; @_ZL29rocblas_internal_gemmt_kernelIlLi16ELi32ELi8ELc78ELc78ELc76ELb0ELb0EffPKfPfEviT_T9_T10_S3_lS5_S3_lS4_T11_S3_li
; %bb.0:
	s_clause 0x2
	s_load_dword s9, s[4:5], 0x48
	s_load_dwordx2 s[10:11], s[4:5], 0x8
	s_load_dword s20, s[4:5], 0x10
	s_waitcnt lgkmcnt(0)
	v_cmp_neq_f32_e64 s0, s9, 1.0
	s_and_b32 vcc_lo, exec_lo, s0
	s_cbranch_vccnz .LBB171_2
; %bb.1:
	v_cmp_neq_f32_e64 s0, s20, 0
	s_cmp_lg_u64 s[10:11], 0
	s_cselect_b32 s1, -1, 0
	s_and_b32 s0, s1, s0
.LBB171_2:
	s_andn2_b32 vcc_lo, exec_lo, s0
	s_cbranch_vccnz .LBB171_28
; %bb.3:
	s_load_dword s21, s[4:5], 0x0
	v_cmp_lt_i64_e64 s0, s[10:11], 1
	v_cmp_eq_f32_e64 s1, s20, 0
	v_mov_b32_e32 v8, 0
	v_mov_b32_e32 v4, 0
	;; [unrolled: 1-line block ×4, first 2 shown]
	s_or_b32 s0, s1, s0
	s_lshl_b32 s6, s6, 5
	s_and_b32 vcc_lo, exec_lo, s0
	s_lshl_b32 s7, s7, 5
	s_cbranch_vccnz .LBB171_12
; %bb.4:
	s_load_dwordx4 s[0:3], s[4:5], 0x38
	v_lshl_add_u32 v3, v1, 4, v0
	s_load_dwordx8 s[12:19], s[4:5], 0x18
	v_and_b32_e32 v5, 7, v0
	v_lshlrev_b32_e32 v16, 2, v0
	v_lshl_add_u32 v17, v1, 5, 0x400
	v_lshrrev_b32_e32 v8, 3, v3
	v_and_b32_e32 v4, 31, v3
	v_lshrrev_b32_e32 v9, 5, v3
	v_lshlrev_b32_e32 v11, 2, v5
	v_add_nc_u32_e32 v13, s7, v8
	v_or_b32_e32 v2, s6, v4
	v_lshlrev_b32_e32 v10, 2, v4
	v_ashrrev_i32_e32 v4, 31, v13
	v_ashrrev_i32_e32 v3, 31, v2
	v_lshl_or_b32 v10, v9, 7, v10
	s_waitcnt lgkmcnt(0)
	v_mul_lo_u32 v14, s1, v13
	v_mul_lo_u32 v12, s0, v4
	v_mad_u64_u32 v[6:7], null, s0, v13, 0
	s_mul_i32 s3, s3, s8
	s_mul_hi_u32 s22, s2, s8
	s_mul_i32 s2, s2, s8
	s_add_i32 s3, s22, s3
	s_mul_i32 s17, s17, s8
	s_lshl_b64 s[0:1], s[2:3], 2
	v_add3_u32 v7, v7, v12, v14
	s_mul_hi_u32 s23, s16, s8
	s_mul_i32 s2, s16, s8
	s_add_u32 s16, s18, s0
	s_addc_u32 s18, s19, s1
	s_add_i32 s3, s23, s17
	v_lshlrev_b64 v[3:4], 2, v[2:3]
	s_lshl_b64 s[0:1], s[2:3], 2
	v_lshlrev_b64 v[6:7], 2, v[6:7]
	s_add_u32 s2, s12, s0
	v_cmp_gt_i32_e64 s0, s21, v2
	v_lshl_or_b32 v2, v8, 5, v11
	s_addc_u32 s1, s13, s1
	v_add_co_u32 v11, vcc_lo, s2, v3
	v_add_co_ci_u32_e64 v12, null, s1, v4, vcc_lo
	v_add_co_u32 v14, vcc_lo, s16, v6
	v_cmp_gt_i32_e64 s1, s21, v13
	v_add_nc_u32_e32 v13, 0x400, v2
	v_add_co_ci_u32_e64 v15, null, s18, v7, vcc_lo
	v_mov_b32_e32 v3, 0
	v_mov_b32_e32 v6, 0
	;; [unrolled: 1-line block ×5, first 2 shown]
	s_mov_b64 s[2:3], 0
	s_branch .LBB171_6
.LBB171_5:                              ;   in Loop: Header=BB171_6 Depth=1
	s_or_b32 exec_lo, exec_lo, s12
	s_waitcnt vmcnt(0)
	ds_write_b32 v13, v19
	s_waitcnt lgkmcnt(0)
	s_barrier
	buffer_gl0_inv
	ds_read_b128 v[18:21], v17
	ds_read2_b32 v[34:35], v16 offset1:16
	ds_read_b128 v[22:25], v17 offset:512
	ds_read2_b32 v[36:37], v16 offset0:32 offset1:48
	ds_read2_b32 v[38:39], v16 offset0:64 offset1:80
	;; [unrolled: 1-line block ×3, first 2 shown]
	ds_read_b128 v[26:29], v17 offset:16
	ds_read2_b32 v[42:43], v16 offset0:128 offset1:144
	ds_read_b128 v[30:33], v17 offset:528
	ds_read2_b32 v[44:45], v16 offset0:160 offset1:176
	s_add_u32 s2, s2, 8
	s_addc_u32 s3, s3, 0
	v_cmp_gt_i64_e64 s12, s[10:11], s[2:3]
	s_and_b32 vcc_lo, exec_lo, s12
	s_waitcnt lgkmcnt(8)
	v_fmac_f32_e32 v8, v34, v18
	v_fmac_f32_e32 v4, v35, v18
	s_waitcnt lgkmcnt(7)
	v_fmac_f32_e32 v7, v34, v22
	v_fmac_f32_e32 v6, v35, v22
	ds_read2_b32 v[34:35], v16 offset0:192 offset1:208
	s_waitcnt lgkmcnt(7)
	v_fmac_f32_e32 v8, v36, v19
	v_fmac_f32_e32 v4, v37, v19
	;; [unrolled: 1-line block ×4, first 2 shown]
	ds_read2_b32 v[18:19], v16 offset0:224 offset1:240
	s_waitcnt lgkmcnt(7)
	v_fmac_f32_e32 v8, v38, v20
	v_fmac_f32_e32 v4, v39, v20
	;; [unrolled: 1-line block ×4, first 2 shown]
	s_waitcnt lgkmcnt(0)
	v_fmac_f32_e32 v8, v40, v21
	v_fmac_f32_e32 v4, v41, v21
	;; [unrolled: 1-line block ×4, first 2 shown]
	s_barrier
	v_fmac_f32_e32 v8, v42, v26
	v_fmac_f32_e32 v4, v43, v26
	;; [unrolled: 1-line block ×4, first 2 shown]
	buffer_gl0_inv
	v_fmac_f32_e32 v8, v44, v27
	v_fmac_f32_e32 v4, v45, v27
	;; [unrolled: 1-line block ×12, first 2 shown]
	s_cbranch_vccz .LBB171_12
.LBB171_6:                              ; =>This Inner Loop Header: Depth=1
	v_mov_b32_e32 v18, 0
	s_and_saveexec_b32 s12, s0
	s_cbranch_execz .LBB171_10
; %bb.7:                                ;   in Loop: Header=BB171_6 Depth=1
	v_add_nc_u32_e32 v2, s2, v9
	v_mov_b32_e32 v18, 0
	s_mov_b32 s13, exec_lo
	v_cmpx_gt_u64_e64 s[10:11], v[2:3]
	s_cbranch_execz .LBB171_9
; %bb.8:                                ;   in Loop: Header=BB171_6 Depth=1
	v_mad_u64_u32 v[18:19], null, s14, v2, 0
	v_mad_u64_u32 v[19:20], null, s15, v2, v[19:20]
	v_lshlrev_b64 v[18:19], 2, v[18:19]
	v_add_co_u32 v18, vcc_lo, v11, v18
	v_add_co_ci_u32_e64 v19, null, v12, v19, vcc_lo
	global_load_dword v18, v[18:19], off
.LBB171_9:                              ;   in Loop: Header=BB171_6 Depth=1
	s_or_b32 exec_lo, exec_lo, s13
.LBB171_10:                             ;   in Loop: Header=BB171_6 Depth=1
	s_or_b32 exec_lo, exec_lo, s12
	v_add_nc_u32_e32 v2, s2, v5
	v_mov_b32_e32 v19, 0
	s_waitcnt vmcnt(0)
	ds_write_b32 v10, v18
	v_cmp_gt_u64_e32 vcc_lo, s[10:11], v[2:3]
	s_and_b32 s13, vcc_lo, s1
	s_and_saveexec_b32 s12, s13
	s_cbranch_execz .LBB171_5
; %bb.11:                               ;   in Loop: Header=BB171_6 Depth=1
	v_lshlrev_b64 v[18:19], 2, v[2:3]
	v_add_co_u32 v18, vcc_lo, v14, v18
	v_add_co_ci_u32_e64 v19, null, v15, v19, vcc_lo
	global_load_dword v19, v[18:19], off
	s_branch .LBB171_5
.LBB171_12:
	s_clause 0x1
	s_load_dwordx4 s[12:15], s[4:5], 0x50
	s_load_dwordx2 s[2:3], s[4:5], 0x60
	v_add_nc_u32_e32 v10, s7, v1
	v_add_nc_u32_e32 v0, s6, v0
	v_ashrrev_i32_e32 v1, 31, v10
	v_cmp_le_i32_e32 vcc_lo, v10, v0
	s_waitcnt lgkmcnt(0)
	v_cmp_gt_i32_e64 s0, s21, v0
	v_mul_lo_u32 v3, s14, v1
	v_mul_lo_u32 v5, s15, v10
	v_mad_u64_u32 v[1:2], null, s14, v10, 0
	s_mul_i32 s1, s3, s8
	s_mul_hi_u32 s3, s2, s8
	s_mul_i32 s2, s2, s8
	s_add_i32 s3, s3, s1
	s_lshl_b64 s[4:5], s[2:3], 2
	v_add3_u32 v2, v2, v3, v5
	v_cmp_neq_f32_e64 s2, s9, 0
	s_add_u32 s3, s12, s4
	s_addc_u32 s4, s13, s5
	s_and_b32 s5, vcc_lo, s0
	v_lshlrev_b64 v[2:3], 2, v[1:2]
	v_ashrrev_i32_e32 v1, 31, v0
	v_cndmask_b32_e64 v9, 0, 1, s2
	v_add_co_u32 v5, s1, s3, v2
	v_add_co_ci_u32_e64 v11, null, s4, v3, s1
	s_and_saveexec_b32 s1, s5
	s_cbranch_execz .LBB171_16
; %bb.13:
	v_lshlrev_b64 v[2:3], 2, v[0:1]
	v_mul_f32_e32 v8, s20, v8
	v_add_co_u32 v2, vcc_lo, v5, v2
	v_add_co_ci_u32_e64 v3, null, v11, v3, vcc_lo
	s_andn2_b32 vcc_lo, exec_lo, s2
	s_cbranch_vccnz .LBB171_15
; %bb.14:
	global_load_dword v12, v[2:3], off
	s_waitcnt vmcnt(0)
	v_fmac_f32_e32 v8, s9, v12
.LBB171_15:
	global_store_dword v[2:3], v8, off
.LBB171_16:
	s_or_b32 exec_lo, exec_lo, s1
	v_add_nc_u32_e32 v2, 16, v0
	v_cmp_le_i32_e32 vcc_lo, v10, v2
	v_cmp_gt_i32_e64 s1, s21, v2
	v_ashrrev_i32_e32 v3, 31, v2
	s_and_b32 s2, vcc_lo, s1
	s_and_saveexec_b32 s5, s2
	s_cbranch_execz .LBB171_20
; %bb.17:
	v_lshlrev_b64 v[12:13], 2, v[2:3]
	v_mul_f32_e32 v8, s20, v4
	v_cmp_ne_u32_e32 vcc_lo, 1, v9
	v_add_co_u32 v4, s2, v5, v12
	v_add_co_ci_u32_e64 v5, null, v11, v13, s2
	s_cbranch_vccnz .LBB171_19
; %bb.18:
	global_load_dword v11, v[4:5], off
	s_waitcnt vmcnt(0)
	v_fmac_f32_e32 v8, s9, v11
.LBB171_19:
	global_store_dword v[4:5], v8, off
.LBB171_20:
	s_or_b32 exec_lo, exec_lo, s5
	v_add_nc_u32_e32 v8, 16, v10
	v_ashrrev_i32_e32 v10, 31, v8
	v_mul_lo_u32 v11, s15, v8
	v_mad_u64_u32 v[4:5], null, s14, v8, 0
	v_cmp_le_i32_e32 vcc_lo, v8, v0
	v_mul_lo_u32 v10, s14, v10
	s_and_b32 s0, vcc_lo, s0
	v_add3_u32 v5, v5, v10, v11
	v_lshlrev_b64 v[4:5], 2, v[4:5]
	v_add_co_u32 v4, s2, s3, v4
	v_add_co_ci_u32_e64 v5, null, s4, v5, s2
	s_and_saveexec_b32 s2, s0
	s_cbranch_execz .LBB171_24
; %bb.21:
	v_lshlrev_b64 v[0:1], 2, v[0:1]
	v_cmp_ne_u32_e32 vcc_lo, 1, v9
	v_mul_f32_e32 v7, s20, v7
	v_add_co_u32 v0, s0, v4, v0
	v_add_co_ci_u32_e64 v1, null, v5, v1, s0
	s_cbranch_vccnz .LBB171_23
; %bb.22:
	global_load_dword v10, v[0:1], off
	s_waitcnt vmcnt(0)
	v_fmac_f32_e32 v7, s9, v10
.LBB171_23:
	global_store_dword v[0:1], v7, off
.LBB171_24:
	s_or_b32 exec_lo, exec_lo, s2
	v_cmp_le_i32_e32 vcc_lo, v8, v2
	s_and_b32 s0, vcc_lo, s1
	s_and_saveexec_b32 s1, s0
	s_cbranch_execz .LBB171_28
; %bb.25:
	v_lshlrev_b64 v[0:1], 2, v[2:3]
	v_cmp_ne_u32_e32 vcc_lo, 1, v9
	v_mul_f32_e32 v2, s20, v6
	v_add_co_u32 v0, s0, v4, v0
	v_add_co_ci_u32_e64 v1, null, v5, v1, s0
	s_cbranch_vccnz .LBB171_27
; %bb.26:
	global_load_dword v3, v[0:1], off
	s_waitcnt vmcnt(0)
	v_fmac_f32_e32 v2, s9, v3
.LBB171_27:
	global_store_dword v[0:1], v2, off
.LBB171_28:
	s_endpgm
	.section	.rodata,"a",@progbits
	.p2align	6, 0x0
	.amdhsa_kernel _ZL29rocblas_internal_gemmt_kernelIlLi16ELi32ELi8ELc78ELc78ELc76ELb0ELb0EffPKfPfEviT_T9_T10_S3_lS5_S3_lS4_T11_S3_li
		.amdhsa_group_segment_fixed_size 2048
		.amdhsa_private_segment_fixed_size 0
		.amdhsa_kernarg_size 108
		.amdhsa_user_sgpr_count 6
		.amdhsa_user_sgpr_private_segment_buffer 1
		.amdhsa_user_sgpr_dispatch_ptr 0
		.amdhsa_user_sgpr_queue_ptr 0
		.amdhsa_user_sgpr_kernarg_segment_ptr 1
		.amdhsa_user_sgpr_dispatch_id 0
		.amdhsa_user_sgpr_flat_scratch_init 0
		.amdhsa_user_sgpr_private_segment_size 0
		.amdhsa_wavefront_size32 1
		.amdhsa_uses_dynamic_stack 0
		.amdhsa_system_sgpr_private_segment_wavefront_offset 0
		.amdhsa_system_sgpr_workgroup_id_x 1
		.amdhsa_system_sgpr_workgroup_id_y 1
		.amdhsa_system_sgpr_workgroup_id_z 1
		.amdhsa_system_sgpr_workgroup_info 0
		.amdhsa_system_vgpr_workitem_id 1
		.amdhsa_next_free_vgpr 46
		.amdhsa_next_free_sgpr 24
		.amdhsa_reserve_vcc 1
		.amdhsa_reserve_flat_scratch 0
		.amdhsa_float_round_mode_32 0
		.amdhsa_float_round_mode_16_64 0
		.amdhsa_float_denorm_mode_32 3
		.amdhsa_float_denorm_mode_16_64 3
		.amdhsa_dx10_clamp 1
		.amdhsa_ieee_mode 1
		.amdhsa_fp16_overflow 0
		.amdhsa_workgroup_processor_mode 1
		.amdhsa_memory_ordered 1
		.amdhsa_forward_progress 1
		.amdhsa_shared_vgpr_count 0
		.amdhsa_exception_fp_ieee_invalid_op 0
		.amdhsa_exception_fp_denorm_src 0
		.amdhsa_exception_fp_ieee_div_zero 0
		.amdhsa_exception_fp_ieee_overflow 0
		.amdhsa_exception_fp_ieee_underflow 0
		.amdhsa_exception_fp_ieee_inexact 0
		.amdhsa_exception_int_div_zero 0
	.end_amdhsa_kernel
	.section	.text._ZL29rocblas_internal_gemmt_kernelIlLi16ELi32ELi8ELc78ELc78ELc76ELb0ELb0EffPKfPfEviT_T9_T10_S3_lS5_S3_lS4_T11_S3_li,"axG",@progbits,_ZL29rocblas_internal_gemmt_kernelIlLi16ELi32ELi8ELc78ELc78ELc76ELb0ELb0EffPKfPfEviT_T9_T10_S3_lS5_S3_lS4_T11_S3_li,comdat
.Lfunc_end171:
	.size	_ZL29rocblas_internal_gemmt_kernelIlLi16ELi32ELi8ELc78ELc78ELc76ELb0ELb0EffPKfPfEviT_T9_T10_S3_lS5_S3_lS4_T11_S3_li, .Lfunc_end171-_ZL29rocblas_internal_gemmt_kernelIlLi16ELi32ELi8ELc78ELc78ELc76ELb0ELb0EffPKfPfEviT_T9_T10_S3_lS5_S3_lS4_T11_S3_li
                                        ; -- End function
	.set _ZL29rocblas_internal_gemmt_kernelIlLi16ELi32ELi8ELc78ELc78ELc76ELb0ELb0EffPKfPfEviT_T9_T10_S3_lS5_S3_lS4_T11_S3_li.num_vgpr, 46
	.set _ZL29rocblas_internal_gemmt_kernelIlLi16ELi32ELi8ELc78ELc78ELc76ELb0ELb0EffPKfPfEviT_T9_T10_S3_lS5_S3_lS4_T11_S3_li.num_agpr, 0
	.set _ZL29rocblas_internal_gemmt_kernelIlLi16ELi32ELi8ELc78ELc78ELc76ELb0ELb0EffPKfPfEviT_T9_T10_S3_lS5_S3_lS4_T11_S3_li.numbered_sgpr, 24
	.set _ZL29rocblas_internal_gemmt_kernelIlLi16ELi32ELi8ELc78ELc78ELc76ELb0ELb0EffPKfPfEviT_T9_T10_S3_lS5_S3_lS4_T11_S3_li.num_named_barrier, 0
	.set _ZL29rocblas_internal_gemmt_kernelIlLi16ELi32ELi8ELc78ELc78ELc76ELb0ELb0EffPKfPfEviT_T9_T10_S3_lS5_S3_lS4_T11_S3_li.private_seg_size, 0
	.set _ZL29rocblas_internal_gemmt_kernelIlLi16ELi32ELi8ELc78ELc78ELc76ELb0ELb0EffPKfPfEviT_T9_T10_S3_lS5_S3_lS4_T11_S3_li.uses_vcc, 1
	.set _ZL29rocblas_internal_gemmt_kernelIlLi16ELi32ELi8ELc78ELc78ELc76ELb0ELb0EffPKfPfEviT_T9_T10_S3_lS5_S3_lS4_T11_S3_li.uses_flat_scratch, 0
	.set _ZL29rocblas_internal_gemmt_kernelIlLi16ELi32ELi8ELc78ELc78ELc76ELb0ELb0EffPKfPfEviT_T9_T10_S3_lS5_S3_lS4_T11_S3_li.has_dyn_sized_stack, 0
	.set _ZL29rocblas_internal_gemmt_kernelIlLi16ELi32ELi8ELc78ELc78ELc76ELb0ELb0EffPKfPfEviT_T9_T10_S3_lS5_S3_lS4_T11_S3_li.has_recursion, 0
	.set _ZL29rocblas_internal_gemmt_kernelIlLi16ELi32ELi8ELc78ELc78ELc76ELb0ELb0EffPKfPfEviT_T9_T10_S3_lS5_S3_lS4_T11_S3_li.has_indirect_call, 0
	.section	.AMDGPU.csdata,"",@progbits
; Kernel info:
; codeLenInByte = 1448
; TotalNumSgprs: 26
; NumVgprs: 46
; ScratchSize: 0
; MemoryBound: 0
; FloatMode: 240
; IeeeMode: 1
; LDSByteSize: 2048 bytes/workgroup (compile time only)
; SGPRBlocks: 0
; VGPRBlocks: 5
; NumSGPRsForWavesPerEU: 26
; NumVGPRsForWavesPerEU: 46
; Occupancy: 16
; WaveLimiterHint : 0
; COMPUTE_PGM_RSRC2:SCRATCH_EN: 0
; COMPUTE_PGM_RSRC2:USER_SGPR: 6
; COMPUTE_PGM_RSRC2:TRAP_HANDLER: 0
; COMPUTE_PGM_RSRC2:TGID_X_EN: 1
; COMPUTE_PGM_RSRC2:TGID_Y_EN: 1
; COMPUTE_PGM_RSRC2:TGID_Z_EN: 1
; COMPUTE_PGM_RSRC2:TIDIG_COMP_CNT: 1
	.section	.text._ZL29rocblas_internal_gemmt_kernelIlLi16ELi32ELi8ELc78ELc84ELc76ELb0ELb0EffPKfPfEviT_T9_T10_S3_lS5_S3_lS4_T11_S3_li,"axG",@progbits,_ZL29rocblas_internal_gemmt_kernelIlLi16ELi32ELi8ELc78ELc84ELc76ELb0ELb0EffPKfPfEviT_T9_T10_S3_lS5_S3_lS4_T11_S3_li,comdat
	.globl	_ZL29rocblas_internal_gemmt_kernelIlLi16ELi32ELi8ELc78ELc84ELc76ELb0ELb0EffPKfPfEviT_T9_T10_S3_lS5_S3_lS4_T11_S3_li ; -- Begin function _ZL29rocblas_internal_gemmt_kernelIlLi16ELi32ELi8ELc78ELc84ELc76ELb0ELb0EffPKfPfEviT_T9_T10_S3_lS5_S3_lS4_T11_S3_li
	.p2align	8
	.type	_ZL29rocblas_internal_gemmt_kernelIlLi16ELi32ELi8ELc78ELc84ELc76ELb0ELb0EffPKfPfEviT_T9_T10_S3_lS5_S3_lS4_T11_S3_li,@function
_ZL29rocblas_internal_gemmt_kernelIlLi16ELi32ELi8ELc78ELc84ELc76ELb0ELb0EffPKfPfEviT_T9_T10_S3_lS5_S3_lS4_T11_S3_li: ; @_ZL29rocblas_internal_gemmt_kernelIlLi16ELi32ELi8ELc78ELc84ELc76ELb0ELb0EffPKfPfEviT_T9_T10_S3_lS5_S3_lS4_T11_S3_li
; %bb.0:
	s_clause 0x2
	s_load_dword s9, s[4:5], 0x48
	s_load_dwordx2 s[2:3], s[4:5], 0x8
	s_load_dword s10, s[4:5], 0x10
	s_waitcnt lgkmcnt(0)
	v_cmp_neq_f32_e64 s0, s9, 1.0
	s_and_b32 vcc_lo, exec_lo, s0
	s_cbranch_vccnz .LBB172_2
; %bb.1:
	v_cmp_neq_f32_e64 s0, s10, 0
	s_cmp_lg_u64 s[2:3], 0
	s_cselect_b32 s1, -1, 0
	s_and_b32 s0, s1, s0
.LBB172_2:
	s_andn2_b32 vcc_lo, exec_lo, s0
	s_cbranch_vccnz .LBB172_28
; %bb.3:
	s_load_dword s11, s[4:5], 0x0
	v_cmp_lt_i64_e64 s0, s[2:3], 1
	v_cmp_eq_f32_e64 s1, s10, 0
	v_mov_b32_e32 v8, 0
	v_mov_b32_e32 v4, 0
	;; [unrolled: 1-line block ×4, first 2 shown]
	s_or_b32 s0, s1, s0
	s_lshl_b32 s24, s6, 5
	s_and_b32 vcc_lo, exec_lo, s0
	s_lshl_b32 s25, s7, 5
	s_cbranch_vccnz .LBB172_12
; %bb.4:
	s_clause 0x1
	s_load_dwordx4 s[20:23], s[4:5], 0x38
	s_load_dwordx8 s[12:19], s[4:5], 0x18
	v_lshl_add_u32 v2, v1, 4, v0
	v_and_b32_e32 v5, 7, v0
	v_lshlrev_b32_e32 v16, 2, v0
	v_lshl_add_u32 v17, v1, 5, 0x400
	v_and_b32_e32 v3, 31, v2
	v_lshrrev_b32_e32 v4, 3, v2
	v_lshrrev_b32_e32 v9, 5, v2
	v_lshlrev_b32_e32 v7, 2, v5
	v_or_b32_e32 v2, s24, v3
	v_lshlrev_b32_e32 v3, 2, v3
	v_add_nc_u32_e32 v6, s25, v4
	v_lshl_or_b32 v4, v4, 5, v7
	s_waitcnt lgkmcnt(0)
	v_cmp_gt_i32_e64 s0, s11, v2
	v_lshl_or_b32 v10, v9, 7, v3
	v_ashrrev_i32_e32 v3, 31, v2
	s_mul_i32 s1, s23, s8
	s_mul_hi_u32 s7, s22, s8
	s_mul_i32 s6, s22, s8
	s_add_i32 s7, s7, s1
	v_ashrrev_i32_e32 v7, 31, v6
	s_lshl_b64 s[6:7], s[6:7], 2
	s_mul_i32 s17, s17, s8
	s_mul_hi_u32 s1, s16, s8
	s_add_u32 s18, s18, s6
	s_mul_i32 s16, s16, s8
	s_addc_u32 s19, s19, s7
	s_add_i32 s17, s1, s17
	v_lshlrev_b64 v[2:3], 2, v[2:3]
	s_lshl_b64 s[6:7], s[16:17], 2
	v_lshlrev_b64 v[7:8], 2, v[6:7]
	s_add_u32 s1, s12, s6
	s_addc_u32 s6, s13, s7
	v_add_nc_u32_e32 v13, 0x400, v4
	v_add_co_u32 v11, vcc_lo, s1, v2
	v_add_co_ci_u32_e64 v12, null, s6, v3, vcc_lo
	v_add_co_u32 v14, vcc_lo, s18, v7
	v_cmp_gt_i32_e64 s1, s11, v6
	v_add_co_ci_u32_e64 v15, null, s19, v8, vcc_lo
	v_mov_b32_e32 v3, 0
	v_mov_b32_e32 v6, 0
	;; [unrolled: 1-line block ×5, first 2 shown]
	s_mov_b64 s[6:7], 0
	s_branch .LBB172_6
.LBB172_5:                              ;   in Loop: Header=BB172_6 Depth=1
	s_or_b32 exec_lo, exec_lo, s12
	s_waitcnt vmcnt(0)
	ds_write_b32 v13, v19
	s_waitcnt lgkmcnt(0)
	s_barrier
	buffer_gl0_inv
	ds_read_b128 v[18:21], v17
	ds_read2_b32 v[34:35], v16 offset1:16
	ds_read_b128 v[22:25], v17 offset:512
	ds_read2_b32 v[36:37], v16 offset0:32 offset1:48
	ds_read2_b32 v[38:39], v16 offset0:64 offset1:80
	;; [unrolled: 1-line block ×3, first 2 shown]
	ds_read_b128 v[26:29], v17 offset:16
	ds_read2_b32 v[42:43], v16 offset0:128 offset1:144
	ds_read_b128 v[30:33], v17 offset:528
	ds_read2_b32 v[44:45], v16 offset0:160 offset1:176
	s_add_u32 s6, s6, 8
	s_addc_u32 s7, s7, 0
	v_cmp_gt_i64_e64 s12, s[2:3], s[6:7]
	s_and_b32 vcc_lo, exec_lo, s12
	s_waitcnt lgkmcnt(8)
	v_fmac_f32_e32 v8, v34, v18
	v_fmac_f32_e32 v4, v35, v18
	s_waitcnt lgkmcnt(7)
	v_fmac_f32_e32 v7, v34, v22
	v_fmac_f32_e32 v6, v35, v22
	ds_read2_b32 v[34:35], v16 offset0:192 offset1:208
	s_waitcnt lgkmcnt(7)
	v_fmac_f32_e32 v8, v36, v19
	v_fmac_f32_e32 v4, v37, v19
	;; [unrolled: 1-line block ×4, first 2 shown]
	ds_read2_b32 v[18:19], v16 offset0:224 offset1:240
	s_waitcnt lgkmcnt(7)
	v_fmac_f32_e32 v8, v38, v20
	v_fmac_f32_e32 v4, v39, v20
	v_fmac_f32_e32 v7, v38, v24
	v_fmac_f32_e32 v6, v39, v24
	s_waitcnt lgkmcnt(0)
	v_fmac_f32_e32 v8, v40, v21
	v_fmac_f32_e32 v4, v41, v21
	;; [unrolled: 1-line block ×4, first 2 shown]
	s_barrier
	v_fmac_f32_e32 v8, v42, v26
	v_fmac_f32_e32 v4, v43, v26
	;; [unrolled: 1-line block ×4, first 2 shown]
	buffer_gl0_inv
	v_fmac_f32_e32 v8, v44, v27
	v_fmac_f32_e32 v4, v45, v27
	;; [unrolled: 1-line block ×12, first 2 shown]
	s_cbranch_vccz .LBB172_12
.LBB172_6:                              ; =>This Inner Loop Header: Depth=1
	v_mov_b32_e32 v18, 0
	s_and_saveexec_b32 s12, s0
	s_cbranch_execz .LBB172_10
; %bb.7:                                ;   in Loop: Header=BB172_6 Depth=1
	v_add_nc_u32_e32 v2, s6, v9
	v_mov_b32_e32 v18, 0
	s_mov_b32 s13, exec_lo
	v_cmpx_gt_u64_e64 s[2:3], v[2:3]
	s_cbranch_execz .LBB172_9
; %bb.8:                                ;   in Loop: Header=BB172_6 Depth=1
	v_mad_u64_u32 v[18:19], null, s14, v2, 0
	v_mad_u64_u32 v[19:20], null, s15, v2, v[19:20]
	v_lshlrev_b64 v[18:19], 2, v[18:19]
	v_add_co_u32 v18, vcc_lo, v11, v18
	v_add_co_ci_u32_e64 v19, null, v12, v19, vcc_lo
	global_load_dword v18, v[18:19], off
.LBB172_9:                              ;   in Loop: Header=BB172_6 Depth=1
	s_or_b32 exec_lo, exec_lo, s13
.LBB172_10:                             ;   in Loop: Header=BB172_6 Depth=1
	s_or_b32 exec_lo, exec_lo, s12
	v_add_nc_u32_e32 v2, s6, v5
	v_mov_b32_e32 v19, 0
	s_waitcnt vmcnt(0)
	ds_write_b32 v10, v18
	v_cmp_gt_u64_e32 vcc_lo, s[2:3], v[2:3]
	s_and_b32 s13, vcc_lo, s1
	s_and_saveexec_b32 s12, s13
	s_cbranch_execz .LBB172_5
; %bb.11:                               ;   in Loop: Header=BB172_6 Depth=1
	v_mad_u64_u32 v[18:19], null, s20, v2, 0
	v_mad_u64_u32 v[19:20], null, s21, v2, v[19:20]
	v_lshlrev_b64 v[18:19], 2, v[18:19]
	v_add_co_u32 v18, vcc_lo, v14, v18
	v_add_co_ci_u32_e64 v19, null, v15, v19, vcc_lo
	global_load_dword v19, v[18:19], off
	s_branch .LBB172_5
.LBB172_12:
	s_clause 0x1
	s_load_dwordx4 s[12:15], s[4:5], 0x50
	s_load_dwordx2 s[2:3], s[4:5], 0x60
	v_add_nc_u32_e32 v10, s25, v1
	v_add_nc_u32_e32 v0, s24, v0
	v_ashrrev_i32_e32 v1, 31, v10
	v_cmp_le_i32_e32 vcc_lo, v10, v0
	s_waitcnt lgkmcnt(0)
	v_cmp_gt_i32_e64 s0, s11, v0
	v_mul_lo_u32 v3, s14, v1
	v_mul_lo_u32 v5, s15, v10
	v_mad_u64_u32 v[1:2], null, s14, v10, 0
	s_mul_i32 s1, s3, s8
	s_mul_hi_u32 s3, s2, s8
	s_mul_i32 s2, s2, s8
	s_add_i32 s3, s3, s1
	s_lshl_b64 s[4:5], s[2:3], 2
	v_add3_u32 v2, v2, v3, v5
	v_cmp_neq_f32_e64 s2, s9, 0
	s_add_u32 s3, s12, s4
	s_addc_u32 s4, s13, s5
	s_and_b32 s5, vcc_lo, s0
	v_lshlrev_b64 v[2:3], 2, v[1:2]
	v_ashrrev_i32_e32 v1, 31, v0
	v_cndmask_b32_e64 v9, 0, 1, s2
	v_add_co_u32 v5, s1, s3, v2
	v_add_co_ci_u32_e64 v11, null, s4, v3, s1
	s_and_saveexec_b32 s1, s5
	s_cbranch_execz .LBB172_16
; %bb.13:
	v_lshlrev_b64 v[2:3], 2, v[0:1]
	v_mul_f32_e32 v8, s10, v8
	v_add_co_u32 v2, vcc_lo, v5, v2
	v_add_co_ci_u32_e64 v3, null, v11, v3, vcc_lo
	s_andn2_b32 vcc_lo, exec_lo, s2
	s_cbranch_vccnz .LBB172_15
; %bb.14:
	global_load_dword v12, v[2:3], off
	s_waitcnt vmcnt(0)
	v_fmac_f32_e32 v8, s9, v12
.LBB172_15:
	global_store_dword v[2:3], v8, off
.LBB172_16:
	s_or_b32 exec_lo, exec_lo, s1
	v_add_nc_u32_e32 v2, 16, v0
	v_cmp_le_i32_e32 vcc_lo, v10, v2
	v_cmp_gt_i32_e64 s1, s11, v2
	v_ashrrev_i32_e32 v3, 31, v2
	s_and_b32 s2, vcc_lo, s1
	s_and_saveexec_b32 s5, s2
	s_cbranch_execz .LBB172_20
; %bb.17:
	v_lshlrev_b64 v[12:13], 2, v[2:3]
	v_mul_f32_e32 v8, s10, v4
	v_cmp_ne_u32_e32 vcc_lo, 1, v9
	v_add_co_u32 v4, s2, v5, v12
	v_add_co_ci_u32_e64 v5, null, v11, v13, s2
	s_cbranch_vccnz .LBB172_19
; %bb.18:
	global_load_dword v11, v[4:5], off
	s_waitcnt vmcnt(0)
	v_fmac_f32_e32 v8, s9, v11
.LBB172_19:
	global_store_dword v[4:5], v8, off
.LBB172_20:
	s_or_b32 exec_lo, exec_lo, s5
	v_add_nc_u32_e32 v8, 16, v10
	v_ashrrev_i32_e32 v10, 31, v8
	v_mul_lo_u32 v11, s15, v8
	v_mad_u64_u32 v[4:5], null, s14, v8, 0
	v_cmp_le_i32_e32 vcc_lo, v8, v0
	v_mul_lo_u32 v10, s14, v10
	s_and_b32 s0, vcc_lo, s0
	v_add3_u32 v5, v5, v10, v11
	v_lshlrev_b64 v[4:5], 2, v[4:5]
	v_add_co_u32 v4, s2, s3, v4
	v_add_co_ci_u32_e64 v5, null, s4, v5, s2
	s_and_saveexec_b32 s2, s0
	s_cbranch_execz .LBB172_24
; %bb.21:
	v_lshlrev_b64 v[0:1], 2, v[0:1]
	v_cmp_ne_u32_e32 vcc_lo, 1, v9
	v_mul_f32_e32 v7, s10, v7
	v_add_co_u32 v0, s0, v4, v0
	v_add_co_ci_u32_e64 v1, null, v5, v1, s0
	s_cbranch_vccnz .LBB172_23
; %bb.22:
	global_load_dword v10, v[0:1], off
	s_waitcnt vmcnt(0)
	v_fmac_f32_e32 v7, s9, v10
.LBB172_23:
	global_store_dword v[0:1], v7, off
.LBB172_24:
	s_or_b32 exec_lo, exec_lo, s2
	v_cmp_le_i32_e32 vcc_lo, v8, v2
	s_and_b32 s0, vcc_lo, s1
	s_and_saveexec_b32 s1, s0
	s_cbranch_execz .LBB172_28
; %bb.25:
	v_lshlrev_b64 v[0:1], 2, v[2:3]
	v_cmp_ne_u32_e32 vcc_lo, 1, v9
	v_mul_f32_e32 v2, s10, v6
	v_add_co_u32 v0, s0, v4, v0
	v_add_co_ci_u32_e64 v1, null, v5, v1, s0
	s_cbranch_vccnz .LBB172_27
; %bb.26:
	global_load_dword v3, v[0:1], off
	s_waitcnt vmcnt(0)
	v_fmac_f32_e32 v2, s9, v3
.LBB172_27:
	global_store_dword v[0:1], v2, off
.LBB172_28:
	s_endpgm
	.section	.rodata,"a",@progbits
	.p2align	6, 0x0
	.amdhsa_kernel _ZL29rocblas_internal_gemmt_kernelIlLi16ELi32ELi8ELc78ELc84ELc76ELb0ELb0EffPKfPfEviT_T9_T10_S3_lS5_S3_lS4_T11_S3_li
		.amdhsa_group_segment_fixed_size 2048
		.amdhsa_private_segment_fixed_size 0
		.amdhsa_kernarg_size 108
		.amdhsa_user_sgpr_count 6
		.amdhsa_user_sgpr_private_segment_buffer 1
		.amdhsa_user_sgpr_dispatch_ptr 0
		.amdhsa_user_sgpr_queue_ptr 0
		.amdhsa_user_sgpr_kernarg_segment_ptr 1
		.amdhsa_user_sgpr_dispatch_id 0
		.amdhsa_user_sgpr_flat_scratch_init 0
		.amdhsa_user_sgpr_private_segment_size 0
		.amdhsa_wavefront_size32 1
		.amdhsa_uses_dynamic_stack 0
		.amdhsa_system_sgpr_private_segment_wavefront_offset 0
		.amdhsa_system_sgpr_workgroup_id_x 1
		.amdhsa_system_sgpr_workgroup_id_y 1
		.amdhsa_system_sgpr_workgroup_id_z 1
		.amdhsa_system_sgpr_workgroup_info 0
		.amdhsa_system_vgpr_workitem_id 1
		.amdhsa_next_free_vgpr 46
		.amdhsa_next_free_sgpr 26
		.amdhsa_reserve_vcc 1
		.amdhsa_reserve_flat_scratch 0
		.amdhsa_float_round_mode_32 0
		.amdhsa_float_round_mode_16_64 0
		.amdhsa_float_denorm_mode_32 3
		.amdhsa_float_denorm_mode_16_64 3
		.amdhsa_dx10_clamp 1
		.amdhsa_ieee_mode 1
		.amdhsa_fp16_overflow 0
		.amdhsa_workgroup_processor_mode 1
		.amdhsa_memory_ordered 1
		.amdhsa_forward_progress 1
		.amdhsa_shared_vgpr_count 0
		.amdhsa_exception_fp_ieee_invalid_op 0
		.amdhsa_exception_fp_denorm_src 0
		.amdhsa_exception_fp_ieee_div_zero 0
		.amdhsa_exception_fp_ieee_overflow 0
		.amdhsa_exception_fp_ieee_underflow 0
		.amdhsa_exception_fp_ieee_inexact 0
		.amdhsa_exception_int_div_zero 0
	.end_amdhsa_kernel
	.section	.text._ZL29rocblas_internal_gemmt_kernelIlLi16ELi32ELi8ELc78ELc84ELc76ELb0ELb0EffPKfPfEviT_T9_T10_S3_lS5_S3_lS4_T11_S3_li,"axG",@progbits,_ZL29rocblas_internal_gemmt_kernelIlLi16ELi32ELi8ELc78ELc84ELc76ELb0ELb0EffPKfPfEviT_T9_T10_S3_lS5_S3_lS4_T11_S3_li,comdat
.Lfunc_end172:
	.size	_ZL29rocblas_internal_gemmt_kernelIlLi16ELi32ELi8ELc78ELc84ELc76ELb0ELb0EffPKfPfEviT_T9_T10_S3_lS5_S3_lS4_T11_S3_li, .Lfunc_end172-_ZL29rocblas_internal_gemmt_kernelIlLi16ELi32ELi8ELc78ELc84ELc76ELb0ELb0EffPKfPfEviT_T9_T10_S3_lS5_S3_lS4_T11_S3_li
                                        ; -- End function
	.set _ZL29rocblas_internal_gemmt_kernelIlLi16ELi32ELi8ELc78ELc84ELc76ELb0ELb0EffPKfPfEviT_T9_T10_S3_lS5_S3_lS4_T11_S3_li.num_vgpr, 46
	.set _ZL29rocblas_internal_gemmt_kernelIlLi16ELi32ELi8ELc78ELc84ELc76ELb0ELb0EffPKfPfEviT_T9_T10_S3_lS5_S3_lS4_T11_S3_li.num_agpr, 0
	.set _ZL29rocblas_internal_gemmt_kernelIlLi16ELi32ELi8ELc78ELc84ELc76ELb0ELb0EffPKfPfEviT_T9_T10_S3_lS5_S3_lS4_T11_S3_li.numbered_sgpr, 26
	.set _ZL29rocblas_internal_gemmt_kernelIlLi16ELi32ELi8ELc78ELc84ELc76ELb0ELb0EffPKfPfEviT_T9_T10_S3_lS5_S3_lS4_T11_S3_li.num_named_barrier, 0
	.set _ZL29rocblas_internal_gemmt_kernelIlLi16ELi32ELi8ELc78ELc84ELc76ELb0ELb0EffPKfPfEviT_T9_T10_S3_lS5_S3_lS4_T11_S3_li.private_seg_size, 0
	.set _ZL29rocblas_internal_gemmt_kernelIlLi16ELi32ELi8ELc78ELc84ELc76ELb0ELb0EffPKfPfEviT_T9_T10_S3_lS5_S3_lS4_T11_S3_li.uses_vcc, 1
	.set _ZL29rocblas_internal_gemmt_kernelIlLi16ELi32ELi8ELc78ELc84ELc76ELb0ELb0EffPKfPfEviT_T9_T10_S3_lS5_S3_lS4_T11_S3_li.uses_flat_scratch, 0
	.set _ZL29rocblas_internal_gemmt_kernelIlLi16ELi32ELi8ELc78ELc84ELc76ELb0ELb0EffPKfPfEviT_T9_T10_S3_lS5_S3_lS4_T11_S3_li.has_dyn_sized_stack, 0
	.set _ZL29rocblas_internal_gemmt_kernelIlLi16ELi32ELi8ELc78ELc84ELc76ELb0ELb0EffPKfPfEviT_T9_T10_S3_lS5_S3_lS4_T11_S3_li.has_recursion, 0
	.set _ZL29rocblas_internal_gemmt_kernelIlLi16ELi32ELi8ELc78ELc84ELc76ELb0ELb0EffPKfPfEviT_T9_T10_S3_lS5_S3_lS4_T11_S3_li.has_indirect_call, 0
	.section	.AMDGPU.csdata,"",@progbits
; Kernel info:
; codeLenInByte = 1436
; TotalNumSgprs: 28
; NumVgprs: 46
; ScratchSize: 0
; MemoryBound: 0
; FloatMode: 240
; IeeeMode: 1
; LDSByteSize: 2048 bytes/workgroup (compile time only)
; SGPRBlocks: 0
; VGPRBlocks: 5
; NumSGPRsForWavesPerEU: 28
; NumVGPRsForWavesPerEU: 46
; Occupancy: 16
; WaveLimiterHint : 0
; COMPUTE_PGM_RSRC2:SCRATCH_EN: 0
; COMPUTE_PGM_RSRC2:USER_SGPR: 6
; COMPUTE_PGM_RSRC2:TRAP_HANDLER: 0
; COMPUTE_PGM_RSRC2:TGID_X_EN: 1
; COMPUTE_PGM_RSRC2:TGID_Y_EN: 1
; COMPUTE_PGM_RSRC2:TGID_Z_EN: 1
; COMPUTE_PGM_RSRC2:TIDIG_COMP_CNT: 1
	.section	.text._ZL29rocblas_internal_gemmt_kernelIlLi16ELi32ELi8ELc78ELc67ELc76ELb0ELb0EffPKfPfEviT_T9_T10_S3_lS5_S3_lS4_T11_S3_li,"axG",@progbits,_ZL29rocblas_internal_gemmt_kernelIlLi16ELi32ELi8ELc78ELc67ELc76ELb0ELb0EffPKfPfEviT_T9_T10_S3_lS5_S3_lS4_T11_S3_li,comdat
	.globl	_ZL29rocblas_internal_gemmt_kernelIlLi16ELi32ELi8ELc78ELc67ELc76ELb0ELb0EffPKfPfEviT_T9_T10_S3_lS5_S3_lS4_T11_S3_li ; -- Begin function _ZL29rocblas_internal_gemmt_kernelIlLi16ELi32ELi8ELc78ELc67ELc76ELb0ELb0EffPKfPfEviT_T9_T10_S3_lS5_S3_lS4_T11_S3_li
	.p2align	8
	.type	_ZL29rocblas_internal_gemmt_kernelIlLi16ELi32ELi8ELc78ELc67ELc76ELb0ELb0EffPKfPfEviT_T9_T10_S3_lS5_S3_lS4_T11_S3_li,@function
_ZL29rocblas_internal_gemmt_kernelIlLi16ELi32ELi8ELc78ELc67ELc76ELb0ELb0EffPKfPfEviT_T9_T10_S3_lS5_S3_lS4_T11_S3_li: ; @_ZL29rocblas_internal_gemmt_kernelIlLi16ELi32ELi8ELc78ELc67ELc76ELb0ELb0EffPKfPfEviT_T9_T10_S3_lS5_S3_lS4_T11_S3_li
; %bb.0:
	s_clause 0x2
	s_load_dword s9, s[4:5], 0x48
	s_load_dwordx2 s[2:3], s[4:5], 0x8
	s_load_dword s10, s[4:5], 0x10
	s_waitcnt lgkmcnt(0)
	v_cmp_neq_f32_e64 s0, s9, 1.0
	s_and_b32 vcc_lo, exec_lo, s0
	s_cbranch_vccnz .LBB173_2
; %bb.1:
	v_cmp_neq_f32_e64 s0, s10, 0
	s_cmp_lg_u64 s[2:3], 0
	s_cselect_b32 s1, -1, 0
	s_and_b32 s0, s1, s0
.LBB173_2:
	s_andn2_b32 vcc_lo, exec_lo, s0
	s_cbranch_vccnz .LBB173_28
; %bb.3:
	s_load_dword s11, s[4:5], 0x0
	v_cmp_lt_i64_e64 s0, s[2:3], 1
	v_cmp_eq_f32_e64 s1, s10, 0
	v_mov_b32_e32 v8, 0
	v_mov_b32_e32 v4, 0
	;; [unrolled: 1-line block ×4, first 2 shown]
	s_or_b32 s0, s1, s0
	s_lshl_b32 s24, s6, 5
	s_and_b32 vcc_lo, exec_lo, s0
	s_lshl_b32 s25, s7, 5
	s_cbranch_vccnz .LBB173_12
; %bb.4:
	s_clause 0x1
	s_load_dwordx4 s[20:23], s[4:5], 0x38
	s_load_dwordx8 s[12:19], s[4:5], 0x18
	v_lshl_add_u32 v2, v1, 4, v0
	v_and_b32_e32 v5, 7, v0
	v_lshlrev_b32_e32 v16, 2, v0
	v_lshl_add_u32 v17, v1, 5, 0x400
	v_and_b32_e32 v3, 31, v2
	v_lshrrev_b32_e32 v4, 3, v2
	v_lshrrev_b32_e32 v9, 5, v2
	v_lshlrev_b32_e32 v7, 2, v5
	v_or_b32_e32 v2, s24, v3
	v_lshlrev_b32_e32 v3, 2, v3
	v_add_nc_u32_e32 v6, s25, v4
	v_lshl_or_b32 v4, v4, 5, v7
	s_waitcnt lgkmcnt(0)
	v_cmp_gt_i32_e64 s0, s11, v2
	v_lshl_or_b32 v10, v9, 7, v3
	v_ashrrev_i32_e32 v3, 31, v2
	s_mul_i32 s1, s23, s8
	s_mul_hi_u32 s7, s22, s8
	s_mul_i32 s6, s22, s8
	s_add_i32 s7, s7, s1
	v_ashrrev_i32_e32 v7, 31, v6
	s_lshl_b64 s[6:7], s[6:7], 2
	s_mul_i32 s17, s17, s8
	s_mul_hi_u32 s1, s16, s8
	s_add_u32 s18, s18, s6
	s_mul_i32 s16, s16, s8
	s_addc_u32 s19, s19, s7
	s_add_i32 s17, s1, s17
	v_lshlrev_b64 v[2:3], 2, v[2:3]
	s_lshl_b64 s[6:7], s[16:17], 2
	v_lshlrev_b64 v[7:8], 2, v[6:7]
	s_add_u32 s1, s12, s6
	s_addc_u32 s6, s13, s7
	v_add_nc_u32_e32 v13, 0x400, v4
	v_add_co_u32 v11, vcc_lo, s1, v2
	v_add_co_ci_u32_e64 v12, null, s6, v3, vcc_lo
	v_add_co_u32 v14, vcc_lo, s18, v7
	v_cmp_gt_i32_e64 s1, s11, v6
	v_add_co_ci_u32_e64 v15, null, s19, v8, vcc_lo
	v_mov_b32_e32 v3, 0
	v_mov_b32_e32 v6, 0
	;; [unrolled: 1-line block ×5, first 2 shown]
	s_mov_b64 s[6:7], 0
	s_branch .LBB173_6
.LBB173_5:                              ;   in Loop: Header=BB173_6 Depth=1
	s_or_b32 exec_lo, exec_lo, s12
	s_waitcnt vmcnt(0)
	ds_write_b32 v13, v19
	s_waitcnt lgkmcnt(0)
	s_barrier
	buffer_gl0_inv
	ds_read_b128 v[18:21], v17
	ds_read2_b32 v[34:35], v16 offset1:16
	ds_read_b128 v[22:25], v17 offset:512
	ds_read2_b32 v[36:37], v16 offset0:32 offset1:48
	ds_read2_b32 v[38:39], v16 offset0:64 offset1:80
	;; [unrolled: 1-line block ×3, first 2 shown]
	ds_read_b128 v[26:29], v17 offset:16
	ds_read2_b32 v[42:43], v16 offset0:128 offset1:144
	ds_read_b128 v[30:33], v17 offset:528
	ds_read2_b32 v[44:45], v16 offset0:160 offset1:176
	s_add_u32 s6, s6, 8
	s_addc_u32 s7, s7, 0
	v_cmp_gt_i64_e64 s12, s[2:3], s[6:7]
	s_and_b32 vcc_lo, exec_lo, s12
	s_waitcnt lgkmcnt(8)
	v_fmac_f32_e32 v8, v34, v18
	v_fmac_f32_e32 v4, v35, v18
	s_waitcnt lgkmcnt(7)
	v_fmac_f32_e32 v7, v34, v22
	v_fmac_f32_e32 v6, v35, v22
	ds_read2_b32 v[34:35], v16 offset0:192 offset1:208
	s_waitcnt lgkmcnt(7)
	v_fmac_f32_e32 v8, v36, v19
	v_fmac_f32_e32 v4, v37, v19
	;; [unrolled: 1-line block ×4, first 2 shown]
	ds_read2_b32 v[18:19], v16 offset0:224 offset1:240
	s_waitcnt lgkmcnt(7)
	v_fmac_f32_e32 v8, v38, v20
	v_fmac_f32_e32 v4, v39, v20
	;; [unrolled: 1-line block ×4, first 2 shown]
	s_waitcnt lgkmcnt(0)
	v_fmac_f32_e32 v8, v40, v21
	v_fmac_f32_e32 v4, v41, v21
	v_fmac_f32_e32 v7, v40, v25
	v_fmac_f32_e32 v6, v41, v25
	s_barrier
	v_fmac_f32_e32 v8, v42, v26
	v_fmac_f32_e32 v4, v43, v26
	;; [unrolled: 1-line block ×4, first 2 shown]
	buffer_gl0_inv
	v_fmac_f32_e32 v8, v44, v27
	v_fmac_f32_e32 v4, v45, v27
	v_fmac_f32_e32 v7, v44, v31
	v_fmac_f32_e32 v6, v45, v31
	v_fmac_f32_e32 v8, v34, v28
	v_fmac_f32_e32 v4, v35, v28
	v_fmac_f32_e32 v7, v34, v32
	v_fmac_f32_e32 v6, v35, v32
	v_fmac_f32_e32 v8, v18, v29
	v_fmac_f32_e32 v4, v19, v29
	v_fmac_f32_e32 v7, v18, v33
	v_fmac_f32_e32 v6, v19, v33
	s_cbranch_vccz .LBB173_12
.LBB173_6:                              ; =>This Inner Loop Header: Depth=1
	v_mov_b32_e32 v18, 0
	s_and_saveexec_b32 s12, s0
	s_cbranch_execz .LBB173_10
; %bb.7:                                ;   in Loop: Header=BB173_6 Depth=1
	v_add_nc_u32_e32 v2, s6, v9
	v_mov_b32_e32 v18, 0
	s_mov_b32 s13, exec_lo
	v_cmpx_gt_u64_e64 s[2:3], v[2:3]
	s_cbranch_execz .LBB173_9
; %bb.8:                                ;   in Loop: Header=BB173_6 Depth=1
	v_mad_u64_u32 v[18:19], null, s14, v2, 0
	v_mad_u64_u32 v[19:20], null, s15, v2, v[19:20]
	v_lshlrev_b64 v[18:19], 2, v[18:19]
	v_add_co_u32 v18, vcc_lo, v11, v18
	v_add_co_ci_u32_e64 v19, null, v12, v19, vcc_lo
	global_load_dword v18, v[18:19], off
.LBB173_9:                              ;   in Loop: Header=BB173_6 Depth=1
	s_or_b32 exec_lo, exec_lo, s13
.LBB173_10:                             ;   in Loop: Header=BB173_6 Depth=1
	s_or_b32 exec_lo, exec_lo, s12
	v_add_nc_u32_e32 v2, s6, v5
	v_mov_b32_e32 v19, 0
	s_waitcnt vmcnt(0)
	ds_write_b32 v10, v18
	v_cmp_gt_u64_e32 vcc_lo, s[2:3], v[2:3]
	s_and_b32 s13, vcc_lo, s1
	s_and_saveexec_b32 s12, s13
	s_cbranch_execz .LBB173_5
; %bb.11:                               ;   in Loop: Header=BB173_6 Depth=1
	v_mad_u64_u32 v[18:19], null, s20, v2, 0
	v_mad_u64_u32 v[19:20], null, s21, v2, v[19:20]
	v_lshlrev_b64 v[18:19], 2, v[18:19]
	v_add_co_u32 v18, vcc_lo, v14, v18
	v_add_co_ci_u32_e64 v19, null, v15, v19, vcc_lo
	global_load_dword v19, v[18:19], off
	s_branch .LBB173_5
.LBB173_12:
	s_clause 0x1
	s_load_dwordx4 s[12:15], s[4:5], 0x50
	s_load_dwordx2 s[2:3], s[4:5], 0x60
	v_add_nc_u32_e32 v10, s25, v1
	v_add_nc_u32_e32 v0, s24, v0
	v_ashrrev_i32_e32 v1, 31, v10
	v_cmp_le_i32_e32 vcc_lo, v10, v0
	s_waitcnt lgkmcnt(0)
	v_cmp_gt_i32_e64 s0, s11, v0
	v_mul_lo_u32 v3, s14, v1
	v_mul_lo_u32 v5, s15, v10
	v_mad_u64_u32 v[1:2], null, s14, v10, 0
	s_mul_i32 s1, s3, s8
	s_mul_hi_u32 s3, s2, s8
	s_mul_i32 s2, s2, s8
	s_add_i32 s3, s3, s1
	s_lshl_b64 s[4:5], s[2:3], 2
	v_add3_u32 v2, v2, v3, v5
	v_cmp_neq_f32_e64 s2, s9, 0
	s_add_u32 s3, s12, s4
	s_addc_u32 s4, s13, s5
	s_and_b32 s5, vcc_lo, s0
	v_lshlrev_b64 v[2:3], 2, v[1:2]
	v_ashrrev_i32_e32 v1, 31, v0
	v_cndmask_b32_e64 v9, 0, 1, s2
	v_add_co_u32 v5, s1, s3, v2
	v_add_co_ci_u32_e64 v11, null, s4, v3, s1
	s_and_saveexec_b32 s1, s5
	s_cbranch_execz .LBB173_16
; %bb.13:
	v_lshlrev_b64 v[2:3], 2, v[0:1]
	v_mul_f32_e32 v8, s10, v8
	v_add_co_u32 v2, vcc_lo, v5, v2
	v_add_co_ci_u32_e64 v3, null, v11, v3, vcc_lo
	s_andn2_b32 vcc_lo, exec_lo, s2
	s_cbranch_vccnz .LBB173_15
; %bb.14:
	global_load_dword v12, v[2:3], off
	s_waitcnt vmcnt(0)
	v_fmac_f32_e32 v8, s9, v12
.LBB173_15:
	global_store_dword v[2:3], v8, off
.LBB173_16:
	s_or_b32 exec_lo, exec_lo, s1
	v_add_nc_u32_e32 v2, 16, v0
	v_cmp_le_i32_e32 vcc_lo, v10, v2
	v_cmp_gt_i32_e64 s1, s11, v2
	v_ashrrev_i32_e32 v3, 31, v2
	s_and_b32 s2, vcc_lo, s1
	s_and_saveexec_b32 s5, s2
	s_cbranch_execz .LBB173_20
; %bb.17:
	v_lshlrev_b64 v[12:13], 2, v[2:3]
	v_mul_f32_e32 v8, s10, v4
	v_cmp_ne_u32_e32 vcc_lo, 1, v9
	v_add_co_u32 v4, s2, v5, v12
	v_add_co_ci_u32_e64 v5, null, v11, v13, s2
	s_cbranch_vccnz .LBB173_19
; %bb.18:
	global_load_dword v11, v[4:5], off
	s_waitcnt vmcnt(0)
	v_fmac_f32_e32 v8, s9, v11
.LBB173_19:
	global_store_dword v[4:5], v8, off
.LBB173_20:
	s_or_b32 exec_lo, exec_lo, s5
	v_add_nc_u32_e32 v8, 16, v10
	v_ashrrev_i32_e32 v10, 31, v8
	v_mul_lo_u32 v11, s15, v8
	v_mad_u64_u32 v[4:5], null, s14, v8, 0
	v_cmp_le_i32_e32 vcc_lo, v8, v0
	v_mul_lo_u32 v10, s14, v10
	s_and_b32 s0, vcc_lo, s0
	v_add3_u32 v5, v5, v10, v11
	v_lshlrev_b64 v[4:5], 2, v[4:5]
	v_add_co_u32 v4, s2, s3, v4
	v_add_co_ci_u32_e64 v5, null, s4, v5, s2
	s_and_saveexec_b32 s2, s0
	s_cbranch_execz .LBB173_24
; %bb.21:
	v_lshlrev_b64 v[0:1], 2, v[0:1]
	v_cmp_ne_u32_e32 vcc_lo, 1, v9
	v_mul_f32_e32 v7, s10, v7
	v_add_co_u32 v0, s0, v4, v0
	v_add_co_ci_u32_e64 v1, null, v5, v1, s0
	s_cbranch_vccnz .LBB173_23
; %bb.22:
	global_load_dword v10, v[0:1], off
	s_waitcnt vmcnt(0)
	v_fmac_f32_e32 v7, s9, v10
.LBB173_23:
	global_store_dword v[0:1], v7, off
.LBB173_24:
	s_or_b32 exec_lo, exec_lo, s2
	v_cmp_le_i32_e32 vcc_lo, v8, v2
	s_and_b32 s0, vcc_lo, s1
	s_and_saveexec_b32 s1, s0
	s_cbranch_execz .LBB173_28
; %bb.25:
	v_lshlrev_b64 v[0:1], 2, v[2:3]
	v_cmp_ne_u32_e32 vcc_lo, 1, v9
	v_mul_f32_e32 v2, s10, v6
	v_add_co_u32 v0, s0, v4, v0
	v_add_co_ci_u32_e64 v1, null, v5, v1, s0
	s_cbranch_vccnz .LBB173_27
; %bb.26:
	global_load_dword v3, v[0:1], off
	s_waitcnt vmcnt(0)
	v_fmac_f32_e32 v2, s9, v3
.LBB173_27:
	global_store_dword v[0:1], v2, off
.LBB173_28:
	s_endpgm
	.section	.rodata,"a",@progbits
	.p2align	6, 0x0
	.amdhsa_kernel _ZL29rocblas_internal_gemmt_kernelIlLi16ELi32ELi8ELc78ELc67ELc76ELb0ELb0EffPKfPfEviT_T9_T10_S3_lS5_S3_lS4_T11_S3_li
		.amdhsa_group_segment_fixed_size 2048
		.amdhsa_private_segment_fixed_size 0
		.amdhsa_kernarg_size 108
		.amdhsa_user_sgpr_count 6
		.amdhsa_user_sgpr_private_segment_buffer 1
		.amdhsa_user_sgpr_dispatch_ptr 0
		.amdhsa_user_sgpr_queue_ptr 0
		.amdhsa_user_sgpr_kernarg_segment_ptr 1
		.amdhsa_user_sgpr_dispatch_id 0
		.amdhsa_user_sgpr_flat_scratch_init 0
		.amdhsa_user_sgpr_private_segment_size 0
		.amdhsa_wavefront_size32 1
		.amdhsa_uses_dynamic_stack 0
		.amdhsa_system_sgpr_private_segment_wavefront_offset 0
		.amdhsa_system_sgpr_workgroup_id_x 1
		.amdhsa_system_sgpr_workgroup_id_y 1
		.amdhsa_system_sgpr_workgroup_id_z 1
		.amdhsa_system_sgpr_workgroup_info 0
		.amdhsa_system_vgpr_workitem_id 1
		.amdhsa_next_free_vgpr 46
		.amdhsa_next_free_sgpr 26
		.amdhsa_reserve_vcc 1
		.amdhsa_reserve_flat_scratch 0
		.amdhsa_float_round_mode_32 0
		.amdhsa_float_round_mode_16_64 0
		.amdhsa_float_denorm_mode_32 3
		.amdhsa_float_denorm_mode_16_64 3
		.amdhsa_dx10_clamp 1
		.amdhsa_ieee_mode 1
		.amdhsa_fp16_overflow 0
		.amdhsa_workgroup_processor_mode 1
		.amdhsa_memory_ordered 1
		.amdhsa_forward_progress 1
		.amdhsa_shared_vgpr_count 0
		.amdhsa_exception_fp_ieee_invalid_op 0
		.amdhsa_exception_fp_denorm_src 0
		.amdhsa_exception_fp_ieee_div_zero 0
		.amdhsa_exception_fp_ieee_overflow 0
		.amdhsa_exception_fp_ieee_underflow 0
		.amdhsa_exception_fp_ieee_inexact 0
		.amdhsa_exception_int_div_zero 0
	.end_amdhsa_kernel
	.section	.text._ZL29rocblas_internal_gemmt_kernelIlLi16ELi32ELi8ELc78ELc67ELc76ELb0ELb0EffPKfPfEviT_T9_T10_S3_lS5_S3_lS4_T11_S3_li,"axG",@progbits,_ZL29rocblas_internal_gemmt_kernelIlLi16ELi32ELi8ELc78ELc67ELc76ELb0ELb0EffPKfPfEviT_T9_T10_S3_lS5_S3_lS4_T11_S3_li,comdat
.Lfunc_end173:
	.size	_ZL29rocblas_internal_gemmt_kernelIlLi16ELi32ELi8ELc78ELc67ELc76ELb0ELb0EffPKfPfEviT_T9_T10_S3_lS5_S3_lS4_T11_S3_li, .Lfunc_end173-_ZL29rocblas_internal_gemmt_kernelIlLi16ELi32ELi8ELc78ELc67ELc76ELb0ELb0EffPKfPfEviT_T9_T10_S3_lS5_S3_lS4_T11_S3_li
                                        ; -- End function
	.set _ZL29rocblas_internal_gemmt_kernelIlLi16ELi32ELi8ELc78ELc67ELc76ELb0ELb0EffPKfPfEviT_T9_T10_S3_lS5_S3_lS4_T11_S3_li.num_vgpr, 46
	.set _ZL29rocblas_internal_gemmt_kernelIlLi16ELi32ELi8ELc78ELc67ELc76ELb0ELb0EffPKfPfEviT_T9_T10_S3_lS5_S3_lS4_T11_S3_li.num_agpr, 0
	.set _ZL29rocblas_internal_gemmt_kernelIlLi16ELi32ELi8ELc78ELc67ELc76ELb0ELb0EffPKfPfEviT_T9_T10_S3_lS5_S3_lS4_T11_S3_li.numbered_sgpr, 26
	.set _ZL29rocblas_internal_gemmt_kernelIlLi16ELi32ELi8ELc78ELc67ELc76ELb0ELb0EffPKfPfEviT_T9_T10_S3_lS5_S3_lS4_T11_S3_li.num_named_barrier, 0
	.set _ZL29rocblas_internal_gemmt_kernelIlLi16ELi32ELi8ELc78ELc67ELc76ELb0ELb0EffPKfPfEviT_T9_T10_S3_lS5_S3_lS4_T11_S3_li.private_seg_size, 0
	.set _ZL29rocblas_internal_gemmt_kernelIlLi16ELi32ELi8ELc78ELc67ELc76ELb0ELb0EffPKfPfEviT_T9_T10_S3_lS5_S3_lS4_T11_S3_li.uses_vcc, 1
	.set _ZL29rocblas_internal_gemmt_kernelIlLi16ELi32ELi8ELc78ELc67ELc76ELb0ELb0EffPKfPfEviT_T9_T10_S3_lS5_S3_lS4_T11_S3_li.uses_flat_scratch, 0
	.set _ZL29rocblas_internal_gemmt_kernelIlLi16ELi32ELi8ELc78ELc67ELc76ELb0ELb0EffPKfPfEviT_T9_T10_S3_lS5_S3_lS4_T11_S3_li.has_dyn_sized_stack, 0
	.set _ZL29rocblas_internal_gemmt_kernelIlLi16ELi32ELi8ELc78ELc67ELc76ELb0ELb0EffPKfPfEviT_T9_T10_S3_lS5_S3_lS4_T11_S3_li.has_recursion, 0
	.set _ZL29rocblas_internal_gemmt_kernelIlLi16ELi32ELi8ELc78ELc67ELc76ELb0ELb0EffPKfPfEviT_T9_T10_S3_lS5_S3_lS4_T11_S3_li.has_indirect_call, 0
	.section	.AMDGPU.csdata,"",@progbits
; Kernel info:
; codeLenInByte = 1436
; TotalNumSgprs: 28
; NumVgprs: 46
; ScratchSize: 0
; MemoryBound: 0
; FloatMode: 240
; IeeeMode: 1
; LDSByteSize: 2048 bytes/workgroup (compile time only)
; SGPRBlocks: 0
; VGPRBlocks: 5
; NumSGPRsForWavesPerEU: 28
; NumVGPRsForWavesPerEU: 46
; Occupancy: 16
; WaveLimiterHint : 0
; COMPUTE_PGM_RSRC2:SCRATCH_EN: 0
; COMPUTE_PGM_RSRC2:USER_SGPR: 6
; COMPUTE_PGM_RSRC2:TRAP_HANDLER: 0
; COMPUTE_PGM_RSRC2:TGID_X_EN: 1
; COMPUTE_PGM_RSRC2:TGID_Y_EN: 1
; COMPUTE_PGM_RSRC2:TGID_Z_EN: 1
; COMPUTE_PGM_RSRC2:TIDIG_COMP_CNT: 1
	.section	.text._ZL29rocblas_internal_gemmt_kernelIlLi16ELi32ELi8ELc84ELc78ELc76ELb0ELb0EffPKfPfEviT_T9_T10_S3_lS5_S3_lS4_T11_S3_li,"axG",@progbits,_ZL29rocblas_internal_gemmt_kernelIlLi16ELi32ELi8ELc84ELc78ELc76ELb0ELb0EffPKfPfEviT_T9_T10_S3_lS5_S3_lS4_T11_S3_li,comdat
	.globl	_ZL29rocblas_internal_gemmt_kernelIlLi16ELi32ELi8ELc84ELc78ELc76ELb0ELb0EffPKfPfEviT_T9_T10_S3_lS5_S3_lS4_T11_S3_li ; -- Begin function _ZL29rocblas_internal_gemmt_kernelIlLi16ELi32ELi8ELc84ELc78ELc76ELb0ELb0EffPKfPfEviT_T9_T10_S3_lS5_S3_lS4_T11_S3_li
	.p2align	8
	.type	_ZL29rocblas_internal_gemmt_kernelIlLi16ELi32ELi8ELc84ELc78ELc76ELb0ELb0EffPKfPfEviT_T9_T10_S3_lS5_S3_lS4_T11_S3_li,@function
_ZL29rocblas_internal_gemmt_kernelIlLi16ELi32ELi8ELc84ELc78ELc76ELb0ELb0EffPKfPfEviT_T9_T10_S3_lS5_S3_lS4_T11_S3_li: ; @_ZL29rocblas_internal_gemmt_kernelIlLi16ELi32ELi8ELc84ELc78ELc76ELb0ELb0EffPKfPfEviT_T9_T10_S3_lS5_S3_lS4_T11_S3_li
; %bb.0:
	s_clause 0x2
	s_load_dword s9, s[4:5], 0x48
	s_load_dwordx2 s[10:11], s[4:5], 0x8
	s_load_dword s20, s[4:5], 0x10
	s_waitcnt lgkmcnt(0)
	v_cmp_neq_f32_e64 s0, s9, 1.0
	s_and_b32 vcc_lo, exec_lo, s0
	s_cbranch_vccnz .LBB174_2
; %bb.1:
	v_cmp_neq_f32_e64 s0, s20, 0
	s_cmp_lg_u64 s[10:11], 0
	s_cselect_b32 s1, -1, 0
	s_and_b32 s0, s1, s0
.LBB174_2:
	s_andn2_b32 vcc_lo, exec_lo, s0
	s_cbranch_vccnz .LBB174_28
; %bb.3:
	s_load_dword s21, s[4:5], 0x0
	v_cmp_lt_i64_e64 s0, s[10:11], 1
	v_cmp_eq_f32_e64 s1, s20, 0
	v_mov_b32_e32 v8, 0
	v_mov_b32_e32 v4, 0
	;; [unrolled: 1-line block ×4, first 2 shown]
	s_or_b32 s0, s1, s0
	s_lshl_b32 s6, s6, 5
	s_and_b32 vcc_lo, exec_lo, s0
	s_lshl_b32 s7, s7, 5
	s_cbranch_vccnz .LBB174_12
; %bb.4:
	s_clause 0x1
	s_load_dwordx4 s[0:3], s[4:5], 0x38
	s_load_dwordx8 s[12:19], s[4:5], 0x18
	v_lshl_add_u32 v4, v1, 4, v0
	v_and_b32_e32 v5, 7, v0
	v_lshl_add_u32 v17, v1, 5, 0x400
	v_lshrrev_b32_e32 v8, 3, v4
	v_and_b32_e32 v10, 31, v4
	v_lshlrev_b32_e32 v16, 2, v5
	v_lshrrev_b32_e32 v9, 5, v4
	v_add_nc_u32_e32 v11, s7, v8
	v_or_b32_e32 v12, s6, v10
	v_lshlrev_b32_e32 v4, 2, v10
	v_lshl_or_b32 v8, v8, 5, v16
	v_lshlrev_b32_e32 v16, 2, v0
	v_ashrrev_i32_e32 v6, 31, v11
	v_lshl_or_b32 v10, v9, 7, v4
	s_waitcnt lgkmcnt(0)
	s_mul_i32 s3, s3, s8
	s_mul_hi_u32 s22, s2, s8
	s_mul_i32 s2, s2, s8
	s_add_i32 s3, s22, s3
	s_mul_i32 s17, s17, s8
	s_lshl_b64 s[2:3], s[2:3], 2
	s_mul_hi_u32 s23, s16, s8
	v_mul_lo_u32 v13, s15, v12
	s_add_u32 s15, s18, s2
	s_mul_i32 s16, s16, s8
	s_addc_u32 s18, s19, s3
	s_add_i32 s17, s23, s17
	v_mad_u64_u32 v[2:3], null, s14, v12, 0
	s_lshl_b64 s[2:3], s[16:17], 2
	v_mul_lo_u32 v14, s0, v6
	v_mul_lo_u32 v15, s1, v11
	v_mad_u64_u32 v[6:7], null, s0, v11, 0
	s_add_u32 s2, s12, s2
	s_addc_u32 s3, s13, s3
	s_ashr_i32 s0, s6, 31
	v_cmp_gt_i32_e64 s1, s21, v11
	s_mul_i32 s0, s14, s0
	v_add_nc_u32_e32 v11, 0x400, v8
	v_add3_u32 v3, v3, s0, v13
	v_add3_u32 v7, v7, v14, v15
	v_cmp_gt_i32_e64 s0, s21, v12
	v_mov_b32_e32 v4, 0
	v_mov_b32_e32 v8, 0
	v_lshlrev_b64 v[2:3], 2, v[2:3]
	v_lshlrev_b64 v[6:7], 2, v[6:7]
	v_add_co_u32 v12, vcc_lo, s2, v2
	v_add_co_ci_u32_e64 v13, null, s3, v3, vcc_lo
	v_add_co_u32 v14, vcc_lo, s15, v6
	v_add_co_ci_u32_e64 v15, null, s18, v7, vcc_lo
	v_mov_b32_e32 v3, 0
	v_mov_b32_e32 v6, 0
	;; [unrolled: 1-line block ×3, first 2 shown]
	s_mov_b64 s[2:3], 0
	s_branch .LBB174_6
.LBB174_5:                              ;   in Loop: Header=BB174_6 Depth=1
	s_or_b32 exec_lo, exec_lo, s12
	s_waitcnt vmcnt(0)
	ds_write_b32 v11, v19
	s_waitcnt lgkmcnt(0)
	s_barrier
	buffer_gl0_inv
	ds_read_b128 v[18:21], v17
	ds_read2_b32 v[34:35], v16 offset1:16
	ds_read_b128 v[22:25], v17 offset:512
	ds_read2_b32 v[36:37], v16 offset0:32 offset1:48
	ds_read2_b32 v[38:39], v16 offset0:64 offset1:80
	;; [unrolled: 1-line block ×3, first 2 shown]
	ds_read_b128 v[26:29], v17 offset:16
	ds_read2_b32 v[42:43], v16 offset0:128 offset1:144
	ds_read_b128 v[30:33], v17 offset:528
	ds_read2_b32 v[44:45], v16 offset0:160 offset1:176
	s_add_u32 s2, s2, 8
	s_addc_u32 s3, s3, 0
	v_cmp_gt_i64_e64 s12, s[10:11], s[2:3]
	s_and_b32 vcc_lo, exec_lo, s12
	s_waitcnt lgkmcnt(8)
	v_fmac_f32_e32 v8, v34, v18
	v_fmac_f32_e32 v4, v35, v18
	s_waitcnt lgkmcnt(7)
	v_fmac_f32_e32 v7, v34, v22
	v_fmac_f32_e32 v6, v35, v22
	ds_read2_b32 v[34:35], v16 offset0:192 offset1:208
	s_waitcnt lgkmcnt(7)
	v_fmac_f32_e32 v8, v36, v19
	v_fmac_f32_e32 v4, v37, v19
	;; [unrolled: 1-line block ×4, first 2 shown]
	ds_read2_b32 v[18:19], v16 offset0:224 offset1:240
	s_waitcnt lgkmcnt(7)
	v_fmac_f32_e32 v8, v38, v20
	v_fmac_f32_e32 v4, v39, v20
	;; [unrolled: 1-line block ×4, first 2 shown]
	s_waitcnt lgkmcnt(0)
	v_fmac_f32_e32 v8, v40, v21
	v_fmac_f32_e32 v4, v41, v21
	;; [unrolled: 1-line block ×4, first 2 shown]
	s_barrier
	v_fmac_f32_e32 v8, v42, v26
	v_fmac_f32_e32 v4, v43, v26
	v_fmac_f32_e32 v7, v42, v30
	v_fmac_f32_e32 v6, v43, v30
	buffer_gl0_inv
	v_fmac_f32_e32 v8, v44, v27
	v_fmac_f32_e32 v4, v45, v27
	;; [unrolled: 1-line block ×12, first 2 shown]
	s_cbranch_vccz .LBB174_12
.LBB174_6:                              ; =>This Inner Loop Header: Depth=1
	v_mov_b32_e32 v18, 0
	s_and_saveexec_b32 s12, s0
	s_cbranch_execz .LBB174_10
; %bb.7:                                ;   in Loop: Header=BB174_6 Depth=1
	v_add_nc_u32_e32 v2, s2, v9
	v_mov_b32_e32 v18, 0
	s_mov_b32 s13, exec_lo
	v_cmpx_gt_u64_e64 s[10:11], v[2:3]
	s_cbranch_execz .LBB174_9
; %bb.8:                                ;   in Loop: Header=BB174_6 Depth=1
	v_lshlrev_b64 v[18:19], 2, v[2:3]
	v_add_co_u32 v18, vcc_lo, v12, v18
	v_add_co_ci_u32_e64 v19, null, v13, v19, vcc_lo
	global_load_dword v18, v[18:19], off
.LBB174_9:                              ;   in Loop: Header=BB174_6 Depth=1
	s_or_b32 exec_lo, exec_lo, s13
.LBB174_10:                             ;   in Loop: Header=BB174_6 Depth=1
	s_or_b32 exec_lo, exec_lo, s12
	v_add_nc_u32_e32 v2, s2, v5
	v_mov_b32_e32 v19, 0
	s_waitcnt vmcnt(0)
	ds_write_b32 v10, v18
	v_cmp_gt_u64_e32 vcc_lo, s[10:11], v[2:3]
	s_and_b32 s13, vcc_lo, s1
	s_and_saveexec_b32 s12, s13
	s_cbranch_execz .LBB174_5
; %bb.11:                               ;   in Loop: Header=BB174_6 Depth=1
	v_lshlrev_b64 v[18:19], 2, v[2:3]
	v_add_co_u32 v18, vcc_lo, v14, v18
	v_add_co_ci_u32_e64 v19, null, v15, v19, vcc_lo
	global_load_dword v19, v[18:19], off
	s_branch .LBB174_5
.LBB174_12:
	s_clause 0x1
	s_load_dwordx4 s[12:15], s[4:5], 0x50
	s_load_dwordx2 s[2:3], s[4:5], 0x60
	v_add_nc_u32_e32 v10, s7, v1
	v_add_nc_u32_e32 v0, s6, v0
	v_ashrrev_i32_e32 v1, 31, v10
	v_cmp_le_i32_e32 vcc_lo, v10, v0
	s_waitcnt lgkmcnt(0)
	v_cmp_gt_i32_e64 s0, s21, v0
	v_mul_lo_u32 v3, s14, v1
	v_mul_lo_u32 v5, s15, v10
	v_mad_u64_u32 v[1:2], null, s14, v10, 0
	s_mul_i32 s1, s3, s8
	s_mul_hi_u32 s3, s2, s8
	s_mul_i32 s2, s2, s8
	s_add_i32 s3, s3, s1
	s_lshl_b64 s[4:5], s[2:3], 2
	v_add3_u32 v2, v2, v3, v5
	v_cmp_neq_f32_e64 s2, s9, 0
	s_add_u32 s3, s12, s4
	s_addc_u32 s4, s13, s5
	s_and_b32 s5, vcc_lo, s0
	v_lshlrev_b64 v[2:3], 2, v[1:2]
	v_ashrrev_i32_e32 v1, 31, v0
	v_cndmask_b32_e64 v9, 0, 1, s2
	v_add_co_u32 v5, s1, s3, v2
	v_add_co_ci_u32_e64 v11, null, s4, v3, s1
	s_and_saveexec_b32 s1, s5
	s_cbranch_execz .LBB174_16
; %bb.13:
	v_lshlrev_b64 v[2:3], 2, v[0:1]
	v_mul_f32_e32 v8, s20, v8
	v_add_co_u32 v2, vcc_lo, v5, v2
	v_add_co_ci_u32_e64 v3, null, v11, v3, vcc_lo
	s_andn2_b32 vcc_lo, exec_lo, s2
	s_cbranch_vccnz .LBB174_15
; %bb.14:
	global_load_dword v12, v[2:3], off
	s_waitcnt vmcnt(0)
	v_fmac_f32_e32 v8, s9, v12
.LBB174_15:
	global_store_dword v[2:3], v8, off
.LBB174_16:
	s_or_b32 exec_lo, exec_lo, s1
	v_add_nc_u32_e32 v2, 16, v0
	v_cmp_le_i32_e32 vcc_lo, v10, v2
	v_cmp_gt_i32_e64 s1, s21, v2
	v_ashrrev_i32_e32 v3, 31, v2
	s_and_b32 s2, vcc_lo, s1
	s_and_saveexec_b32 s5, s2
	s_cbranch_execz .LBB174_20
; %bb.17:
	v_lshlrev_b64 v[12:13], 2, v[2:3]
	v_mul_f32_e32 v8, s20, v4
	v_cmp_ne_u32_e32 vcc_lo, 1, v9
	v_add_co_u32 v4, s2, v5, v12
	v_add_co_ci_u32_e64 v5, null, v11, v13, s2
	s_cbranch_vccnz .LBB174_19
; %bb.18:
	global_load_dword v11, v[4:5], off
	s_waitcnt vmcnt(0)
	v_fmac_f32_e32 v8, s9, v11
.LBB174_19:
	global_store_dword v[4:5], v8, off
.LBB174_20:
	s_or_b32 exec_lo, exec_lo, s5
	v_add_nc_u32_e32 v8, 16, v10
	v_ashrrev_i32_e32 v10, 31, v8
	v_mul_lo_u32 v11, s15, v8
	v_mad_u64_u32 v[4:5], null, s14, v8, 0
	v_cmp_le_i32_e32 vcc_lo, v8, v0
	v_mul_lo_u32 v10, s14, v10
	s_and_b32 s0, vcc_lo, s0
	v_add3_u32 v5, v5, v10, v11
	v_lshlrev_b64 v[4:5], 2, v[4:5]
	v_add_co_u32 v4, s2, s3, v4
	v_add_co_ci_u32_e64 v5, null, s4, v5, s2
	s_and_saveexec_b32 s2, s0
	s_cbranch_execz .LBB174_24
; %bb.21:
	v_lshlrev_b64 v[0:1], 2, v[0:1]
	v_cmp_ne_u32_e32 vcc_lo, 1, v9
	v_mul_f32_e32 v7, s20, v7
	v_add_co_u32 v0, s0, v4, v0
	v_add_co_ci_u32_e64 v1, null, v5, v1, s0
	s_cbranch_vccnz .LBB174_23
; %bb.22:
	global_load_dword v10, v[0:1], off
	s_waitcnt vmcnt(0)
	v_fmac_f32_e32 v7, s9, v10
.LBB174_23:
	global_store_dword v[0:1], v7, off
.LBB174_24:
	s_or_b32 exec_lo, exec_lo, s2
	v_cmp_le_i32_e32 vcc_lo, v8, v2
	s_and_b32 s0, vcc_lo, s1
	s_and_saveexec_b32 s1, s0
	s_cbranch_execz .LBB174_28
; %bb.25:
	v_lshlrev_b64 v[0:1], 2, v[2:3]
	v_cmp_ne_u32_e32 vcc_lo, 1, v9
	v_mul_f32_e32 v2, s20, v6
	v_add_co_u32 v0, s0, v4, v0
	v_add_co_ci_u32_e64 v1, null, v5, v1, s0
	s_cbranch_vccnz .LBB174_27
; %bb.26:
	global_load_dword v3, v[0:1], off
	s_waitcnt vmcnt(0)
	v_fmac_f32_e32 v2, s9, v3
.LBB174_27:
	global_store_dword v[0:1], v2, off
.LBB174_28:
	s_endpgm
	.section	.rodata,"a",@progbits
	.p2align	6, 0x0
	.amdhsa_kernel _ZL29rocblas_internal_gemmt_kernelIlLi16ELi32ELi8ELc84ELc78ELc76ELb0ELb0EffPKfPfEviT_T9_T10_S3_lS5_S3_lS4_T11_S3_li
		.amdhsa_group_segment_fixed_size 2048
		.amdhsa_private_segment_fixed_size 0
		.amdhsa_kernarg_size 108
		.amdhsa_user_sgpr_count 6
		.amdhsa_user_sgpr_private_segment_buffer 1
		.amdhsa_user_sgpr_dispatch_ptr 0
		.amdhsa_user_sgpr_queue_ptr 0
		.amdhsa_user_sgpr_kernarg_segment_ptr 1
		.amdhsa_user_sgpr_dispatch_id 0
		.amdhsa_user_sgpr_flat_scratch_init 0
		.amdhsa_user_sgpr_private_segment_size 0
		.amdhsa_wavefront_size32 1
		.amdhsa_uses_dynamic_stack 0
		.amdhsa_system_sgpr_private_segment_wavefront_offset 0
		.amdhsa_system_sgpr_workgroup_id_x 1
		.amdhsa_system_sgpr_workgroup_id_y 1
		.amdhsa_system_sgpr_workgroup_id_z 1
		.amdhsa_system_sgpr_workgroup_info 0
		.amdhsa_system_vgpr_workitem_id 1
		.amdhsa_next_free_vgpr 46
		.amdhsa_next_free_sgpr 24
		.amdhsa_reserve_vcc 1
		.amdhsa_reserve_flat_scratch 0
		.amdhsa_float_round_mode_32 0
		.amdhsa_float_round_mode_16_64 0
		.amdhsa_float_denorm_mode_32 3
		.amdhsa_float_denorm_mode_16_64 3
		.amdhsa_dx10_clamp 1
		.amdhsa_ieee_mode 1
		.amdhsa_fp16_overflow 0
		.amdhsa_workgroup_processor_mode 1
		.amdhsa_memory_ordered 1
		.amdhsa_forward_progress 1
		.amdhsa_shared_vgpr_count 0
		.amdhsa_exception_fp_ieee_invalid_op 0
		.amdhsa_exception_fp_denorm_src 0
		.amdhsa_exception_fp_ieee_div_zero 0
		.amdhsa_exception_fp_ieee_overflow 0
		.amdhsa_exception_fp_ieee_underflow 0
		.amdhsa_exception_fp_ieee_inexact 0
		.amdhsa_exception_int_div_zero 0
	.end_amdhsa_kernel
	.section	.text._ZL29rocblas_internal_gemmt_kernelIlLi16ELi32ELi8ELc84ELc78ELc76ELb0ELb0EffPKfPfEviT_T9_T10_S3_lS5_S3_lS4_T11_S3_li,"axG",@progbits,_ZL29rocblas_internal_gemmt_kernelIlLi16ELi32ELi8ELc84ELc78ELc76ELb0ELb0EffPKfPfEviT_T9_T10_S3_lS5_S3_lS4_T11_S3_li,comdat
.Lfunc_end174:
	.size	_ZL29rocblas_internal_gemmt_kernelIlLi16ELi32ELi8ELc84ELc78ELc76ELb0ELb0EffPKfPfEviT_T9_T10_S3_lS5_S3_lS4_T11_S3_li, .Lfunc_end174-_ZL29rocblas_internal_gemmt_kernelIlLi16ELi32ELi8ELc84ELc78ELc76ELb0ELb0EffPKfPfEviT_T9_T10_S3_lS5_S3_lS4_T11_S3_li
                                        ; -- End function
	.set _ZL29rocblas_internal_gemmt_kernelIlLi16ELi32ELi8ELc84ELc78ELc76ELb0ELb0EffPKfPfEviT_T9_T10_S3_lS5_S3_lS4_T11_S3_li.num_vgpr, 46
	.set _ZL29rocblas_internal_gemmt_kernelIlLi16ELi32ELi8ELc84ELc78ELc76ELb0ELb0EffPKfPfEviT_T9_T10_S3_lS5_S3_lS4_T11_S3_li.num_agpr, 0
	.set _ZL29rocblas_internal_gemmt_kernelIlLi16ELi32ELi8ELc84ELc78ELc76ELb0ELb0EffPKfPfEviT_T9_T10_S3_lS5_S3_lS4_T11_S3_li.numbered_sgpr, 24
	.set _ZL29rocblas_internal_gemmt_kernelIlLi16ELi32ELi8ELc84ELc78ELc76ELb0ELb0EffPKfPfEviT_T9_T10_S3_lS5_S3_lS4_T11_S3_li.num_named_barrier, 0
	.set _ZL29rocblas_internal_gemmt_kernelIlLi16ELi32ELi8ELc84ELc78ELc76ELb0ELb0EffPKfPfEviT_T9_T10_S3_lS5_S3_lS4_T11_S3_li.private_seg_size, 0
	.set _ZL29rocblas_internal_gemmt_kernelIlLi16ELi32ELi8ELc84ELc78ELc76ELb0ELb0EffPKfPfEviT_T9_T10_S3_lS5_S3_lS4_T11_S3_li.uses_vcc, 1
	.set _ZL29rocblas_internal_gemmt_kernelIlLi16ELi32ELi8ELc84ELc78ELc76ELb0ELb0EffPKfPfEviT_T9_T10_S3_lS5_S3_lS4_T11_S3_li.uses_flat_scratch, 0
	.set _ZL29rocblas_internal_gemmt_kernelIlLi16ELi32ELi8ELc84ELc78ELc76ELb0ELb0EffPKfPfEviT_T9_T10_S3_lS5_S3_lS4_T11_S3_li.has_dyn_sized_stack, 0
	.set _ZL29rocblas_internal_gemmt_kernelIlLi16ELi32ELi8ELc84ELc78ELc76ELb0ELb0EffPKfPfEviT_T9_T10_S3_lS5_S3_lS4_T11_S3_li.has_recursion, 0
	.set _ZL29rocblas_internal_gemmt_kernelIlLi16ELi32ELi8ELc84ELc78ELc76ELb0ELb0EffPKfPfEviT_T9_T10_S3_lS5_S3_lS4_T11_S3_li.has_indirect_call, 0
	.section	.AMDGPU.csdata,"",@progbits
; Kernel info:
; codeLenInByte = 1464
; TotalNumSgprs: 26
; NumVgprs: 46
; ScratchSize: 0
; MemoryBound: 0
; FloatMode: 240
; IeeeMode: 1
; LDSByteSize: 2048 bytes/workgroup (compile time only)
; SGPRBlocks: 0
; VGPRBlocks: 5
; NumSGPRsForWavesPerEU: 26
; NumVGPRsForWavesPerEU: 46
; Occupancy: 16
; WaveLimiterHint : 0
; COMPUTE_PGM_RSRC2:SCRATCH_EN: 0
; COMPUTE_PGM_RSRC2:USER_SGPR: 6
; COMPUTE_PGM_RSRC2:TRAP_HANDLER: 0
; COMPUTE_PGM_RSRC2:TGID_X_EN: 1
; COMPUTE_PGM_RSRC2:TGID_Y_EN: 1
; COMPUTE_PGM_RSRC2:TGID_Z_EN: 1
; COMPUTE_PGM_RSRC2:TIDIG_COMP_CNT: 1
	.section	.text._ZL29rocblas_internal_gemmt_kernelIlLi16ELi32ELi8ELc84ELc84ELc76ELb0ELb0EffPKfPfEviT_T9_T10_S3_lS5_S3_lS4_T11_S3_li,"axG",@progbits,_ZL29rocblas_internal_gemmt_kernelIlLi16ELi32ELi8ELc84ELc84ELc76ELb0ELb0EffPKfPfEviT_T9_T10_S3_lS5_S3_lS4_T11_S3_li,comdat
	.globl	_ZL29rocblas_internal_gemmt_kernelIlLi16ELi32ELi8ELc84ELc84ELc76ELb0ELb0EffPKfPfEviT_T9_T10_S3_lS5_S3_lS4_T11_S3_li ; -- Begin function _ZL29rocblas_internal_gemmt_kernelIlLi16ELi32ELi8ELc84ELc84ELc76ELb0ELb0EffPKfPfEviT_T9_T10_S3_lS5_S3_lS4_T11_S3_li
	.p2align	8
	.type	_ZL29rocblas_internal_gemmt_kernelIlLi16ELi32ELi8ELc84ELc84ELc76ELb0ELb0EffPKfPfEviT_T9_T10_S3_lS5_S3_lS4_T11_S3_li,@function
_ZL29rocblas_internal_gemmt_kernelIlLi16ELi32ELi8ELc84ELc84ELc76ELb0ELb0EffPKfPfEviT_T9_T10_S3_lS5_S3_lS4_T11_S3_li: ; @_ZL29rocblas_internal_gemmt_kernelIlLi16ELi32ELi8ELc84ELc84ELc76ELb0ELb0EffPKfPfEviT_T9_T10_S3_lS5_S3_lS4_T11_S3_li
; %bb.0:
	s_clause 0x2
	s_load_dword s9, s[4:5], 0x48
	s_load_dwordx2 s[2:3], s[4:5], 0x8
	s_load_dword s10, s[4:5], 0x10
	s_waitcnt lgkmcnt(0)
	v_cmp_neq_f32_e64 s0, s9, 1.0
	s_and_b32 vcc_lo, exec_lo, s0
	s_cbranch_vccnz .LBB175_2
; %bb.1:
	v_cmp_neq_f32_e64 s0, s10, 0
	s_cmp_lg_u64 s[2:3], 0
	s_cselect_b32 s1, -1, 0
	s_and_b32 s0, s1, s0
.LBB175_2:
	s_andn2_b32 vcc_lo, exec_lo, s0
	s_cbranch_vccnz .LBB175_28
; %bb.3:
	s_load_dword s11, s[4:5], 0x0
	v_cmp_lt_i64_e64 s0, s[2:3], 1
	v_cmp_eq_f32_e64 s1, s10, 0
	v_mov_b32_e32 v8, 0
	v_mov_b32_e32 v4, 0
	;; [unrolled: 1-line block ×4, first 2 shown]
	s_or_b32 s0, s1, s0
	s_lshl_b32 s24, s6, 5
	s_and_b32 vcc_lo, exec_lo, s0
	s_lshl_b32 s25, s7, 5
	s_cbranch_vccnz .LBB175_12
; %bb.4:
	s_clause 0x1
	s_load_dwordx4 s[20:23], s[4:5], 0x38
	s_load_dwordx8 s[12:19], s[4:5], 0x18
	v_lshl_add_u32 v2, v1, 4, v0
	v_and_b32_e32 v5, 7, v0
	v_lshlrev_b32_e32 v9, 2, v0
	v_lshl_add_u32 v17, v1, 5, 0x400
	v_and_b32_e32 v3, 31, v2
	v_lshrrev_b32_e32 v4, 3, v2
	v_lshrrev_b32_e32 v10, 5, v2
	v_lshlrev_b32_e32 v8, 2, v5
	v_or_b32_e32 v11, s24, v3
	v_add_nc_u32_e32 v2, s25, v4
	v_lshlrev_b32_e32 v12, 2, v3
	v_lshl_or_b32 v8, v4, 5, v8
	v_ashrrev_i32_e32 v3, 31, v2
	s_waitcnt lgkmcnt(0)
	s_mul_i32 s1, s23, s8
	s_mul_hi_u32 s6, s22, s8
	s_mul_i32 s0, s22, s8
	s_add_i32 s1, s6, s1
	s_mul_i32 s7, s17, s8
	s_lshl_b64 s[0:1], s[0:1], 2
	s_mul_hi_u32 s17, s16, s8
	v_mul_lo_u32 v13, s15, v11
	s_add_u32 s15, s18, s0
	s_mul_i32 s6, s16, s8
	s_addc_u32 s16, s19, s1
	s_add_i32 s7, s17, s7
	v_mad_u64_u32 v[6:7], null, s14, v11, 0
	s_lshl_b64 s[0:1], s[6:7], 2
	v_lshlrev_b64 v[3:4], 2, v[2:3]
	s_add_u32 s6, s12, s0
	s_addc_u32 s7, s13, s1
	s_ashr_i32 s0, s24, 31
	s_mul_i32 s1, s14, s0
	v_cmp_gt_i32_e64 s0, s11, v11
	v_add3_u32 v7, v7, s1, v13
	v_add_co_u32 v13, vcc_lo, s15, v3
	v_add_co_ci_u32_e64 v14, null, s16, v4, vcc_lo
	v_lshlrev_b64 v[6:7], 2, v[6:7]
	v_lshl_or_b32 v11, v10, 7, v12
	v_cmp_gt_i32_e64 s1, s11, v2
	v_add_nc_u32_e32 v12, 0x400, v8
	v_mov_b32_e32 v3, 0
	v_mov_b32_e32 v4, 0
	v_add_co_u32 v15, vcc_lo, s6, v6
	v_add_co_ci_u32_e64 v16, null, s7, v7, vcc_lo
	v_mov_b32_e32 v6, 0
	v_mov_b32_e32 v7, 0
	;; [unrolled: 1-line block ×3, first 2 shown]
	s_mov_b64 s[6:7], 0
	s_branch .LBB175_6
.LBB175_5:                              ;   in Loop: Header=BB175_6 Depth=1
	s_or_b32 exec_lo, exec_lo, s12
	s_waitcnt vmcnt(0)
	ds_write_b32 v12, v19
	s_waitcnt lgkmcnt(0)
	s_barrier
	buffer_gl0_inv
	ds_read_b128 v[18:21], v17
	ds_read2_b32 v[34:35], v9 offset1:16
	ds_read_b128 v[22:25], v17 offset:512
	ds_read2_b32 v[36:37], v9 offset0:32 offset1:48
	ds_read2_b32 v[38:39], v9 offset0:64 offset1:80
	;; [unrolled: 1-line block ×3, first 2 shown]
	ds_read_b128 v[26:29], v17 offset:16
	ds_read2_b32 v[42:43], v9 offset0:128 offset1:144
	ds_read_b128 v[30:33], v17 offset:528
	ds_read2_b32 v[44:45], v9 offset0:160 offset1:176
	s_add_u32 s6, s6, 8
	s_addc_u32 s7, s7, 0
	v_cmp_gt_i64_e64 s12, s[2:3], s[6:7]
	s_and_b32 vcc_lo, exec_lo, s12
	s_waitcnt lgkmcnt(8)
	v_fmac_f32_e32 v8, v34, v18
	v_fmac_f32_e32 v4, v35, v18
	s_waitcnt lgkmcnt(7)
	v_fmac_f32_e32 v7, v34, v22
	v_fmac_f32_e32 v6, v35, v22
	ds_read2_b32 v[34:35], v9 offset0:192 offset1:208
	s_waitcnt lgkmcnt(7)
	v_fmac_f32_e32 v8, v36, v19
	v_fmac_f32_e32 v4, v37, v19
	;; [unrolled: 1-line block ×4, first 2 shown]
	ds_read2_b32 v[18:19], v9 offset0:224 offset1:240
	s_waitcnt lgkmcnt(7)
	v_fmac_f32_e32 v8, v38, v20
	v_fmac_f32_e32 v4, v39, v20
	;; [unrolled: 1-line block ×4, first 2 shown]
	s_waitcnt lgkmcnt(0)
	v_fmac_f32_e32 v8, v40, v21
	v_fmac_f32_e32 v4, v41, v21
	;; [unrolled: 1-line block ×4, first 2 shown]
	s_barrier
	v_fmac_f32_e32 v8, v42, v26
	v_fmac_f32_e32 v4, v43, v26
	;; [unrolled: 1-line block ×4, first 2 shown]
	buffer_gl0_inv
	v_fmac_f32_e32 v8, v44, v27
	v_fmac_f32_e32 v4, v45, v27
	;; [unrolled: 1-line block ×12, first 2 shown]
	s_cbranch_vccz .LBB175_12
.LBB175_6:                              ; =>This Inner Loop Header: Depth=1
	v_mov_b32_e32 v18, 0
	s_and_saveexec_b32 s12, s0
	s_cbranch_execz .LBB175_10
; %bb.7:                                ;   in Loop: Header=BB175_6 Depth=1
	v_add_nc_u32_e32 v2, s6, v10
	v_mov_b32_e32 v18, 0
	s_mov_b32 s13, exec_lo
	v_cmpx_gt_u64_e64 s[2:3], v[2:3]
	s_cbranch_execz .LBB175_9
; %bb.8:                                ;   in Loop: Header=BB175_6 Depth=1
	v_lshlrev_b64 v[18:19], 2, v[2:3]
	v_add_co_u32 v18, vcc_lo, v15, v18
	v_add_co_ci_u32_e64 v19, null, v16, v19, vcc_lo
	global_load_dword v18, v[18:19], off
.LBB175_9:                              ;   in Loop: Header=BB175_6 Depth=1
	s_or_b32 exec_lo, exec_lo, s13
.LBB175_10:                             ;   in Loop: Header=BB175_6 Depth=1
	s_or_b32 exec_lo, exec_lo, s12
	v_add_nc_u32_e32 v2, s6, v5
	v_mov_b32_e32 v19, 0
	s_waitcnt vmcnt(0)
	ds_write_b32 v11, v18
	v_cmp_gt_u64_e32 vcc_lo, s[2:3], v[2:3]
	s_and_b32 s13, vcc_lo, s1
	s_and_saveexec_b32 s12, s13
	s_cbranch_execz .LBB175_5
; %bb.11:                               ;   in Loop: Header=BB175_6 Depth=1
	v_mad_u64_u32 v[18:19], null, s20, v2, 0
	v_mad_u64_u32 v[19:20], null, s21, v2, v[19:20]
	v_lshlrev_b64 v[18:19], 2, v[18:19]
	v_add_co_u32 v18, vcc_lo, v13, v18
	v_add_co_ci_u32_e64 v19, null, v14, v19, vcc_lo
	global_load_dword v19, v[18:19], off
	s_branch .LBB175_5
.LBB175_12:
	s_clause 0x1
	s_load_dwordx4 s[12:15], s[4:5], 0x50
	s_load_dwordx2 s[2:3], s[4:5], 0x60
	v_add_nc_u32_e32 v10, s25, v1
	v_add_nc_u32_e32 v0, s24, v0
	v_ashrrev_i32_e32 v1, 31, v10
	v_cmp_le_i32_e32 vcc_lo, v10, v0
	s_waitcnt lgkmcnt(0)
	v_cmp_gt_i32_e64 s0, s11, v0
	v_mul_lo_u32 v3, s14, v1
	v_mul_lo_u32 v5, s15, v10
	v_mad_u64_u32 v[1:2], null, s14, v10, 0
	s_mul_i32 s1, s3, s8
	s_mul_hi_u32 s3, s2, s8
	s_mul_i32 s2, s2, s8
	s_add_i32 s3, s3, s1
	s_lshl_b64 s[4:5], s[2:3], 2
	v_add3_u32 v2, v2, v3, v5
	v_cmp_neq_f32_e64 s2, s9, 0
	s_add_u32 s3, s12, s4
	s_addc_u32 s4, s13, s5
	s_and_b32 s5, vcc_lo, s0
	v_lshlrev_b64 v[2:3], 2, v[1:2]
	v_ashrrev_i32_e32 v1, 31, v0
	v_cndmask_b32_e64 v9, 0, 1, s2
	v_add_co_u32 v5, s1, s3, v2
	v_add_co_ci_u32_e64 v11, null, s4, v3, s1
	s_and_saveexec_b32 s1, s5
	s_cbranch_execz .LBB175_16
; %bb.13:
	v_lshlrev_b64 v[2:3], 2, v[0:1]
	v_mul_f32_e32 v8, s10, v8
	v_add_co_u32 v2, vcc_lo, v5, v2
	v_add_co_ci_u32_e64 v3, null, v11, v3, vcc_lo
	s_andn2_b32 vcc_lo, exec_lo, s2
	s_cbranch_vccnz .LBB175_15
; %bb.14:
	global_load_dword v12, v[2:3], off
	s_waitcnt vmcnt(0)
	v_fmac_f32_e32 v8, s9, v12
.LBB175_15:
	global_store_dword v[2:3], v8, off
.LBB175_16:
	s_or_b32 exec_lo, exec_lo, s1
	v_add_nc_u32_e32 v2, 16, v0
	v_cmp_le_i32_e32 vcc_lo, v10, v2
	v_cmp_gt_i32_e64 s1, s11, v2
	v_ashrrev_i32_e32 v3, 31, v2
	s_and_b32 s2, vcc_lo, s1
	s_and_saveexec_b32 s5, s2
	s_cbranch_execz .LBB175_20
; %bb.17:
	v_lshlrev_b64 v[12:13], 2, v[2:3]
	v_mul_f32_e32 v8, s10, v4
	v_cmp_ne_u32_e32 vcc_lo, 1, v9
	v_add_co_u32 v4, s2, v5, v12
	v_add_co_ci_u32_e64 v5, null, v11, v13, s2
	s_cbranch_vccnz .LBB175_19
; %bb.18:
	global_load_dword v11, v[4:5], off
	s_waitcnt vmcnt(0)
	v_fmac_f32_e32 v8, s9, v11
.LBB175_19:
	global_store_dword v[4:5], v8, off
.LBB175_20:
	s_or_b32 exec_lo, exec_lo, s5
	v_add_nc_u32_e32 v8, 16, v10
	v_ashrrev_i32_e32 v10, 31, v8
	v_mul_lo_u32 v11, s15, v8
	v_mad_u64_u32 v[4:5], null, s14, v8, 0
	v_cmp_le_i32_e32 vcc_lo, v8, v0
	v_mul_lo_u32 v10, s14, v10
	s_and_b32 s0, vcc_lo, s0
	v_add3_u32 v5, v5, v10, v11
	v_lshlrev_b64 v[4:5], 2, v[4:5]
	v_add_co_u32 v4, s2, s3, v4
	v_add_co_ci_u32_e64 v5, null, s4, v5, s2
	s_and_saveexec_b32 s2, s0
	s_cbranch_execz .LBB175_24
; %bb.21:
	v_lshlrev_b64 v[0:1], 2, v[0:1]
	v_cmp_ne_u32_e32 vcc_lo, 1, v9
	v_mul_f32_e32 v7, s10, v7
	v_add_co_u32 v0, s0, v4, v0
	v_add_co_ci_u32_e64 v1, null, v5, v1, s0
	s_cbranch_vccnz .LBB175_23
; %bb.22:
	global_load_dword v10, v[0:1], off
	s_waitcnt vmcnt(0)
	v_fmac_f32_e32 v7, s9, v10
.LBB175_23:
	global_store_dword v[0:1], v7, off
.LBB175_24:
	s_or_b32 exec_lo, exec_lo, s2
	v_cmp_le_i32_e32 vcc_lo, v8, v2
	s_and_b32 s0, vcc_lo, s1
	s_and_saveexec_b32 s1, s0
	s_cbranch_execz .LBB175_28
; %bb.25:
	v_lshlrev_b64 v[0:1], 2, v[2:3]
	v_cmp_ne_u32_e32 vcc_lo, 1, v9
	v_mul_f32_e32 v2, s10, v6
	v_add_co_u32 v0, s0, v4, v0
	v_add_co_ci_u32_e64 v1, null, v5, v1, s0
	s_cbranch_vccnz .LBB175_27
; %bb.26:
	global_load_dword v3, v[0:1], off
	s_waitcnt vmcnt(0)
	v_fmac_f32_e32 v2, s9, v3
.LBB175_27:
	global_store_dword v[0:1], v2, off
.LBB175_28:
	s_endpgm
	.section	.rodata,"a",@progbits
	.p2align	6, 0x0
	.amdhsa_kernel _ZL29rocblas_internal_gemmt_kernelIlLi16ELi32ELi8ELc84ELc84ELc76ELb0ELb0EffPKfPfEviT_T9_T10_S3_lS5_S3_lS4_T11_S3_li
		.amdhsa_group_segment_fixed_size 2048
		.amdhsa_private_segment_fixed_size 0
		.amdhsa_kernarg_size 108
		.amdhsa_user_sgpr_count 6
		.amdhsa_user_sgpr_private_segment_buffer 1
		.amdhsa_user_sgpr_dispatch_ptr 0
		.amdhsa_user_sgpr_queue_ptr 0
		.amdhsa_user_sgpr_kernarg_segment_ptr 1
		.amdhsa_user_sgpr_dispatch_id 0
		.amdhsa_user_sgpr_flat_scratch_init 0
		.amdhsa_user_sgpr_private_segment_size 0
		.amdhsa_wavefront_size32 1
		.amdhsa_uses_dynamic_stack 0
		.amdhsa_system_sgpr_private_segment_wavefront_offset 0
		.amdhsa_system_sgpr_workgroup_id_x 1
		.amdhsa_system_sgpr_workgroup_id_y 1
		.amdhsa_system_sgpr_workgroup_id_z 1
		.amdhsa_system_sgpr_workgroup_info 0
		.amdhsa_system_vgpr_workitem_id 1
		.amdhsa_next_free_vgpr 46
		.amdhsa_next_free_sgpr 26
		.amdhsa_reserve_vcc 1
		.amdhsa_reserve_flat_scratch 0
		.amdhsa_float_round_mode_32 0
		.amdhsa_float_round_mode_16_64 0
		.amdhsa_float_denorm_mode_32 3
		.amdhsa_float_denorm_mode_16_64 3
		.amdhsa_dx10_clamp 1
		.amdhsa_ieee_mode 1
		.amdhsa_fp16_overflow 0
		.amdhsa_workgroup_processor_mode 1
		.amdhsa_memory_ordered 1
		.amdhsa_forward_progress 1
		.amdhsa_shared_vgpr_count 0
		.amdhsa_exception_fp_ieee_invalid_op 0
		.amdhsa_exception_fp_denorm_src 0
		.amdhsa_exception_fp_ieee_div_zero 0
		.amdhsa_exception_fp_ieee_overflow 0
		.amdhsa_exception_fp_ieee_underflow 0
		.amdhsa_exception_fp_ieee_inexact 0
		.amdhsa_exception_int_div_zero 0
	.end_amdhsa_kernel
	.section	.text._ZL29rocblas_internal_gemmt_kernelIlLi16ELi32ELi8ELc84ELc84ELc76ELb0ELb0EffPKfPfEviT_T9_T10_S3_lS5_S3_lS4_T11_S3_li,"axG",@progbits,_ZL29rocblas_internal_gemmt_kernelIlLi16ELi32ELi8ELc84ELc84ELc76ELb0ELb0EffPKfPfEviT_T9_T10_S3_lS5_S3_lS4_T11_S3_li,comdat
.Lfunc_end175:
	.size	_ZL29rocblas_internal_gemmt_kernelIlLi16ELi32ELi8ELc84ELc84ELc76ELb0ELb0EffPKfPfEviT_T9_T10_S3_lS5_S3_lS4_T11_S3_li, .Lfunc_end175-_ZL29rocblas_internal_gemmt_kernelIlLi16ELi32ELi8ELc84ELc84ELc76ELb0ELb0EffPKfPfEviT_T9_T10_S3_lS5_S3_lS4_T11_S3_li
                                        ; -- End function
	.set _ZL29rocblas_internal_gemmt_kernelIlLi16ELi32ELi8ELc84ELc84ELc76ELb0ELb0EffPKfPfEviT_T9_T10_S3_lS5_S3_lS4_T11_S3_li.num_vgpr, 46
	.set _ZL29rocblas_internal_gemmt_kernelIlLi16ELi32ELi8ELc84ELc84ELc76ELb0ELb0EffPKfPfEviT_T9_T10_S3_lS5_S3_lS4_T11_S3_li.num_agpr, 0
	.set _ZL29rocblas_internal_gemmt_kernelIlLi16ELi32ELi8ELc84ELc84ELc76ELb0ELb0EffPKfPfEviT_T9_T10_S3_lS5_S3_lS4_T11_S3_li.numbered_sgpr, 26
	.set _ZL29rocblas_internal_gemmt_kernelIlLi16ELi32ELi8ELc84ELc84ELc76ELb0ELb0EffPKfPfEviT_T9_T10_S3_lS5_S3_lS4_T11_S3_li.num_named_barrier, 0
	.set _ZL29rocblas_internal_gemmt_kernelIlLi16ELi32ELi8ELc84ELc84ELc76ELb0ELb0EffPKfPfEviT_T9_T10_S3_lS5_S3_lS4_T11_S3_li.private_seg_size, 0
	.set _ZL29rocblas_internal_gemmt_kernelIlLi16ELi32ELi8ELc84ELc84ELc76ELb0ELb0EffPKfPfEviT_T9_T10_S3_lS5_S3_lS4_T11_S3_li.uses_vcc, 1
	.set _ZL29rocblas_internal_gemmt_kernelIlLi16ELi32ELi8ELc84ELc84ELc76ELb0ELb0EffPKfPfEviT_T9_T10_S3_lS5_S3_lS4_T11_S3_li.uses_flat_scratch, 0
	.set _ZL29rocblas_internal_gemmt_kernelIlLi16ELi32ELi8ELc84ELc84ELc76ELb0ELb0EffPKfPfEviT_T9_T10_S3_lS5_S3_lS4_T11_S3_li.has_dyn_sized_stack, 0
	.set _ZL29rocblas_internal_gemmt_kernelIlLi16ELi32ELi8ELc84ELc84ELc76ELb0ELb0EffPKfPfEviT_T9_T10_S3_lS5_S3_lS4_T11_S3_li.has_recursion, 0
	.set _ZL29rocblas_internal_gemmt_kernelIlLi16ELi32ELi8ELc84ELc84ELc76ELb0ELb0EffPKfPfEviT_T9_T10_S3_lS5_S3_lS4_T11_S3_li.has_indirect_call, 0
	.section	.AMDGPU.csdata,"",@progbits
; Kernel info:
; codeLenInByte = 1448
; TotalNumSgprs: 28
; NumVgprs: 46
; ScratchSize: 0
; MemoryBound: 0
; FloatMode: 240
; IeeeMode: 1
; LDSByteSize: 2048 bytes/workgroup (compile time only)
; SGPRBlocks: 0
; VGPRBlocks: 5
; NumSGPRsForWavesPerEU: 28
; NumVGPRsForWavesPerEU: 46
; Occupancy: 16
; WaveLimiterHint : 0
; COMPUTE_PGM_RSRC2:SCRATCH_EN: 0
; COMPUTE_PGM_RSRC2:USER_SGPR: 6
; COMPUTE_PGM_RSRC2:TRAP_HANDLER: 0
; COMPUTE_PGM_RSRC2:TGID_X_EN: 1
; COMPUTE_PGM_RSRC2:TGID_Y_EN: 1
; COMPUTE_PGM_RSRC2:TGID_Z_EN: 1
; COMPUTE_PGM_RSRC2:TIDIG_COMP_CNT: 1
	.section	.text._ZL29rocblas_internal_gemmt_kernelIlLi16ELi32ELi8ELc84ELc67ELc76ELb0ELb0EffPKfPfEviT_T9_T10_S3_lS5_S3_lS4_T11_S3_li,"axG",@progbits,_ZL29rocblas_internal_gemmt_kernelIlLi16ELi32ELi8ELc84ELc67ELc76ELb0ELb0EffPKfPfEviT_T9_T10_S3_lS5_S3_lS4_T11_S3_li,comdat
	.globl	_ZL29rocblas_internal_gemmt_kernelIlLi16ELi32ELi8ELc84ELc67ELc76ELb0ELb0EffPKfPfEviT_T9_T10_S3_lS5_S3_lS4_T11_S3_li ; -- Begin function _ZL29rocblas_internal_gemmt_kernelIlLi16ELi32ELi8ELc84ELc67ELc76ELb0ELb0EffPKfPfEviT_T9_T10_S3_lS5_S3_lS4_T11_S3_li
	.p2align	8
	.type	_ZL29rocblas_internal_gemmt_kernelIlLi16ELi32ELi8ELc84ELc67ELc76ELb0ELb0EffPKfPfEviT_T9_T10_S3_lS5_S3_lS4_T11_S3_li,@function
_ZL29rocblas_internal_gemmt_kernelIlLi16ELi32ELi8ELc84ELc67ELc76ELb0ELb0EffPKfPfEviT_T9_T10_S3_lS5_S3_lS4_T11_S3_li: ; @_ZL29rocblas_internal_gemmt_kernelIlLi16ELi32ELi8ELc84ELc67ELc76ELb0ELb0EffPKfPfEviT_T9_T10_S3_lS5_S3_lS4_T11_S3_li
; %bb.0:
	s_clause 0x2
	s_load_dword s9, s[4:5], 0x48
	s_load_dwordx2 s[2:3], s[4:5], 0x8
	s_load_dword s10, s[4:5], 0x10
	s_waitcnt lgkmcnt(0)
	v_cmp_neq_f32_e64 s0, s9, 1.0
	s_and_b32 vcc_lo, exec_lo, s0
	s_cbranch_vccnz .LBB176_2
; %bb.1:
	v_cmp_neq_f32_e64 s0, s10, 0
	s_cmp_lg_u64 s[2:3], 0
	s_cselect_b32 s1, -1, 0
	s_and_b32 s0, s1, s0
.LBB176_2:
	s_andn2_b32 vcc_lo, exec_lo, s0
	s_cbranch_vccnz .LBB176_28
; %bb.3:
	s_load_dword s11, s[4:5], 0x0
	v_cmp_lt_i64_e64 s0, s[2:3], 1
	v_cmp_eq_f32_e64 s1, s10, 0
	v_mov_b32_e32 v8, 0
	v_mov_b32_e32 v4, 0
	;; [unrolled: 1-line block ×4, first 2 shown]
	s_or_b32 s0, s1, s0
	s_lshl_b32 s24, s6, 5
	s_and_b32 vcc_lo, exec_lo, s0
	s_lshl_b32 s25, s7, 5
	s_cbranch_vccnz .LBB176_12
; %bb.4:
	s_clause 0x1
	s_load_dwordx4 s[20:23], s[4:5], 0x38
	s_load_dwordx8 s[12:19], s[4:5], 0x18
	v_lshl_add_u32 v2, v1, 4, v0
	v_and_b32_e32 v5, 7, v0
	v_lshlrev_b32_e32 v9, 2, v0
	v_lshl_add_u32 v17, v1, 5, 0x400
	v_and_b32_e32 v3, 31, v2
	v_lshrrev_b32_e32 v4, 3, v2
	v_lshrrev_b32_e32 v10, 5, v2
	v_lshlrev_b32_e32 v8, 2, v5
	v_or_b32_e32 v11, s24, v3
	v_add_nc_u32_e32 v2, s25, v4
	v_lshlrev_b32_e32 v12, 2, v3
	v_lshl_or_b32 v8, v4, 5, v8
	v_ashrrev_i32_e32 v3, 31, v2
	s_waitcnt lgkmcnt(0)
	s_mul_i32 s1, s23, s8
	s_mul_hi_u32 s6, s22, s8
	s_mul_i32 s0, s22, s8
	s_add_i32 s1, s6, s1
	s_mul_i32 s7, s17, s8
	s_lshl_b64 s[0:1], s[0:1], 2
	s_mul_hi_u32 s17, s16, s8
	v_mul_lo_u32 v13, s15, v11
	s_add_u32 s15, s18, s0
	s_mul_i32 s6, s16, s8
	s_addc_u32 s16, s19, s1
	s_add_i32 s7, s17, s7
	v_mad_u64_u32 v[6:7], null, s14, v11, 0
	s_lshl_b64 s[0:1], s[6:7], 2
	v_lshlrev_b64 v[3:4], 2, v[2:3]
	s_add_u32 s6, s12, s0
	s_addc_u32 s7, s13, s1
	s_ashr_i32 s0, s24, 31
	s_mul_i32 s1, s14, s0
	v_cmp_gt_i32_e64 s0, s11, v11
	v_add3_u32 v7, v7, s1, v13
	v_add_co_u32 v13, vcc_lo, s15, v3
	v_add_co_ci_u32_e64 v14, null, s16, v4, vcc_lo
	v_lshlrev_b64 v[6:7], 2, v[6:7]
	v_lshl_or_b32 v11, v10, 7, v12
	v_cmp_gt_i32_e64 s1, s11, v2
	v_add_nc_u32_e32 v12, 0x400, v8
	v_mov_b32_e32 v3, 0
	v_mov_b32_e32 v4, 0
	v_add_co_u32 v15, vcc_lo, s6, v6
	v_add_co_ci_u32_e64 v16, null, s7, v7, vcc_lo
	v_mov_b32_e32 v6, 0
	v_mov_b32_e32 v7, 0
	;; [unrolled: 1-line block ×3, first 2 shown]
	s_mov_b64 s[6:7], 0
	s_branch .LBB176_6
.LBB176_5:                              ;   in Loop: Header=BB176_6 Depth=1
	s_or_b32 exec_lo, exec_lo, s12
	s_waitcnt vmcnt(0)
	ds_write_b32 v12, v19
	s_waitcnt lgkmcnt(0)
	s_barrier
	buffer_gl0_inv
	ds_read_b128 v[18:21], v17
	ds_read2_b32 v[34:35], v9 offset1:16
	ds_read_b128 v[22:25], v17 offset:512
	ds_read2_b32 v[36:37], v9 offset0:32 offset1:48
	ds_read2_b32 v[38:39], v9 offset0:64 offset1:80
	;; [unrolled: 1-line block ×3, first 2 shown]
	ds_read_b128 v[26:29], v17 offset:16
	ds_read2_b32 v[42:43], v9 offset0:128 offset1:144
	ds_read_b128 v[30:33], v17 offset:528
	ds_read2_b32 v[44:45], v9 offset0:160 offset1:176
	s_add_u32 s6, s6, 8
	s_addc_u32 s7, s7, 0
	v_cmp_gt_i64_e64 s12, s[2:3], s[6:7]
	s_and_b32 vcc_lo, exec_lo, s12
	s_waitcnt lgkmcnt(8)
	v_fmac_f32_e32 v8, v34, v18
	v_fmac_f32_e32 v4, v35, v18
	s_waitcnt lgkmcnt(7)
	v_fmac_f32_e32 v7, v34, v22
	v_fmac_f32_e32 v6, v35, v22
	ds_read2_b32 v[34:35], v9 offset0:192 offset1:208
	s_waitcnt lgkmcnt(7)
	v_fmac_f32_e32 v8, v36, v19
	v_fmac_f32_e32 v4, v37, v19
	;; [unrolled: 1-line block ×4, first 2 shown]
	ds_read2_b32 v[18:19], v9 offset0:224 offset1:240
	s_waitcnt lgkmcnt(7)
	v_fmac_f32_e32 v8, v38, v20
	v_fmac_f32_e32 v4, v39, v20
	;; [unrolled: 1-line block ×4, first 2 shown]
	s_waitcnt lgkmcnt(0)
	v_fmac_f32_e32 v8, v40, v21
	v_fmac_f32_e32 v4, v41, v21
	;; [unrolled: 1-line block ×4, first 2 shown]
	s_barrier
	v_fmac_f32_e32 v8, v42, v26
	v_fmac_f32_e32 v4, v43, v26
	;; [unrolled: 1-line block ×4, first 2 shown]
	buffer_gl0_inv
	v_fmac_f32_e32 v8, v44, v27
	v_fmac_f32_e32 v4, v45, v27
	;; [unrolled: 1-line block ×12, first 2 shown]
	s_cbranch_vccz .LBB176_12
.LBB176_6:                              ; =>This Inner Loop Header: Depth=1
	v_mov_b32_e32 v18, 0
	s_and_saveexec_b32 s12, s0
	s_cbranch_execz .LBB176_10
; %bb.7:                                ;   in Loop: Header=BB176_6 Depth=1
	v_add_nc_u32_e32 v2, s6, v10
	v_mov_b32_e32 v18, 0
	s_mov_b32 s13, exec_lo
	v_cmpx_gt_u64_e64 s[2:3], v[2:3]
	s_cbranch_execz .LBB176_9
; %bb.8:                                ;   in Loop: Header=BB176_6 Depth=1
	v_lshlrev_b64 v[18:19], 2, v[2:3]
	v_add_co_u32 v18, vcc_lo, v15, v18
	v_add_co_ci_u32_e64 v19, null, v16, v19, vcc_lo
	global_load_dword v18, v[18:19], off
.LBB176_9:                              ;   in Loop: Header=BB176_6 Depth=1
	s_or_b32 exec_lo, exec_lo, s13
.LBB176_10:                             ;   in Loop: Header=BB176_6 Depth=1
	s_or_b32 exec_lo, exec_lo, s12
	v_add_nc_u32_e32 v2, s6, v5
	v_mov_b32_e32 v19, 0
	s_waitcnt vmcnt(0)
	ds_write_b32 v11, v18
	v_cmp_gt_u64_e32 vcc_lo, s[2:3], v[2:3]
	s_and_b32 s13, vcc_lo, s1
	s_and_saveexec_b32 s12, s13
	s_cbranch_execz .LBB176_5
; %bb.11:                               ;   in Loop: Header=BB176_6 Depth=1
	v_mad_u64_u32 v[18:19], null, s20, v2, 0
	v_mad_u64_u32 v[19:20], null, s21, v2, v[19:20]
	v_lshlrev_b64 v[18:19], 2, v[18:19]
	v_add_co_u32 v18, vcc_lo, v13, v18
	v_add_co_ci_u32_e64 v19, null, v14, v19, vcc_lo
	global_load_dword v19, v[18:19], off
	s_branch .LBB176_5
.LBB176_12:
	s_clause 0x1
	s_load_dwordx4 s[12:15], s[4:5], 0x50
	s_load_dwordx2 s[2:3], s[4:5], 0x60
	v_add_nc_u32_e32 v10, s25, v1
	v_add_nc_u32_e32 v0, s24, v0
	v_ashrrev_i32_e32 v1, 31, v10
	v_cmp_le_i32_e32 vcc_lo, v10, v0
	s_waitcnt lgkmcnt(0)
	v_cmp_gt_i32_e64 s0, s11, v0
	v_mul_lo_u32 v3, s14, v1
	v_mul_lo_u32 v5, s15, v10
	v_mad_u64_u32 v[1:2], null, s14, v10, 0
	s_mul_i32 s1, s3, s8
	s_mul_hi_u32 s3, s2, s8
	s_mul_i32 s2, s2, s8
	s_add_i32 s3, s3, s1
	s_lshl_b64 s[4:5], s[2:3], 2
	v_add3_u32 v2, v2, v3, v5
	v_cmp_neq_f32_e64 s2, s9, 0
	s_add_u32 s3, s12, s4
	s_addc_u32 s4, s13, s5
	s_and_b32 s5, vcc_lo, s0
	v_lshlrev_b64 v[2:3], 2, v[1:2]
	v_ashrrev_i32_e32 v1, 31, v0
	v_cndmask_b32_e64 v9, 0, 1, s2
	v_add_co_u32 v5, s1, s3, v2
	v_add_co_ci_u32_e64 v11, null, s4, v3, s1
	s_and_saveexec_b32 s1, s5
	s_cbranch_execz .LBB176_16
; %bb.13:
	v_lshlrev_b64 v[2:3], 2, v[0:1]
	v_mul_f32_e32 v8, s10, v8
	v_add_co_u32 v2, vcc_lo, v5, v2
	v_add_co_ci_u32_e64 v3, null, v11, v3, vcc_lo
	s_andn2_b32 vcc_lo, exec_lo, s2
	s_cbranch_vccnz .LBB176_15
; %bb.14:
	global_load_dword v12, v[2:3], off
	s_waitcnt vmcnt(0)
	v_fmac_f32_e32 v8, s9, v12
.LBB176_15:
	global_store_dword v[2:3], v8, off
.LBB176_16:
	s_or_b32 exec_lo, exec_lo, s1
	v_add_nc_u32_e32 v2, 16, v0
	v_cmp_le_i32_e32 vcc_lo, v10, v2
	v_cmp_gt_i32_e64 s1, s11, v2
	v_ashrrev_i32_e32 v3, 31, v2
	s_and_b32 s2, vcc_lo, s1
	s_and_saveexec_b32 s5, s2
	s_cbranch_execz .LBB176_20
; %bb.17:
	v_lshlrev_b64 v[12:13], 2, v[2:3]
	v_mul_f32_e32 v8, s10, v4
	v_cmp_ne_u32_e32 vcc_lo, 1, v9
	v_add_co_u32 v4, s2, v5, v12
	v_add_co_ci_u32_e64 v5, null, v11, v13, s2
	s_cbranch_vccnz .LBB176_19
; %bb.18:
	global_load_dword v11, v[4:5], off
	s_waitcnt vmcnt(0)
	v_fmac_f32_e32 v8, s9, v11
.LBB176_19:
	global_store_dword v[4:5], v8, off
.LBB176_20:
	s_or_b32 exec_lo, exec_lo, s5
	v_add_nc_u32_e32 v8, 16, v10
	v_ashrrev_i32_e32 v10, 31, v8
	v_mul_lo_u32 v11, s15, v8
	v_mad_u64_u32 v[4:5], null, s14, v8, 0
	v_cmp_le_i32_e32 vcc_lo, v8, v0
	v_mul_lo_u32 v10, s14, v10
	s_and_b32 s0, vcc_lo, s0
	v_add3_u32 v5, v5, v10, v11
	v_lshlrev_b64 v[4:5], 2, v[4:5]
	v_add_co_u32 v4, s2, s3, v4
	v_add_co_ci_u32_e64 v5, null, s4, v5, s2
	s_and_saveexec_b32 s2, s0
	s_cbranch_execz .LBB176_24
; %bb.21:
	v_lshlrev_b64 v[0:1], 2, v[0:1]
	v_cmp_ne_u32_e32 vcc_lo, 1, v9
	v_mul_f32_e32 v7, s10, v7
	v_add_co_u32 v0, s0, v4, v0
	v_add_co_ci_u32_e64 v1, null, v5, v1, s0
	s_cbranch_vccnz .LBB176_23
; %bb.22:
	global_load_dword v10, v[0:1], off
	s_waitcnt vmcnt(0)
	v_fmac_f32_e32 v7, s9, v10
.LBB176_23:
	global_store_dword v[0:1], v7, off
.LBB176_24:
	s_or_b32 exec_lo, exec_lo, s2
	v_cmp_le_i32_e32 vcc_lo, v8, v2
	s_and_b32 s0, vcc_lo, s1
	s_and_saveexec_b32 s1, s0
	s_cbranch_execz .LBB176_28
; %bb.25:
	v_lshlrev_b64 v[0:1], 2, v[2:3]
	v_cmp_ne_u32_e32 vcc_lo, 1, v9
	v_mul_f32_e32 v2, s10, v6
	v_add_co_u32 v0, s0, v4, v0
	v_add_co_ci_u32_e64 v1, null, v5, v1, s0
	s_cbranch_vccnz .LBB176_27
; %bb.26:
	global_load_dword v3, v[0:1], off
	s_waitcnt vmcnt(0)
	v_fmac_f32_e32 v2, s9, v3
.LBB176_27:
	global_store_dword v[0:1], v2, off
.LBB176_28:
	s_endpgm
	.section	.rodata,"a",@progbits
	.p2align	6, 0x0
	.amdhsa_kernel _ZL29rocblas_internal_gemmt_kernelIlLi16ELi32ELi8ELc84ELc67ELc76ELb0ELb0EffPKfPfEviT_T9_T10_S3_lS5_S3_lS4_T11_S3_li
		.amdhsa_group_segment_fixed_size 2048
		.amdhsa_private_segment_fixed_size 0
		.amdhsa_kernarg_size 108
		.amdhsa_user_sgpr_count 6
		.amdhsa_user_sgpr_private_segment_buffer 1
		.amdhsa_user_sgpr_dispatch_ptr 0
		.amdhsa_user_sgpr_queue_ptr 0
		.amdhsa_user_sgpr_kernarg_segment_ptr 1
		.amdhsa_user_sgpr_dispatch_id 0
		.amdhsa_user_sgpr_flat_scratch_init 0
		.amdhsa_user_sgpr_private_segment_size 0
		.amdhsa_wavefront_size32 1
		.amdhsa_uses_dynamic_stack 0
		.amdhsa_system_sgpr_private_segment_wavefront_offset 0
		.amdhsa_system_sgpr_workgroup_id_x 1
		.amdhsa_system_sgpr_workgroup_id_y 1
		.amdhsa_system_sgpr_workgroup_id_z 1
		.amdhsa_system_sgpr_workgroup_info 0
		.amdhsa_system_vgpr_workitem_id 1
		.amdhsa_next_free_vgpr 46
		.amdhsa_next_free_sgpr 26
		.amdhsa_reserve_vcc 1
		.amdhsa_reserve_flat_scratch 0
		.amdhsa_float_round_mode_32 0
		.amdhsa_float_round_mode_16_64 0
		.amdhsa_float_denorm_mode_32 3
		.amdhsa_float_denorm_mode_16_64 3
		.amdhsa_dx10_clamp 1
		.amdhsa_ieee_mode 1
		.amdhsa_fp16_overflow 0
		.amdhsa_workgroup_processor_mode 1
		.amdhsa_memory_ordered 1
		.amdhsa_forward_progress 1
		.amdhsa_shared_vgpr_count 0
		.amdhsa_exception_fp_ieee_invalid_op 0
		.amdhsa_exception_fp_denorm_src 0
		.amdhsa_exception_fp_ieee_div_zero 0
		.amdhsa_exception_fp_ieee_overflow 0
		.amdhsa_exception_fp_ieee_underflow 0
		.amdhsa_exception_fp_ieee_inexact 0
		.amdhsa_exception_int_div_zero 0
	.end_amdhsa_kernel
	.section	.text._ZL29rocblas_internal_gemmt_kernelIlLi16ELi32ELi8ELc84ELc67ELc76ELb0ELb0EffPKfPfEviT_T9_T10_S3_lS5_S3_lS4_T11_S3_li,"axG",@progbits,_ZL29rocblas_internal_gemmt_kernelIlLi16ELi32ELi8ELc84ELc67ELc76ELb0ELb0EffPKfPfEviT_T9_T10_S3_lS5_S3_lS4_T11_S3_li,comdat
.Lfunc_end176:
	.size	_ZL29rocblas_internal_gemmt_kernelIlLi16ELi32ELi8ELc84ELc67ELc76ELb0ELb0EffPKfPfEviT_T9_T10_S3_lS5_S3_lS4_T11_S3_li, .Lfunc_end176-_ZL29rocblas_internal_gemmt_kernelIlLi16ELi32ELi8ELc84ELc67ELc76ELb0ELb0EffPKfPfEviT_T9_T10_S3_lS5_S3_lS4_T11_S3_li
                                        ; -- End function
	.set _ZL29rocblas_internal_gemmt_kernelIlLi16ELi32ELi8ELc84ELc67ELc76ELb0ELb0EffPKfPfEviT_T9_T10_S3_lS5_S3_lS4_T11_S3_li.num_vgpr, 46
	.set _ZL29rocblas_internal_gemmt_kernelIlLi16ELi32ELi8ELc84ELc67ELc76ELb0ELb0EffPKfPfEviT_T9_T10_S3_lS5_S3_lS4_T11_S3_li.num_agpr, 0
	.set _ZL29rocblas_internal_gemmt_kernelIlLi16ELi32ELi8ELc84ELc67ELc76ELb0ELb0EffPKfPfEviT_T9_T10_S3_lS5_S3_lS4_T11_S3_li.numbered_sgpr, 26
	.set _ZL29rocblas_internal_gemmt_kernelIlLi16ELi32ELi8ELc84ELc67ELc76ELb0ELb0EffPKfPfEviT_T9_T10_S3_lS5_S3_lS4_T11_S3_li.num_named_barrier, 0
	.set _ZL29rocblas_internal_gemmt_kernelIlLi16ELi32ELi8ELc84ELc67ELc76ELb0ELb0EffPKfPfEviT_T9_T10_S3_lS5_S3_lS4_T11_S3_li.private_seg_size, 0
	.set _ZL29rocblas_internal_gemmt_kernelIlLi16ELi32ELi8ELc84ELc67ELc76ELb0ELb0EffPKfPfEviT_T9_T10_S3_lS5_S3_lS4_T11_S3_li.uses_vcc, 1
	.set _ZL29rocblas_internal_gemmt_kernelIlLi16ELi32ELi8ELc84ELc67ELc76ELb0ELb0EffPKfPfEviT_T9_T10_S3_lS5_S3_lS4_T11_S3_li.uses_flat_scratch, 0
	.set _ZL29rocblas_internal_gemmt_kernelIlLi16ELi32ELi8ELc84ELc67ELc76ELb0ELb0EffPKfPfEviT_T9_T10_S3_lS5_S3_lS4_T11_S3_li.has_dyn_sized_stack, 0
	.set _ZL29rocblas_internal_gemmt_kernelIlLi16ELi32ELi8ELc84ELc67ELc76ELb0ELb0EffPKfPfEviT_T9_T10_S3_lS5_S3_lS4_T11_S3_li.has_recursion, 0
	.set _ZL29rocblas_internal_gemmt_kernelIlLi16ELi32ELi8ELc84ELc67ELc76ELb0ELb0EffPKfPfEviT_T9_T10_S3_lS5_S3_lS4_T11_S3_li.has_indirect_call, 0
	.section	.AMDGPU.csdata,"",@progbits
; Kernel info:
; codeLenInByte = 1448
; TotalNumSgprs: 28
; NumVgprs: 46
; ScratchSize: 0
; MemoryBound: 0
; FloatMode: 240
; IeeeMode: 1
; LDSByteSize: 2048 bytes/workgroup (compile time only)
; SGPRBlocks: 0
; VGPRBlocks: 5
; NumSGPRsForWavesPerEU: 28
; NumVGPRsForWavesPerEU: 46
; Occupancy: 16
; WaveLimiterHint : 0
; COMPUTE_PGM_RSRC2:SCRATCH_EN: 0
; COMPUTE_PGM_RSRC2:USER_SGPR: 6
; COMPUTE_PGM_RSRC2:TRAP_HANDLER: 0
; COMPUTE_PGM_RSRC2:TGID_X_EN: 1
; COMPUTE_PGM_RSRC2:TGID_Y_EN: 1
; COMPUTE_PGM_RSRC2:TGID_Z_EN: 1
; COMPUTE_PGM_RSRC2:TIDIG_COMP_CNT: 1
	.section	.text._ZL29rocblas_internal_gemmt_kernelIlLi16ELi32ELi8ELc67ELc78ELc76ELb0ELb0EffPKfPfEviT_T9_T10_S3_lS5_S3_lS4_T11_S3_li,"axG",@progbits,_ZL29rocblas_internal_gemmt_kernelIlLi16ELi32ELi8ELc67ELc78ELc76ELb0ELb0EffPKfPfEviT_T9_T10_S3_lS5_S3_lS4_T11_S3_li,comdat
	.globl	_ZL29rocblas_internal_gemmt_kernelIlLi16ELi32ELi8ELc67ELc78ELc76ELb0ELb0EffPKfPfEviT_T9_T10_S3_lS5_S3_lS4_T11_S3_li ; -- Begin function _ZL29rocblas_internal_gemmt_kernelIlLi16ELi32ELi8ELc67ELc78ELc76ELb0ELb0EffPKfPfEviT_T9_T10_S3_lS5_S3_lS4_T11_S3_li
	.p2align	8
	.type	_ZL29rocblas_internal_gemmt_kernelIlLi16ELi32ELi8ELc67ELc78ELc76ELb0ELb0EffPKfPfEviT_T9_T10_S3_lS5_S3_lS4_T11_S3_li,@function
_ZL29rocblas_internal_gemmt_kernelIlLi16ELi32ELi8ELc67ELc78ELc76ELb0ELb0EffPKfPfEviT_T9_T10_S3_lS5_S3_lS4_T11_S3_li: ; @_ZL29rocblas_internal_gemmt_kernelIlLi16ELi32ELi8ELc67ELc78ELc76ELb0ELb0EffPKfPfEviT_T9_T10_S3_lS5_S3_lS4_T11_S3_li
; %bb.0:
	s_clause 0x2
	s_load_dword s9, s[4:5], 0x48
	s_load_dwordx2 s[10:11], s[4:5], 0x8
	s_load_dword s20, s[4:5], 0x10
	s_waitcnt lgkmcnt(0)
	v_cmp_neq_f32_e64 s0, s9, 1.0
	s_and_b32 vcc_lo, exec_lo, s0
	s_cbranch_vccnz .LBB177_2
; %bb.1:
	v_cmp_neq_f32_e64 s0, s20, 0
	s_cmp_lg_u64 s[10:11], 0
	s_cselect_b32 s1, -1, 0
	s_and_b32 s0, s1, s0
.LBB177_2:
	s_andn2_b32 vcc_lo, exec_lo, s0
	s_cbranch_vccnz .LBB177_28
; %bb.3:
	s_load_dword s21, s[4:5], 0x0
	v_cmp_lt_i64_e64 s0, s[10:11], 1
	v_cmp_eq_f32_e64 s1, s20, 0
	v_mov_b32_e32 v8, 0
	v_mov_b32_e32 v4, 0
	;; [unrolled: 1-line block ×4, first 2 shown]
	s_or_b32 s0, s1, s0
	s_lshl_b32 s6, s6, 5
	s_and_b32 vcc_lo, exec_lo, s0
	s_lshl_b32 s7, s7, 5
	s_cbranch_vccnz .LBB177_12
; %bb.4:
	s_clause 0x1
	s_load_dwordx4 s[0:3], s[4:5], 0x38
	s_load_dwordx8 s[12:19], s[4:5], 0x18
	v_lshl_add_u32 v4, v1, 4, v0
	v_and_b32_e32 v5, 7, v0
	v_lshl_add_u32 v17, v1, 5, 0x400
	v_lshrrev_b32_e32 v8, 3, v4
	v_and_b32_e32 v10, 31, v4
	v_lshlrev_b32_e32 v16, 2, v5
	v_lshrrev_b32_e32 v9, 5, v4
	v_add_nc_u32_e32 v11, s7, v8
	v_or_b32_e32 v12, s6, v10
	v_lshlrev_b32_e32 v4, 2, v10
	v_lshl_or_b32 v8, v8, 5, v16
	v_lshlrev_b32_e32 v16, 2, v0
	v_ashrrev_i32_e32 v6, 31, v11
	v_lshl_or_b32 v10, v9, 7, v4
	s_waitcnt lgkmcnt(0)
	s_mul_i32 s3, s3, s8
	s_mul_hi_u32 s22, s2, s8
	s_mul_i32 s2, s2, s8
	s_add_i32 s3, s22, s3
	s_mul_i32 s17, s17, s8
	s_lshl_b64 s[2:3], s[2:3], 2
	s_mul_hi_u32 s23, s16, s8
	v_mul_lo_u32 v13, s15, v12
	s_add_u32 s15, s18, s2
	s_mul_i32 s16, s16, s8
	s_addc_u32 s18, s19, s3
	s_add_i32 s17, s23, s17
	v_mad_u64_u32 v[2:3], null, s14, v12, 0
	s_lshl_b64 s[2:3], s[16:17], 2
	v_mul_lo_u32 v14, s0, v6
	v_mul_lo_u32 v15, s1, v11
	v_mad_u64_u32 v[6:7], null, s0, v11, 0
	s_add_u32 s2, s12, s2
	s_addc_u32 s3, s13, s3
	s_ashr_i32 s0, s6, 31
	v_cmp_gt_i32_e64 s1, s21, v11
	s_mul_i32 s0, s14, s0
	v_add_nc_u32_e32 v11, 0x400, v8
	v_add3_u32 v3, v3, s0, v13
	v_add3_u32 v7, v7, v14, v15
	v_cmp_gt_i32_e64 s0, s21, v12
	v_mov_b32_e32 v4, 0
	v_mov_b32_e32 v8, 0
	v_lshlrev_b64 v[2:3], 2, v[2:3]
	v_lshlrev_b64 v[6:7], 2, v[6:7]
	v_add_co_u32 v12, vcc_lo, s2, v2
	v_add_co_ci_u32_e64 v13, null, s3, v3, vcc_lo
	v_add_co_u32 v14, vcc_lo, s15, v6
	v_add_co_ci_u32_e64 v15, null, s18, v7, vcc_lo
	v_mov_b32_e32 v3, 0
	v_mov_b32_e32 v6, 0
	;; [unrolled: 1-line block ×3, first 2 shown]
	s_mov_b64 s[2:3], 0
	s_branch .LBB177_6
.LBB177_5:                              ;   in Loop: Header=BB177_6 Depth=1
	s_or_b32 exec_lo, exec_lo, s12
	s_waitcnt vmcnt(0)
	ds_write_b32 v11, v19
	s_waitcnt lgkmcnt(0)
	s_barrier
	buffer_gl0_inv
	ds_read_b128 v[18:21], v17
	ds_read2_b32 v[34:35], v16 offset1:16
	ds_read_b128 v[22:25], v17 offset:512
	ds_read2_b32 v[36:37], v16 offset0:32 offset1:48
	ds_read2_b32 v[38:39], v16 offset0:64 offset1:80
	;; [unrolled: 1-line block ×3, first 2 shown]
	ds_read_b128 v[26:29], v17 offset:16
	ds_read2_b32 v[42:43], v16 offset0:128 offset1:144
	ds_read_b128 v[30:33], v17 offset:528
	ds_read2_b32 v[44:45], v16 offset0:160 offset1:176
	s_add_u32 s2, s2, 8
	s_addc_u32 s3, s3, 0
	v_cmp_gt_i64_e64 s12, s[10:11], s[2:3]
	s_and_b32 vcc_lo, exec_lo, s12
	s_waitcnt lgkmcnt(8)
	v_fmac_f32_e32 v8, v34, v18
	v_fmac_f32_e32 v4, v35, v18
	s_waitcnt lgkmcnt(7)
	v_fmac_f32_e32 v7, v34, v22
	v_fmac_f32_e32 v6, v35, v22
	ds_read2_b32 v[34:35], v16 offset0:192 offset1:208
	s_waitcnt lgkmcnt(7)
	v_fmac_f32_e32 v8, v36, v19
	v_fmac_f32_e32 v4, v37, v19
	;; [unrolled: 1-line block ×4, first 2 shown]
	ds_read2_b32 v[18:19], v16 offset0:224 offset1:240
	s_waitcnt lgkmcnt(7)
	v_fmac_f32_e32 v8, v38, v20
	v_fmac_f32_e32 v4, v39, v20
	;; [unrolled: 1-line block ×4, first 2 shown]
	s_waitcnt lgkmcnt(0)
	v_fmac_f32_e32 v8, v40, v21
	v_fmac_f32_e32 v4, v41, v21
	v_fmac_f32_e32 v7, v40, v25
	v_fmac_f32_e32 v6, v41, v25
	s_barrier
	v_fmac_f32_e32 v8, v42, v26
	v_fmac_f32_e32 v4, v43, v26
	;; [unrolled: 1-line block ×4, first 2 shown]
	buffer_gl0_inv
	v_fmac_f32_e32 v8, v44, v27
	v_fmac_f32_e32 v4, v45, v27
	;; [unrolled: 1-line block ×12, first 2 shown]
	s_cbranch_vccz .LBB177_12
.LBB177_6:                              ; =>This Inner Loop Header: Depth=1
	v_mov_b32_e32 v18, 0
	s_and_saveexec_b32 s12, s0
	s_cbranch_execz .LBB177_10
; %bb.7:                                ;   in Loop: Header=BB177_6 Depth=1
	v_add_nc_u32_e32 v2, s2, v9
	v_mov_b32_e32 v18, 0
	s_mov_b32 s13, exec_lo
	v_cmpx_gt_u64_e64 s[10:11], v[2:3]
	s_cbranch_execz .LBB177_9
; %bb.8:                                ;   in Loop: Header=BB177_6 Depth=1
	v_lshlrev_b64 v[18:19], 2, v[2:3]
	v_add_co_u32 v18, vcc_lo, v12, v18
	v_add_co_ci_u32_e64 v19, null, v13, v19, vcc_lo
	global_load_dword v18, v[18:19], off
.LBB177_9:                              ;   in Loop: Header=BB177_6 Depth=1
	s_or_b32 exec_lo, exec_lo, s13
.LBB177_10:                             ;   in Loop: Header=BB177_6 Depth=1
	s_or_b32 exec_lo, exec_lo, s12
	v_add_nc_u32_e32 v2, s2, v5
	v_mov_b32_e32 v19, 0
	s_waitcnt vmcnt(0)
	ds_write_b32 v10, v18
	v_cmp_gt_u64_e32 vcc_lo, s[10:11], v[2:3]
	s_and_b32 s13, vcc_lo, s1
	s_and_saveexec_b32 s12, s13
	s_cbranch_execz .LBB177_5
; %bb.11:                               ;   in Loop: Header=BB177_6 Depth=1
	v_lshlrev_b64 v[18:19], 2, v[2:3]
	v_add_co_u32 v18, vcc_lo, v14, v18
	v_add_co_ci_u32_e64 v19, null, v15, v19, vcc_lo
	global_load_dword v19, v[18:19], off
	s_branch .LBB177_5
.LBB177_12:
	s_clause 0x1
	s_load_dwordx4 s[12:15], s[4:5], 0x50
	s_load_dwordx2 s[2:3], s[4:5], 0x60
	v_add_nc_u32_e32 v10, s7, v1
	v_add_nc_u32_e32 v0, s6, v0
	v_ashrrev_i32_e32 v1, 31, v10
	v_cmp_le_i32_e32 vcc_lo, v10, v0
	s_waitcnt lgkmcnt(0)
	v_cmp_gt_i32_e64 s0, s21, v0
	v_mul_lo_u32 v3, s14, v1
	v_mul_lo_u32 v5, s15, v10
	v_mad_u64_u32 v[1:2], null, s14, v10, 0
	s_mul_i32 s1, s3, s8
	s_mul_hi_u32 s3, s2, s8
	s_mul_i32 s2, s2, s8
	s_add_i32 s3, s3, s1
	s_lshl_b64 s[4:5], s[2:3], 2
	v_add3_u32 v2, v2, v3, v5
	v_cmp_neq_f32_e64 s2, s9, 0
	s_add_u32 s3, s12, s4
	s_addc_u32 s4, s13, s5
	s_and_b32 s5, vcc_lo, s0
	v_lshlrev_b64 v[2:3], 2, v[1:2]
	v_ashrrev_i32_e32 v1, 31, v0
	v_cndmask_b32_e64 v9, 0, 1, s2
	v_add_co_u32 v5, s1, s3, v2
	v_add_co_ci_u32_e64 v11, null, s4, v3, s1
	s_and_saveexec_b32 s1, s5
	s_cbranch_execz .LBB177_16
; %bb.13:
	v_lshlrev_b64 v[2:3], 2, v[0:1]
	v_mul_f32_e32 v8, s20, v8
	v_add_co_u32 v2, vcc_lo, v5, v2
	v_add_co_ci_u32_e64 v3, null, v11, v3, vcc_lo
	s_andn2_b32 vcc_lo, exec_lo, s2
	s_cbranch_vccnz .LBB177_15
; %bb.14:
	global_load_dword v12, v[2:3], off
	s_waitcnt vmcnt(0)
	v_fmac_f32_e32 v8, s9, v12
.LBB177_15:
	global_store_dword v[2:3], v8, off
.LBB177_16:
	s_or_b32 exec_lo, exec_lo, s1
	v_add_nc_u32_e32 v2, 16, v0
	v_cmp_le_i32_e32 vcc_lo, v10, v2
	v_cmp_gt_i32_e64 s1, s21, v2
	v_ashrrev_i32_e32 v3, 31, v2
	s_and_b32 s2, vcc_lo, s1
	s_and_saveexec_b32 s5, s2
	s_cbranch_execz .LBB177_20
; %bb.17:
	v_lshlrev_b64 v[12:13], 2, v[2:3]
	v_mul_f32_e32 v8, s20, v4
	v_cmp_ne_u32_e32 vcc_lo, 1, v9
	v_add_co_u32 v4, s2, v5, v12
	v_add_co_ci_u32_e64 v5, null, v11, v13, s2
	s_cbranch_vccnz .LBB177_19
; %bb.18:
	global_load_dword v11, v[4:5], off
	s_waitcnt vmcnt(0)
	v_fmac_f32_e32 v8, s9, v11
.LBB177_19:
	global_store_dword v[4:5], v8, off
.LBB177_20:
	s_or_b32 exec_lo, exec_lo, s5
	v_add_nc_u32_e32 v8, 16, v10
	v_ashrrev_i32_e32 v10, 31, v8
	v_mul_lo_u32 v11, s15, v8
	v_mad_u64_u32 v[4:5], null, s14, v8, 0
	v_cmp_le_i32_e32 vcc_lo, v8, v0
	v_mul_lo_u32 v10, s14, v10
	s_and_b32 s0, vcc_lo, s0
	v_add3_u32 v5, v5, v10, v11
	v_lshlrev_b64 v[4:5], 2, v[4:5]
	v_add_co_u32 v4, s2, s3, v4
	v_add_co_ci_u32_e64 v5, null, s4, v5, s2
	s_and_saveexec_b32 s2, s0
	s_cbranch_execz .LBB177_24
; %bb.21:
	v_lshlrev_b64 v[0:1], 2, v[0:1]
	v_cmp_ne_u32_e32 vcc_lo, 1, v9
	v_mul_f32_e32 v7, s20, v7
	v_add_co_u32 v0, s0, v4, v0
	v_add_co_ci_u32_e64 v1, null, v5, v1, s0
	s_cbranch_vccnz .LBB177_23
; %bb.22:
	global_load_dword v10, v[0:1], off
	s_waitcnt vmcnt(0)
	v_fmac_f32_e32 v7, s9, v10
.LBB177_23:
	global_store_dword v[0:1], v7, off
.LBB177_24:
	s_or_b32 exec_lo, exec_lo, s2
	v_cmp_le_i32_e32 vcc_lo, v8, v2
	s_and_b32 s0, vcc_lo, s1
	s_and_saveexec_b32 s1, s0
	s_cbranch_execz .LBB177_28
; %bb.25:
	v_lshlrev_b64 v[0:1], 2, v[2:3]
	v_cmp_ne_u32_e32 vcc_lo, 1, v9
	v_mul_f32_e32 v2, s20, v6
	v_add_co_u32 v0, s0, v4, v0
	v_add_co_ci_u32_e64 v1, null, v5, v1, s0
	s_cbranch_vccnz .LBB177_27
; %bb.26:
	global_load_dword v3, v[0:1], off
	s_waitcnt vmcnt(0)
	v_fmac_f32_e32 v2, s9, v3
.LBB177_27:
	global_store_dword v[0:1], v2, off
.LBB177_28:
	s_endpgm
	.section	.rodata,"a",@progbits
	.p2align	6, 0x0
	.amdhsa_kernel _ZL29rocblas_internal_gemmt_kernelIlLi16ELi32ELi8ELc67ELc78ELc76ELb0ELb0EffPKfPfEviT_T9_T10_S3_lS5_S3_lS4_T11_S3_li
		.amdhsa_group_segment_fixed_size 2048
		.amdhsa_private_segment_fixed_size 0
		.amdhsa_kernarg_size 108
		.amdhsa_user_sgpr_count 6
		.amdhsa_user_sgpr_private_segment_buffer 1
		.amdhsa_user_sgpr_dispatch_ptr 0
		.amdhsa_user_sgpr_queue_ptr 0
		.amdhsa_user_sgpr_kernarg_segment_ptr 1
		.amdhsa_user_sgpr_dispatch_id 0
		.amdhsa_user_sgpr_flat_scratch_init 0
		.amdhsa_user_sgpr_private_segment_size 0
		.amdhsa_wavefront_size32 1
		.amdhsa_uses_dynamic_stack 0
		.amdhsa_system_sgpr_private_segment_wavefront_offset 0
		.amdhsa_system_sgpr_workgroup_id_x 1
		.amdhsa_system_sgpr_workgroup_id_y 1
		.amdhsa_system_sgpr_workgroup_id_z 1
		.amdhsa_system_sgpr_workgroup_info 0
		.amdhsa_system_vgpr_workitem_id 1
		.amdhsa_next_free_vgpr 46
		.amdhsa_next_free_sgpr 24
		.amdhsa_reserve_vcc 1
		.amdhsa_reserve_flat_scratch 0
		.amdhsa_float_round_mode_32 0
		.amdhsa_float_round_mode_16_64 0
		.amdhsa_float_denorm_mode_32 3
		.amdhsa_float_denorm_mode_16_64 3
		.amdhsa_dx10_clamp 1
		.amdhsa_ieee_mode 1
		.amdhsa_fp16_overflow 0
		.amdhsa_workgroup_processor_mode 1
		.amdhsa_memory_ordered 1
		.amdhsa_forward_progress 1
		.amdhsa_shared_vgpr_count 0
		.amdhsa_exception_fp_ieee_invalid_op 0
		.amdhsa_exception_fp_denorm_src 0
		.amdhsa_exception_fp_ieee_div_zero 0
		.amdhsa_exception_fp_ieee_overflow 0
		.amdhsa_exception_fp_ieee_underflow 0
		.amdhsa_exception_fp_ieee_inexact 0
		.amdhsa_exception_int_div_zero 0
	.end_amdhsa_kernel
	.section	.text._ZL29rocblas_internal_gemmt_kernelIlLi16ELi32ELi8ELc67ELc78ELc76ELb0ELb0EffPKfPfEviT_T9_T10_S3_lS5_S3_lS4_T11_S3_li,"axG",@progbits,_ZL29rocblas_internal_gemmt_kernelIlLi16ELi32ELi8ELc67ELc78ELc76ELb0ELb0EffPKfPfEviT_T9_T10_S3_lS5_S3_lS4_T11_S3_li,comdat
.Lfunc_end177:
	.size	_ZL29rocblas_internal_gemmt_kernelIlLi16ELi32ELi8ELc67ELc78ELc76ELb0ELb0EffPKfPfEviT_T9_T10_S3_lS5_S3_lS4_T11_S3_li, .Lfunc_end177-_ZL29rocblas_internal_gemmt_kernelIlLi16ELi32ELi8ELc67ELc78ELc76ELb0ELb0EffPKfPfEviT_T9_T10_S3_lS5_S3_lS4_T11_S3_li
                                        ; -- End function
	.set _ZL29rocblas_internal_gemmt_kernelIlLi16ELi32ELi8ELc67ELc78ELc76ELb0ELb0EffPKfPfEviT_T9_T10_S3_lS5_S3_lS4_T11_S3_li.num_vgpr, 46
	.set _ZL29rocblas_internal_gemmt_kernelIlLi16ELi32ELi8ELc67ELc78ELc76ELb0ELb0EffPKfPfEviT_T9_T10_S3_lS5_S3_lS4_T11_S3_li.num_agpr, 0
	.set _ZL29rocblas_internal_gemmt_kernelIlLi16ELi32ELi8ELc67ELc78ELc76ELb0ELb0EffPKfPfEviT_T9_T10_S3_lS5_S3_lS4_T11_S3_li.numbered_sgpr, 24
	.set _ZL29rocblas_internal_gemmt_kernelIlLi16ELi32ELi8ELc67ELc78ELc76ELb0ELb0EffPKfPfEviT_T9_T10_S3_lS5_S3_lS4_T11_S3_li.num_named_barrier, 0
	.set _ZL29rocblas_internal_gemmt_kernelIlLi16ELi32ELi8ELc67ELc78ELc76ELb0ELb0EffPKfPfEviT_T9_T10_S3_lS5_S3_lS4_T11_S3_li.private_seg_size, 0
	.set _ZL29rocblas_internal_gemmt_kernelIlLi16ELi32ELi8ELc67ELc78ELc76ELb0ELb0EffPKfPfEviT_T9_T10_S3_lS5_S3_lS4_T11_S3_li.uses_vcc, 1
	.set _ZL29rocblas_internal_gemmt_kernelIlLi16ELi32ELi8ELc67ELc78ELc76ELb0ELb0EffPKfPfEviT_T9_T10_S3_lS5_S3_lS4_T11_S3_li.uses_flat_scratch, 0
	.set _ZL29rocblas_internal_gemmt_kernelIlLi16ELi32ELi8ELc67ELc78ELc76ELb0ELb0EffPKfPfEviT_T9_T10_S3_lS5_S3_lS4_T11_S3_li.has_dyn_sized_stack, 0
	.set _ZL29rocblas_internal_gemmt_kernelIlLi16ELi32ELi8ELc67ELc78ELc76ELb0ELb0EffPKfPfEviT_T9_T10_S3_lS5_S3_lS4_T11_S3_li.has_recursion, 0
	.set _ZL29rocblas_internal_gemmt_kernelIlLi16ELi32ELi8ELc67ELc78ELc76ELb0ELb0EffPKfPfEviT_T9_T10_S3_lS5_S3_lS4_T11_S3_li.has_indirect_call, 0
	.section	.AMDGPU.csdata,"",@progbits
; Kernel info:
; codeLenInByte = 1464
; TotalNumSgprs: 26
; NumVgprs: 46
; ScratchSize: 0
; MemoryBound: 0
; FloatMode: 240
; IeeeMode: 1
; LDSByteSize: 2048 bytes/workgroup (compile time only)
; SGPRBlocks: 0
; VGPRBlocks: 5
; NumSGPRsForWavesPerEU: 26
; NumVGPRsForWavesPerEU: 46
; Occupancy: 16
; WaveLimiterHint : 0
; COMPUTE_PGM_RSRC2:SCRATCH_EN: 0
; COMPUTE_PGM_RSRC2:USER_SGPR: 6
; COMPUTE_PGM_RSRC2:TRAP_HANDLER: 0
; COMPUTE_PGM_RSRC2:TGID_X_EN: 1
; COMPUTE_PGM_RSRC2:TGID_Y_EN: 1
; COMPUTE_PGM_RSRC2:TGID_Z_EN: 1
; COMPUTE_PGM_RSRC2:TIDIG_COMP_CNT: 1
	.section	.text._ZL29rocblas_internal_gemmt_kernelIlLi16ELi32ELi8ELc67ELc84ELc76ELb0ELb0EffPKfPfEviT_T9_T10_S3_lS5_S3_lS4_T11_S3_li,"axG",@progbits,_ZL29rocblas_internal_gemmt_kernelIlLi16ELi32ELi8ELc67ELc84ELc76ELb0ELb0EffPKfPfEviT_T9_T10_S3_lS5_S3_lS4_T11_S3_li,comdat
	.globl	_ZL29rocblas_internal_gemmt_kernelIlLi16ELi32ELi8ELc67ELc84ELc76ELb0ELb0EffPKfPfEviT_T9_T10_S3_lS5_S3_lS4_T11_S3_li ; -- Begin function _ZL29rocblas_internal_gemmt_kernelIlLi16ELi32ELi8ELc67ELc84ELc76ELb0ELb0EffPKfPfEviT_T9_T10_S3_lS5_S3_lS4_T11_S3_li
	.p2align	8
	.type	_ZL29rocblas_internal_gemmt_kernelIlLi16ELi32ELi8ELc67ELc84ELc76ELb0ELb0EffPKfPfEviT_T9_T10_S3_lS5_S3_lS4_T11_S3_li,@function
_ZL29rocblas_internal_gemmt_kernelIlLi16ELi32ELi8ELc67ELc84ELc76ELb0ELb0EffPKfPfEviT_T9_T10_S3_lS5_S3_lS4_T11_S3_li: ; @_ZL29rocblas_internal_gemmt_kernelIlLi16ELi32ELi8ELc67ELc84ELc76ELb0ELb0EffPKfPfEviT_T9_T10_S3_lS5_S3_lS4_T11_S3_li
; %bb.0:
	s_clause 0x2
	s_load_dword s9, s[4:5], 0x48
	s_load_dwordx2 s[2:3], s[4:5], 0x8
	s_load_dword s10, s[4:5], 0x10
	s_waitcnt lgkmcnt(0)
	v_cmp_neq_f32_e64 s0, s9, 1.0
	s_and_b32 vcc_lo, exec_lo, s0
	s_cbranch_vccnz .LBB178_2
; %bb.1:
	v_cmp_neq_f32_e64 s0, s10, 0
	s_cmp_lg_u64 s[2:3], 0
	s_cselect_b32 s1, -1, 0
	s_and_b32 s0, s1, s0
.LBB178_2:
	s_andn2_b32 vcc_lo, exec_lo, s0
	s_cbranch_vccnz .LBB178_28
; %bb.3:
	s_load_dword s11, s[4:5], 0x0
	v_cmp_lt_i64_e64 s0, s[2:3], 1
	v_cmp_eq_f32_e64 s1, s10, 0
	v_mov_b32_e32 v8, 0
	v_mov_b32_e32 v4, 0
	;; [unrolled: 1-line block ×4, first 2 shown]
	s_or_b32 s0, s1, s0
	s_lshl_b32 s24, s6, 5
	s_and_b32 vcc_lo, exec_lo, s0
	s_lshl_b32 s25, s7, 5
	s_cbranch_vccnz .LBB178_12
; %bb.4:
	s_clause 0x1
	s_load_dwordx4 s[20:23], s[4:5], 0x38
	s_load_dwordx8 s[12:19], s[4:5], 0x18
	v_lshl_add_u32 v2, v1, 4, v0
	v_and_b32_e32 v5, 7, v0
	v_lshlrev_b32_e32 v9, 2, v0
	v_lshl_add_u32 v17, v1, 5, 0x400
	v_and_b32_e32 v3, 31, v2
	v_lshrrev_b32_e32 v4, 3, v2
	v_lshrrev_b32_e32 v10, 5, v2
	v_lshlrev_b32_e32 v8, 2, v5
	v_or_b32_e32 v11, s24, v3
	v_add_nc_u32_e32 v2, s25, v4
	v_lshlrev_b32_e32 v12, 2, v3
	v_lshl_or_b32 v8, v4, 5, v8
	v_ashrrev_i32_e32 v3, 31, v2
	s_waitcnt lgkmcnt(0)
	s_mul_i32 s1, s23, s8
	s_mul_hi_u32 s6, s22, s8
	s_mul_i32 s0, s22, s8
	s_add_i32 s1, s6, s1
	s_mul_i32 s7, s17, s8
	s_lshl_b64 s[0:1], s[0:1], 2
	s_mul_hi_u32 s17, s16, s8
	v_mul_lo_u32 v13, s15, v11
	s_add_u32 s15, s18, s0
	s_mul_i32 s6, s16, s8
	s_addc_u32 s16, s19, s1
	s_add_i32 s7, s17, s7
	v_mad_u64_u32 v[6:7], null, s14, v11, 0
	s_lshl_b64 s[0:1], s[6:7], 2
	v_lshlrev_b64 v[3:4], 2, v[2:3]
	s_add_u32 s6, s12, s0
	s_addc_u32 s7, s13, s1
	s_ashr_i32 s0, s24, 31
	s_mul_i32 s1, s14, s0
	v_cmp_gt_i32_e64 s0, s11, v11
	v_add3_u32 v7, v7, s1, v13
	v_add_co_u32 v13, vcc_lo, s15, v3
	v_add_co_ci_u32_e64 v14, null, s16, v4, vcc_lo
	v_lshlrev_b64 v[6:7], 2, v[6:7]
	v_lshl_or_b32 v11, v10, 7, v12
	v_cmp_gt_i32_e64 s1, s11, v2
	v_add_nc_u32_e32 v12, 0x400, v8
	v_mov_b32_e32 v3, 0
	v_mov_b32_e32 v4, 0
	v_add_co_u32 v15, vcc_lo, s6, v6
	v_add_co_ci_u32_e64 v16, null, s7, v7, vcc_lo
	v_mov_b32_e32 v6, 0
	v_mov_b32_e32 v7, 0
	;; [unrolled: 1-line block ×3, first 2 shown]
	s_mov_b64 s[6:7], 0
	s_branch .LBB178_6
.LBB178_5:                              ;   in Loop: Header=BB178_6 Depth=1
	s_or_b32 exec_lo, exec_lo, s12
	s_waitcnt vmcnt(0)
	ds_write_b32 v12, v19
	s_waitcnt lgkmcnt(0)
	s_barrier
	buffer_gl0_inv
	ds_read_b128 v[18:21], v17
	ds_read2_b32 v[34:35], v9 offset1:16
	ds_read_b128 v[22:25], v17 offset:512
	ds_read2_b32 v[36:37], v9 offset0:32 offset1:48
	ds_read2_b32 v[38:39], v9 offset0:64 offset1:80
	;; [unrolled: 1-line block ×3, first 2 shown]
	ds_read_b128 v[26:29], v17 offset:16
	ds_read2_b32 v[42:43], v9 offset0:128 offset1:144
	ds_read_b128 v[30:33], v17 offset:528
	ds_read2_b32 v[44:45], v9 offset0:160 offset1:176
	s_add_u32 s6, s6, 8
	s_addc_u32 s7, s7, 0
	v_cmp_gt_i64_e64 s12, s[2:3], s[6:7]
	s_and_b32 vcc_lo, exec_lo, s12
	s_waitcnt lgkmcnt(8)
	v_fmac_f32_e32 v8, v34, v18
	v_fmac_f32_e32 v4, v35, v18
	s_waitcnt lgkmcnt(7)
	v_fmac_f32_e32 v7, v34, v22
	v_fmac_f32_e32 v6, v35, v22
	ds_read2_b32 v[34:35], v9 offset0:192 offset1:208
	s_waitcnt lgkmcnt(7)
	v_fmac_f32_e32 v8, v36, v19
	v_fmac_f32_e32 v4, v37, v19
	;; [unrolled: 1-line block ×4, first 2 shown]
	ds_read2_b32 v[18:19], v9 offset0:224 offset1:240
	s_waitcnt lgkmcnt(7)
	v_fmac_f32_e32 v8, v38, v20
	v_fmac_f32_e32 v4, v39, v20
	;; [unrolled: 1-line block ×4, first 2 shown]
	s_waitcnt lgkmcnt(0)
	v_fmac_f32_e32 v8, v40, v21
	v_fmac_f32_e32 v4, v41, v21
	;; [unrolled: 1-line block ×4, first 2 shown]
	s_barrier
	v_fmac_f32_e32 v8, v42, v26
	v_fmac_f32_e32 v4, v43, v26
	;; [unrolled: 1-line block ×4, first 2 shown]
	buffer_gl0_inv
	v_fmac_f32_e32 v8, v44, v27
	v_fmac_f32_e32 v4, v45, v27
	;; [unrolled: 1-line block ×12, first 2 shown]
	s_cbranch_vccz .LBB178_12
.LBB178_6:                              ; =>This Inner Loop Header: Depth=1
	v_mov_b32_e32 v18, 0
	s_and_saveexec_b32 s12, s0
	s_cbranch_execz .LBB178_10
; %bb.7:                                ;   in Loop: Header=BB178_6 Depth=1
	v_add_nc_u32_e32 v2, s6, v10
	v_mov_b32_e32 v18, 0
	s_mov_b32 s13, exec_lo
	v_cmpx_gt_u64_e64 s[2:3], v[2:3]
	s_cbranch_execz .LBB178_9
; %bb.8:                                ;   in Loop: Header=BB178_6 Depth=1
	v_lshlrev_b64 v[18:19], 2, v[2:3]
	v_add_co_u32 v18, vcc_lo, v15, v18
	v_add_co_ci_u32_e64 v19, null, v16, v19, vcc_lo
	global_load_dword v18, v[18:19], off
.LBB178_9:                              ;   in Loop: Header=BB178_6 Depth=1
	s_or_b32 exec_lo, exec_lo, s13
.LBB178_10:                             ;   in Loop: Header=BB178_6 Depth=1
	s_or_b32 exec_lo, exec_lo, s12
	v_add_nc_u32_e32 v2, s6, v5
	v_mov_b32_e32 v19, 0
	s_waitcnt vmcnt(0)
	ds_write_b32 v11, v18
	v_cmp_gt_u64_e32 vcc_lo, s[2:3], v[2:3]
	s_and_b32 s13, vcc_lo, s1
	s_and_saveexec_b32 s12, s13
	s_cbranch_execz .LBB178_5
; %bb.11:                               ;   in Loop: Header=BB178_6 Depth=1
	v_mad_u64_u32 v[18:19], null, s20, v2, 0
	v_mad_u64_u32 v[19:20], null, s21, v2, v[19:20]
	v_lshlrev_b64 v[18:19], 2, v[18:19]
	v_add_co_u32 v18, vcc_lo, v13, v18
	v_add_co_ci_u32_e64 v19, null, v14, v19, vcc_lo
	global_load_dword v19, v[18:19], off
	s_branch .LBB178_5
.LBB178_12:
	s_clause 0x1
	s_load_dwordx4 s[12:15], s[4:5], 0x50
	s_load_dwordx2 s[2:3], s[4:5], 0x60
	v_add_nc_u32_e32 v10, s25, v1
	v_add_nc_u32_e32 v0, s24, v0
	v_ashrrev_i32_e32 v1, 31, v10
	v_cmp_le_i32_e32 vcc_lo, v10, v0
	s_waitcnt lgkmcnt(0)
	v_cmp_gt_i32_e64 s0, s11, v0
	v_mul_lo_u32 v3, s14, v1
	v_mul_lo_u32 v5, s15, v10
	v_mad_u64_u32 v[1:2], null, s14, v10, 0
	s_mul_i32 s1, s3, s8
	s_mul_hi_u32 s3, s2, s8
	s_mul_i32 s2, s2, s8
	s_add_i32 s3, s3, s1
	s_lshl_b64 s[4:5], s[2:3], 2
	v_add3_u32 v2, v2, v3, v5
	v_cmp_neq_f32_e64 s2, s9, 0
	s_add_u32 s3, s12, s4
	s_addc_u32 s4, s13, s5
	s_and_b32 s5, vcc_lo, s0
	v_lshlrev_b64 v[2:3], 2, v[1:2]
	v_ashrrev_i32_e32 v1, 31, v0
	v_cndmask_b32_e64 v9, 0, 1, s2
	v_add_co_u32 v5, s1, s3, v2
	v_add_co_ci_u32_e64 v11, null, s4, v3, s1
	s_and_saveexec_b32 s1, s5
	s_cbranch_execz .LBB178_16
; %bb.13:
	v_lshlrev_b64 v[2:3], 2, v[0:1]
	v_mul_f32_e32 v8, s10, v8
	v_add_co_u32 v2, vcc_lo, v5, v2
	v_add_co_ci_u32_e64 v3, null, v11, v3, vcc_lo
	s_andn2_b32 vcc_lo, exec_lo, s2
	s_cbranch_vccnz .LBB178_15
; %bb.14:
	global_load_dword v12, v[2:3], off
	s_waitcnt vmcnt(0)
	v_fmac_f32_e32 v8, s9, v12
.LBB178_15:
	global_store_dword v[2:3], v8, off
.LBB178_16:
	s_or_b32 exec_lo, exec_lo, s1
	v_add_nc_u32_e32 v2, 16, v0
	v_cmp_le_i32_e32 vcc_lo, v10, v2
	v_cmp_gt_i32_e64 s1, s11, v2
	v_ashrrev_i32_e32 v3, 31, v2
	s_and_b32 s2, vcc_lo, s1
	s_and_saveexec_b32 s5, s2
	s_cbranch_execz .LBB178_20
; %bb.17:
	v_lshlrev_b64 v[12:13], 2, v[2:3]
	v_mul_f32_e32 v8, s10, v4
	v_cmp_ne_u32_e32 vcc_lo, 1, v9
	v_add_co_u32 v4, s2, v5, v12
	v_add_co_ci_u32_e64 v5, null, v11, v13, s2
	s_cbranch_vccnz .LBB178_19
; %bb.18:
	global_load_dword v11, v[4:5], off
	s_waitcnt vmcnt(0)
	v_fmac_f32_e32 v8, s9, v11
.LBB178_19:
	global_store_dword v[4:5], v8, off
.LBB178_20:
	s_or_b32 exec_lo, exec_lo, s5
	v_add_nc_u32_e32 v8, 16, v10
	v_ashrrev_i32_e32 v10, 31, v8
	v_mul_lo_u32 v11, s15, v8
	v_mad_u64_u32 v[4:5], null, s14, v8, 0
	v_cmp_le_i32_e32 vcc_lo, v8, v0
	v_mul_lo_u32 v10, s14, v10
	s_and_b32 s0, vcc_lo, s0
	v_add3_u32 v5, v5, v10, v11
	v_lshlrev_b64 v[4:5], 2, v[4:5]
	v_add_co_u32 v4, s2, s3, v4
	v_add_co_ci_u32_e64 v5, null, s4, v5, s2
	s_and_saveexec_b32 s2, s0
	s_cbranch_execz .LBB178_24
; %bb.21:
	v_lshlrev_b64 v[0:1], 2, v[0:1]
	v_cmp_ne_u32_e32 vcc_lo, 1, v9
	v_mul_f32_e32 v7, s10, v7
	v_add_co_u32 v0, s0, v4, v0
	v_add_co_ci_u32_e64 v1, null, v5, v1, s0
	s_cbranch_vccnz .LBB178_23
; %bb.22:
	global_load_dword v10, v[0:1], off
	s_waitcnt vmcnt(0)
	v_fmac_f32_e32 v7, s9, v10
.LBB178_23:
	global_store_dword v[0:1], v7, off
.LBB178_24:
	s_or_b32 exec_lo, exec_lo, s2
	v_cmp_le_i32_e32 vcc_lo, v8, v2
	s_and_b32 s0, vcc_lo, s1
	s_and_saveexec_b32 s1, s0
	s_cbranch_execz .LBB178_28
; %bb.25:
	v_lshlrev_b64 v[0:1], 2, v[2:3]
	v_cmp_ne_u32_e32 vcc_lo, 1, v9
	v_mul_f32_e32 v2, s10, v6
	v_add_co_u32 v0, s0, v4, v0
	v_add_co_ci_u32_e64 v1, null, v5, v1, s0
	s_cbranch_vccnz .LBB178_27
; %bb.26:
	global_load_dword v3, v[0:1], off
	s_waitcnt vmcnt(0)
	v_fmac_f32_e32 v2, s9, v3
.LBB178_27:
	global_store_dword v[0:1], v2, off
.LBB178_28:
	s_endpgm
	.section	.rodata,"a",@progbits
	.p2align	6, 0x0
	.amdhsa_kernel _ZL29rocblas_internal_gemmt_kernelIlLi16ELi32ELi8ELc67ELc84ELc76ELb0ELb0EffPKfPfEviT_T9_T10_S3_lS5_S3_lS4_T11_S3_li
		.amdhsa_group_segment_fixed_size 2048
		.amdhsa_private_segment_fixed_size 0
		.amdhsa_kernarg_size 108
		.amdhsa_user_sgpr_count 6
		.amdhsa_user_sgpr_private_segment_buffer 1
		.amdhsa_user_sgpr_dispatch_ptr 0
		.amdhsa_user_sgpr_queue_ptr 0
		.amdhsa_user_sgpr_kernarg_segment_ptr 1
		.amdhsa_user_sgpr_dispatch_id 0
		.amdhsa_user_sgpr_flat_scratch_init 0
		.amdhsa_user_sgpr_private_segment_size 0
		.amdhsa_wavefront_size32 1
		.amdhsa_uses_dynamic_stack 0
		.amdhsa_system_sgpr_private_segment_wavefront_offset 0
		.amdhsa_system_sgpr_workgroup_id_x 1
		.amdhsa_system_sgpr_workgroup_id_y 1
		.amdhsa_system_sgpr_workgroup_id_z 1
		.amdhsa_system_sgpr_workgroup_info 0
		.amdhsa_system_vgpr_workitem_id 1
		.amdhsa_next_free_vgpr 46
		.amdhsa_next_free_sgpr 26
		.amdhsa_reserve_vcc 1
		.amdhsa_reserve_flat_scratch 0
		.amdhsa_float_round_mode_32 0
		.amdhsa_float_round_mode_16_64 0
		.amdhsa_float_denorm_mode_32 3
		.amdhsa_float_denorm_mode_16_64 3
		.amdhsa_dx10_clamp 1
		.amdhsa_ieee_mode 1
		.amdhsa_fp16_overflow 0
		.amdhsa_workgroup_processor_mode 1
		.amdhsa_memory_ordered 1
		.amdhsa_forward_progress 1
		.amdhsa_shared_vgpr_count 0
		.amdhsa_exception_fp_ieee_invalid_op 0
		.amdhsa_exception_fp_denorm_src 0
		.amdhsa_exception_fp_ieee_div_zero 0
		.amdhsa_exception_fp_ieee_overflow 0
		.amdhsa_exception_fp_ieee_underflow 0
		.amdhsa_exception_fp_ieee_inexact 0
		.amdhsa_exception_int_div_zero 0
	.end_amdhsa_kernel
	.section	.text._ZL29rocblas_internal_gemmt_kernelIlLi16ELi32ELi8ELc67ELc84ELc76ELb0ELb0EffPKfPfEviT_T9_T10_S3_lS5_S3_lS4_T11_S3_li,"axG",@progbits,_ZL29rocblas_internal_gemmt_kernelIlLi16ELi32ELi8ELc67ELc84ELc76ELb0ELb0EffPKfPfEviT_T9_T10_S3_lS5_S3_lS4_T11_S3_li,comdat
.Lfunc_end178:
	.size	_ZL29rocblas_internal_gemmt_kernelIlLi16ELi32ELi8ELc67ELc84ELc76ELb0ELb0EffPKfPfEviT_T9_T10_S3_lS5_S3_lS4_T11_S3_li, .Lfunc_end178-_ZL29rocblas_internal_gemmt_kernelIlLi16ELi32ELi8ELc67ELc84ELc76ELb0ELb0EffPKfPfEviT_T9_T10_S3_lS5_S3_lS4_T11_S3_li
                                        ; -- End function
	.set _ZL29rocblas_internal_gemmt_kernelIlLi16ELi32ELi8ELc67ELc84ELc76ELb0ELb0EffPKfPfEviT_T9_T10_S3_lS5_S3_lS4_T11_S3_li.num_vgpr, 46
	.set _ZL29rocblas_internal_gemmt_kernelIlLi16ELi32ELi8ELc67ELc84ELc76ELb0ELb0EffPKfPfEviT_T9_T10_S3_lS5_S3_lS4_T11_S3_li.num_agpr, 0
	.set _ZL29rocblas_internal_gemmt_kernelIlLi16ELi32ELi8ELc67ELc84ELc76ELb0ELb0EffPKfPfEviT_T9_T10_S3_lS5_S3_lS4_T11_S3_li.numbered_sgpr, 26
	.set _ZL29rocblas_internal_gemmt_kernelIlLi16ELi32ELi8ELc67ELc84ELc76ELb0ELb0EffPKfPfEviT_T9_T10_S3_lS5_S3_lS4_T11_S3_li.num_named_barrier, 0
	.set _ZL29rocblas_internal_gemmt_kernelIlLi16ELi32ELi8ELc67ELc84ELc76ELb0ELb0EffPKfPfEviT_T9_T10_S3_lS5_S3_lS4_T11_S3_li.private_seg_size, 0
	.set _ZL29rocblas_internal_gemmt_kernelIlLi16ELi32ELi8ELc67ELc84ELc76ELb0ELb0EffPKfPfEviT_T9_T10_S3_lS5_S3_lS4_T11_S3_li.uses_vcc, 1
	.set _ZL29rocblas_internal_gemmt_kernelIlLi16ELi32ELi8ELc67ELc84ELc76ELb0ELb0EffPKfPfEviT_T9_T10_S3_lS5_S3_lS4_T11_S3_li.uses_flat_scratch, 0
	.set _ZL29rocblas_internal_gemmt_kernelIlLi16ELi32ELi8ELc67ELc84ELc76ELb0ELb0EffPKfPfEviT_T9_T10_S3_lS5_S3_lS4_T11_S3_li.has_dyn_sized_stack, 0
	.set _ZL29rocblas_internal_gemmt_kernelIlLi16ELi32ELi8ELc67ELc84ELc76ELb0ELb0EffPKfPfEviT_T9_T10_S3_lS5_S3_lS4_T11_S3_li.has_recursion, 0
	.set _ZL29rocblas_internal_gemmt_kernelIlLi16ELi32ELi8ELc67ELc84ELc76ELb0ELb0EffPKfPfEviT_T9_T10_S3_lS5_S3_lS4_T11_S3_li.has_indirect_call, 0
	.section	.AMDGPU.csdata,"",@progbits
; Kernel info:
; codeLenInByte = 1448
; TotalNumSgprs: 28
; NumVgprs: 46
; ScratchSize: 0
; MemoryBound: 0
; FloatMode: 240
; IeeeMode: 1
; LDSByteSize: 2048 bytes/workgroup (compile time only)
; SGPRBlocks: 0
; VGPRBlocks: 5
; NumSGPRsForWavesPerEU: 28
; NumVGPRsForWavesPerEU: 46
; Occupancy: 16
; WaveLimiterHint : 0
; COMPUTE_PGM_RSRC2:SCRATCH_EN: 0
; COMPUTE_PGM_RSRC2:USER_SGPR: 6
; COMPUTE_PGM_RSRC2:TRAP_HANDLER: 0
; COMPUTE_PGM_RSRC2:TGID_X_EN: 1
; COMPUTE_PGM_RSRC2:TGID_Y_EN: 1
; COMPUTE_PGM_RSRC2:TGID_Z_EN: 1
; COMPUTE_PGM_RSRC2:TIDIG_COMP_CNT: 1
	.section	.text._ZL29rocblas_internal_gemmt_kernelIlLi16ELi32ELi8ELc67ELc67ELc76ELb0ELb0EffPKfPfEviT_T9_T10_S3_lS5_S3_lS4_T11_S3_li,"axG",@progbits,_ZL29rocblas_internal_gemmt_kernelIlLi16ELi32ELi8ELc67ELc67ELc76ELb0ELb0EffPKfPfEviT_T9_T10_S3_lS5_S3_lS4_T11_S3_li,comdat
	.globl	_ZL29rocblas_internal_gemmt_kernelIlLi16ELi32ELi8ELc67ELc67ELc76ELb0ELb0EffPKfPfEviT_T9_T10_S3_lS5_S3_lS4_T11_S3_li ; -- Begin function _ZL29rocblas_internal_gemmt_kernelIlLi16ELi32ELi8ELc67ELc67ELc76ELb0ELb0EffPKfPfEviT_T9_T10_S3_lS5_S3_lS4_T11_S3_li
	.p2align	8
	.type	_ZL29rocblas_internal_gemmt_kernelIlLi16ELi32ELi8ELc67ELc67ELc76ELb0ELb0EffPKfPfEviT_T9_T10_S3_lS5_S3_lS4_T11_S3_li,@function
_ZL29rocblas_internal_gemmt_kernelIlLi16ELi32ELi8ELc67ELc67ELc76ELb0ELb0EffPKfPfEviT_T9_T10_S3_lS5_S3_lS4_T11_S3_li: ; @_ZL29rocblas_internal_gemmt_kernelIlLi16ELi32ELi8ELc67ELc67ELc76ELb0ELb0EffPKfPfEviT_T9_T10_S3_lS5_S3_lS4_T11_S3_li
; %bb.0:
	s_clause 0x2
	s_load_dword s9, s[4:5], 0x48
	s_load_dwordx2 s[2:3], s[4:5], 0x8
	s_load_dword s10, s[4:5], 0x10
	s_waitcnt lgkmcnt(0)
	v_cmp_neq_f32_e64 s0, s9, 1.0
	s_and_b32 vcc_lo, exec_lo, s0
	s_cbranch_vccnz .LBB179_2
; %bb.1:
	v_cmp_neq_f32_e64 s0, s10, 0
	s_cmp_lg_u64 s[2:3], 0
	s_cselect_b32 s1, -1, 0
	s_and_b32 s0, s1, s0
.LBB179_2:
	s_andn2_b32 vcc_lo, exec_lo, s0
	s_cbranch_vccnz .LBB179_28
; %bb.3:
	s_load_dword s11, s[4:5], 0x0
	v_cmp_lt_i64_e64 s0, s[2:3], 1
	v_cmp_eq_f32_e64 s1, s10, 0
	v_mov_b32_e32 v8, 0
	v_mov_b32_e32 v4, 0
	;; [unrolled: 1-line block ×4, first 2 shown]
	s_or_b32 s0, s1, s0
	s_lshl_b32 s24, s6, 5
	s_and_b32 vcc_lo, exec_lo, s0
	s_lshl_b32 s25, s7, 5
	s_cbranch_vccnz .LBB179_12
; %bb.4:
	s_clause 0x1
	s_load_dwordx4 s[20:23], s[4:5], 0x38
	s_load_dwordx8 s[12:19], s[4:5], 0x18
	v_lshl_add_u32 v2, v1, 4, v0
	v_and_b32_e32 v5, 7, v0
	v_lshlrev_b32_e32 v9, 2, v0
	v_lshl_add_u32 v17, v1, 5, 0x400
	v_and_b32_e32 v3, 31, v2
	v_lshrrev_b32_e32 v4, 3, v2
	v_lshrrev_b32_e32 v10, 5, v2
	v_lshlrev_b32_e32 v8, 2, v5
	v_or_b32_e32 v11, s24, v3
	v_add_nc_u32_e32 v2, s25, v4
	v_lshlrev_b32_e32 v12, 2, v3
	v_lshl_or_b32 v8, v4, 5, v8
	v_ashrrev_i32_e32 v3, 31, v2
	s_waitcnt lgkmcnt(0)
	s_mul_i32 s1, s23, s8
	s_mul_hi_u32 s6, s22, s8
	s_mul_i32 s0, s22, s8
	s_add_i32 s1, s6, s1
	s_mul_i32 s7, s17, s8
	s_lshl_b64 s[0:1], s[0:1], 2
	s_mul_hi_u32 s17, s16, s8
	v_mul_lo_u32 v13, s15, v11
	s_add_u32 s15, s18, s0
	s_mul_i32 s6, s16, s8
	s_addc_u32 s16, s19, s1
	s_add_i32 s7, s17, s7
	v_mad_u64_u32 v[6:7], null, s14, v11, 0
	s_lshl_b64 s[0:1], s[6:7], 2
	v_lshlrev_b64 v[3:4], 2, v[2:3]
	s_add_u32 s6, s12, s0
	s_addc_u32 s7, s13, s1
	s_ashr_i32 s0, s24, 31
	s_mul_i32 s1, s14, s0
	v_cmp_gt_i32_e64 s0, s11, v11
	v_add3_u32 v7, v7, s1, v13
	v_add_co_u32 v13, vcc_lo, s15, v3
	v_add_co_ci_u32_e64 v14, null, s16, v4, vcc_lo
	v_lshlrev_b64 v[6:7], 2, v[6:7]
	v_lshl_or_b32 v11, v10, 7, v12
	v_cmp_gt_i32_e64 s1, s11, v2
	v_add_nc_u32_e32 v12, 0x400, v8
	v_mov_b32_e32 v3, 0
	v_mov_b32_e32 v4, 0
	v_add_co_u32 v15, vcc_lo, s6, v6
	v_add_co_ci_u32_e64 v16, null, s7, v7, vcc_lo
	v_mov_b32_e32 v6, 0
	v_mov_b32_e32 v7, 0
	;; [unrolled: 1-line block ×3, first 2 shown]
	s_mov_b64 s[6:7], 0
	s_branch .LBB179_6
.LBB179_5:                              ;   in Loop: Header=BB179_6 Depth=1
	s_or_b32 exec_lo, exec_lo, s12
	s_waitcnt vmcnt(0)
	ds_write_b32 v12, v19
	s_waitcnt lgkmcnt(0)
	s_barrier
	buffer_gl0_inv
	ds_read_b128 v[18:21], v17
	ds_read2_b32 v[34:35], v9 offset1:16
	ds_read_b128 v[22:25], v17 offset:512
	ds_read2_b32 v[36:37], v9 offset0:32 offset1:48
	ds_read2_b32 v[38:39], v9 offset0:64 offset1:80
	;; [unrolled: 1-line block ×3, first 2 shown]
	ds_read_b128 v[26:29], v17 offset:16
	ds_read2_b32 v[42:43], v9 offset0:128 offset1:144
	ds_read_b128 v[30:33], v17 offset:528
	ds_read2_b32 v[44:45], v9 offset0:160 offset1:176
	s_add_u32 s6, s6, 8
	s_addc_u32 s7, s7, 0
	v_cmp_gt_i64_e64 s12, s[2:3], s[6:7]
	s_and_b32 vcc_lo, exec_lo, s12
	s_waitcnt lgkmcnt(8)
	v_fmac_f32_e32 v8, v34, v18
	v_fmac_f32_e32 v4, v35, v18
	s_waitcnt lgkmcnt(7)
	v_fmac_f32_e32 v7, v34, v22
	v_fmac_f32_e32 v6, v35, v22
	ds_read2_b32 v[34:35], v9 offset0:192 offset1:208
	s_waitcnt lgkmcnt(7)
	v_fmac_f32_e32 v8, v36, v19
	v_fmac_f32_e32 v4, v37, v19
	;; [unrolled: 1-line block ×4, first 2 shown]
	ds_read2_b32 v[18:19], v9 offset0:224 offset1:240
	s_waitcnt lgkmcnt(7)
	v_fmac_f32_e32 v8, v38, v20
	v_fmac_f32_e32 v4, v39, v20
	;; [unrolled: 1-line block ×4, first 2 shown]
	s_waitcnt lgkmcnt(0)
	v_fmac_f32_e32 v8, v40, v21
	v_fmac_f32_e32 v4, v41, v21
	;; [unrolled: 1-line block ×4, first 2 shown]
	s_barrier
	v_fmac_f32_e32 v8, v42, v26
	v_fmac_f32_e32 v4, v43, v26
	;; [unrolled: 1-line block ×4, first 2 shown]
	buffer_gl0_inv
	v_fmac_f32_e32 v8, v44, v27
	v_fmac_f32_e32 v4, v45, v27
	;; [unrolled: 1-line block ×12, first 2 shown]
	s_cbranch_vccz .LBB179_12
.LBB179_6:                              ; =>This Inner Loop Header: Depth=1
	v_mov_b32_e32 v18, 0
	s_and_saveexec_b32 s12, s0
	s_cbranch_execz .LBB179_10
; %bb.7:                                ;   in Loop: Header=BB179_6 Depth=1
	v_add_nc_u32_e32 v2, s6, v10
	v_mov_b32_e32 v18, 0
	s_mov_b32 s13, exec_lo
	v_cmpx_gt_u64_e64 s[2:3], v[2:3]
	s_cbranch_execz .LBB179_9
; %bb.8:                                ;   in Loop: Header=BB179_6 Depth=1
	v_lshlrev_b64 v[18:19], 2, v[2:3]
	v_add_co_u32 v18, vcc_lo, v15, v18
	v_add_co_ci_u32_e64 v19, null, v16, v19, vcc_lo
	global_load_dword v18, v[18:19], off
.LBB179_9:                              ;   in Loop: Header=BB179_6 Depth=1
	s_or_b32 exec_lo, exec_lo, s13
.LBB179_10:                             ;   in Loop: Header=BB179_6 Depth=1
	s_or_b32 exec_lo, exec_lo, s12
	v_add_nc_u32_e32 v2, s6, v5
	v_mov_b32_e32 v19, 0
	s_waitcnt vmcnt(0)
	ds_write_b32 v11, v18
	v_cmp_gt_u64_e32 vcc_lo, s[2:3], v[2:3]
	s_and_b32 s13, vcc_lo, s1
	s_and_saveexec_b32 s12, s13
	s_cbranch_execz .LBB179_5
; %bb.11:                               ;   in Loop: Header=BB179_6 Depth=1
	v_mad_u64_u32 v[18:19], null, s20, v2, 0
	v_mad_u64_u32 v[19:20], null, s21, v2, v[19:20]
	v_lshlrev_b64 v[18:19], 2, v[18:19]
	v_add_co_u32 v18, vcc_lo, v13, v18
	v_add_co_ci_u32_e64 v19, null, v14, v19, vcc_lo
	global_load_dword v19, v[18:19], off
	s_branch .LBB179_5
.LBB179_12:
	s_clause 0x1
	s_load_dwordx4 s[12:15], s[4:5], 0x50
	s_load_dwordx2 s[2:3], s[4:5], 0x60
	v_add_nc_u32_e32 v10, s25, v1
	v_add_nc_u32_e32 v0, s24, v0
	v_ashrrev_i32_e32 v1, 31, v10
	v_cmp_le_i32_e32 vcc_lo, v10, v0
	s_waitcnt lgkmcnt(0)
	v_cmp_gt_i32_e64 s0, s11, v0
	v_mul_lo_u32 v3, s14, v1
	v_mul_lo_u32 v5, s15, v10
	v_mad_u64_u32 v[1:2], null, s14, v10, 0
	s_mul_i32 s1, s3, s8
	s_mul_hi_u32 s3, s2, s8
	s_mul_i32 s2, s2, s8
	s_add_i32 s3, s3, s1
	s_lshl_b64 s[4:5], s[2:3], 2
	v_add3_u32 v2, v2, v3, v5
	v_cmp_neq_f32_e64 s2, s9, 0
	s_add_u32 s3, s12, s4
	s_addc_u32 s4, s13, s5
	s_and_b32 s5, vcc_lo, s0
	v_lshlrev_b64 v[2:3], 2, v[1:2]
	v_ashrrev_i32_e32 v1, 31, v0
	v_cndmask_b32_e64 v9, 0, 1, s2
	v_add_co_u32 v5, s1, s3, v2
	v_add_co_ci_u32_e64 v11, null, s4, v3, s1
	s_and_saveexec_b32 s1, s5
	s_cbranch_execz .LBB179_16
; %bb.13:
	v_lshlrev_b64 v[2:3], 2, v[0:1]
	v_mul_f32_e32 v8, s10, v8
	v_add_co_u32 v2, vcc_lo, v5, v2
	v_add_co_ci_u32_e64 v3, null, v11, v3, vcc_lo
	s_andn2_b32 vcc_lo, exec_lo, s2
	s_cbranch_vccnz .LBB179_15
; %bb.14:
	global_load_dword v12, v[2:3], off
	s_waitcnt vmcnt(0)
	v_fmac_f32_e32 v8, s9, v12
.LBB179_15:
	global_store_dword v[2:3], v8, off
.LBB179_16:
	s_or_b32 exec_lo, exec_lo, s1
	v_add_nc_u32_e32 v2, 16, v0
	v_cmp_le_i32_e32 vcc_lo, v10, v2
	v_cmp_gt_i32_e64 s1, s11, v2
	v_ashrrev_i32_e32 v3, 31, v2
	s_and_b32 s2, vcc_lo, s1
	s_and_saveexec_b32 s5, s2
	s_cbranch_execz .LBB179_20
; %bb.17:
	v_lshlrev_b64 v[12:13], 2, v[2:3]
	v_mul_f32_e32 v8, s10, v4
	v_cmp_ne_u32_e32 vcc_lo, 1, v9
	v_add_co_u32 v4, s2, v5, v12
	v_add_co_ci_u32_e64 v5, null, v11, v13, s2
	s_cbranch_vccnz .LBB179_19
; %bb.18:
	global_load_dword v11, v[4:5], off
	s_waitcnt vmcnt(0)
	v_fmac_f32_e32 v8, s9, v11
.LBB179_19:
	global_store_dword v[4:5], v8, off
.LBB179_20:
	s_or_b32 exec_lo, exec_lo, s5
	v_add_nc_u32_e32 v8, 16, v10
	v_ashrrev_i32_e32 v10, 31, v8
	v_mul_lo_u32 v11, s15, v8
	v_mad_u64_u32 v[4:5], null, s14, v8, 0
	v_cmp_le_i32_e32 vcc_lo, v8, v0
	v_mul_lo_u32 v10, s14, v10
	s_and_b32 s0, vcc_lo, s0
	v_add3_u32 v5, v5, v10, v11
	v_lshlrev_b64 v[4:5], 2, v[4:5]
	v_add_co_u32 v4, s2, s3, v4
	v_add_co_ci_u32_e64 v5, null, s4, v5, s2
	s_and_saveexec_b32 s2, s0
	s_cbranch_execz .LBB179_24
; %bb.21:
	v_lshlrev_b64 v[0:1], 2, v[0:1]
	v_cmp_ne_u32_e32 vcc_lo, 1, v9
	v_mul_f32_e32 v7, s10, v7
	v_add_co_u32 v0, s0, v4, v0
	v_add_co_ci_u32_e64 v1, null, v5, v1, s0
	s_cbranch_vccnz .LBB179_23
; %bb.22:
	global_load_dword v10, v[0:1], off
	s_waitcnt vmcnt(0)
	v_fmac_f32_e32 v7, s9, v10
.LBB179_23:
	global_store_dword v[0:1], v7, off
.LBB179_24:
	s_or_b32 exec_lo, exec_lo, s2
	v_cmp_le_i32_e32 vcc_lo, v8, v2
	s_and_b32 s0, vcc_lo, s1
	s_and_saveexec_b32 s1, s0
	s_cbranch_execz .LBB179_28
; %bb.25:
	v_lshlrev_b64 v[0:1], 2, v[2:3]
	v_cmp_ne_u32_e32 vcc_lo, 1, v9
	v_mul_f32_e32 v2, s10, v6
	v_add_co_u32 v0, s0, v4, v0
	v_add_co_ci_u32_e64 v1, null, v5, v1, s0
	s_cbranch_vccnz .LBB179_27
; %bb.26:
	global_load_dword v3, v[0:1], off
	s_waitcnt vmcnt(0)
	v_fmac_f32_e32 v2, s9, v3
.LBB179_27:
	global_store_dword v[0:1], v2, off
.LBB179_28:
	s_endpgm
	.section	.rodata,"a",@progbits
	.p2align	6, 0x0
	.amdhsa_kernel _ZL29rocblas_internal_gemmt_kernelIlLi16ELi32ELi8ELc67ELc67ELc76ELb0ELb0EffPKfPfEviT_T9_T10_S3_lS5_S3_lS4_T11_S3_li
		.amdhsa_group_segment_fixed_size 2048
		.amdhsa_private_segment_fixed_size 0
		.amdhsa_kernarg_size 108
		.amdhsa_user_sgpr_count 6
		.amdhsa_user_sgpr_private_segment_buffer 1
		.amdhsa_user_sgpr_dispatch_ptr 0
		.amdhsa_user_sgpr_queue_ptr 0
		.amdhsa_user_sgpr_kernarg_segment_ptr 1
		.amdhsa_user_sgpr_dispatch_id 0
		.amdhsa_user_sgpr_flat_scratch_init 0
		.amdhsa_user_sgpr_private_segment_size 0
		.amdhsa_wavefront_size32 1
		.amdhsa_uses_dynamic_stack 0
		.amdhsa_system_sgpr_private_segment_wavefront_offset 0
		.amdhsa_system_sgpr_workgroup_id_x 1
		.amdhsa_system_sgpr_workgroup_id_y 1
		.amdhsa_system_sgpr_workgroup_id_z 1
		.amdhsa_system_sgpr_workgroup_info 0
		.amdhsa_system_vgpr_workitem_id 1
		.amdhsa_next_free_vgpr 46
		.amdhsa_next_free_sgpr 26
		.amdhsa_reserve_vcc 1
		.amdhsa_reserve_flat_scratch 0
		.amdhsa_float_round_mode_32 0
		.amdhsa_float_round_mode_16_64 0
		.amdhsa_float_denorm_mode_32 3
		.amdhsa_float_denorm_mode_16_64 3
		.amdhsa_dx10_clamp 1
		.amdhsa_ieee_mode 1
		.amdhsa_fp16_overflow 0
		.amdhsa_workgroup_processor_mode 1
		.amdhsa_memory_ordered 1
		.amdhsa_forward_progress 1
		.amdhsa_shared_vgpr_count 0
		.amdhsa_exception_fp_ieee_invalid_op 0
		.amdhsa_exception_fp_denorm_src 0
		.amdhsa_exception_fp_ieee_div_zero 0
		.amdhsa_exception_fp_ieee_overflow 0
		.amdhsa_exception_fp_ieee_underflow 0
		.amdhsa_exception_fp_ieee_inexact 0
		.amdhsa_exception_int_div_zero 0
	.end_amdhsa_kernel
	.section	.text._ZL29rocblas_internal_gemmt_kernelIlLi16ELi32ELi8ELc67ELc67ELc76ELb0ELb0EffPKfPfEviT_T9_T10_S3_lS5_S3_lS4_T11_S3_li,"axG",@progbits,_ZL29rocblas_internal_gemmt_kernelIlLi16ELi32ELi8ELc67ELc67ELc76ELb0ELb0EffPKfPfEviT_T9_T10_S3_lS5_S3_lS4_T11_S3_li,comdat
.Lfunc_end179:
	.size	_ZL29rocblas_internal_gemmt_kernelIlLi16ELi32ELi8ELc67ELc67ELc76ELb0ELb0EffPKfPfEviT_T9_T10_S3_lS5_S3_lS4_T11_S3_li, .Lfunc_end179-_ZL29rocblas_internal_gemmt_kernelIlLi16ELi32ELi8ELc67ELc67ELc76ELb0ELb0EffPKfPfEviT_T9_T10_S3_lS5_S3_lS4_T11_S3_li
                                        ; -- End function
	.set _ZL29rocblas_internal_gemmt_kernelIlLi16ELi32ELi8ELc67ELc67ELc76ELb0ELb0EffPKfPfEviT_T9_T10_S3_lS5_S3_lS4_T11_S3_li.num_vgpr, 46
	.set _ZL29rocblas_internal_gemmt_kernelIlLi16ELi32ELi8ELc67ELc67ELc76ELb0ELb0EffPKfPfEviT_T9_T10_S3_lS5_S3_lS4_T11_S3_li.num_agpr, 0
	.set _ZL29rocblas_internal_gemmt_kernelIlLi16ELi32ELi8ELc67ELc67ELc76ELb0ELb0EffPKfPfEviT_T9_T10_S3_lS5_S3_lS4_T11_S3_li.numbered_sgpr, 26
	.set _ZL29rocblas_internal_gemmt_kernelIlLi16ELi32ELi8ELc67ELc67ELc76ELb0ELb0EffPKfPfEviT_T9_T10_S3_lS5_S3_lS4_T11_S3_li.num_named_barrier, 0
	.set _ZL29rocblas_internal_gemmt_kernelIlLi16ELi32ELi8ELc67ELc67ELc76ELb0ELb0EffPKfPfEviT_T9_T10_S3_lS5_S3_lS4_T11_S3_li.private_seg_size, 0
	.set _ZL29rocblas_internal_gemmt_kernelIlLi16ELi32ELi8ELc67ELc67ELc76ELb0ELb0EffPKfPfEviT_T9_T10_S3_lS5_S3_lS4_T11_S3_li.uses_vcc, 1
	.set _ZL29rocblas_internal_gemmt_kernelIlLi16ELi32ELi8ELc67ELc67ELc76ELb0ELb0EffPKfPfEviT_T9_T10_S3_lS5_S3_lS4_T11_S3_li.uses_flat_scratch, 0
	.set _ZL29rocblas_internal_gemmt_kernelIlLi16ELi32ELi8ELc67ELc67ELc76ELb0ELb0EffPKfPfEviT_T9_T10_S3_lS5_S3_lS4_T11_S3_li.has_dyn_sized_stack, 0
	.set _ZL29rocblas_internal_gemmt_kernelIlLi16ELi32ELi8ELc67ELc67ELc76ELb0ELb0EffPKfPfEviT_T9_T10_S3_lS5_S3_lS4_T11_S3_li.has_recursion, 0
	.set _ZL29rocblas_internal_gemmt_kernelIlLi16ELi32ELi8ELc67ELc67ELc76ELb0ELb0EffPKfPfEviT_T9_T10_S3_lS5_S3_lS4_T11_S3_li.has_indirect_call, 0
	.section	.AMDGPU.csdata,"",@progbits
; Kernel info:
; codeLenInByte = 1448
; TotalNumSgprs: 28
; NumVgprs: 46
; ScratchSize: 0
; MemoryBound: 0
; FloatMode: 240
; IeeeMode: 1
; LDSByteSize: 2048 bytes/workgroup (compile time only)
; SGPRBlocks: 0
; VGPRBlocks: 5
; NumSGPRsForWavesPerEU: 28
; NumVGPRsForWavesPerEU: 46
; Occupancy: 16
; WaveLimiterHint : 0
; COMPUTE_PGM_RSRC2:SCRATCH_EN: 0
; COMPUTE_PGM_RSRC2:USER_SGPR: 6
; COMPUTE_PGM_RSRC2:TRAP_HANDLER: 0
; COMPUTE_PGM_RSRC2:TGID_X_EN: 1
; COMPUTE_PGM_RSRC2:TGID_Y_EN: 1
; COMPUTE_PGM_RSRC2:TGID_Z_EN: 1
; COMPUTE_PGM_RSRC2:TIDIG_COMP_CNT: 1
	.section	.text._ZL29rocblas_internal_gemmt_kernelIlLi16ELi32ELi8ELc78ELc78ELc85ELb0ELb0EdPKdS1_PdEviT_T9_T10_S3_lS5_S3_lS4_T11_S3_li,"axG",@progbits,_ZL29rocblas_internal_gemmt_kernelIlLi16ELi32ELi8ELc78ELc78ELc85ELb0ELb0EdPKdS1_PdEviT_T9_T10_S3_lS5_S3_lS4_T11_S3_li,comdat
	.globl	_ZL29rocblas_internal_gemmt_kernelIlLi16ELi32ELi8ELc78ELc78ELc85ELb0ELb0EdPKdS1_PdEviT_T9_T10_S3_lS5_S3_lS4_T11_S3_li ; -- Begin function _ZL29rocblas_internal_gemmt_kernelIlLi16ELi32ELi8ELc78ELc78ELc85ELb0ELb0EdPKdS1_PdEviT_T9_T10_S3_lS5_S3_lS4_T11_S3_li
	.p2align	8
	.type	_ZL29rocblas_internal_gemmt_kernelIlLi16ELi32ELi8ELc78ELc78ELc85ELb0ELb0EdPKdS1_PdEviT_T9_T10_S3_lS5_S3_lS4_T11_S3_li,@function
_ZL29rocblas_internal_gemmt_kernelIlLi16ELi32ELi8ELc78ELc78ELc85ELb0ELb0EdPKdS1_PdEviT_T9_T10_S3_lS5_S3_lS4_T11_S3_li: ; @_ZL29rocblas_internal_gemmt_kernelIlLi16ELi32ELi8ELc78ELc78ELc85ELb0ELb0EdPKdS1_PdEviT_T9_T10_S3_lS5_S3_lS4_T11_S3_li
; %bb.0:
	s_load_dwordx8 s[36:43], s[4:5], 0x48
	s_waitcnt lgkmcnt(0)
	s_load_dwordx2 s[2:3], s[36:37], 0x0
	s_load_dwordx16 s[12:27], s[4:5], 0x8
	s_waitcnt lgkmcnt(0)
	v_cmp_neq_f64_e64 s0, s[2:3], 1.0
	s_load_dwordx2 s[10:11], s[14:15], 0x0
	s_and_b32 vcc_lo, exec_lo, s0
	s_cbranch_vccnz .LBB180_2
; %bb.1:
	s_waitcnt lgkmcnt(0)
	v_cmp_neq_f64_e64 s0, s[10:11], 0
	s_cmp_lg_u64 s[12:13], 0
	s_cselect_b32 s1, -1, 0
	s_and_b32 s0, s1, s0
.LBB180_2:
	s_andn2_b32 vcc_lo, exec_lo, s0
	s_cbranch_vccnz .LBB180_28
; %bb.3:
	s_waitcnt lgkmcnt(0)
	v_cmp_eq_f64_e64 s0, s[10:11], 0
	s_load_dword s9, s[4:5], 0x0
	v_cmp_lt_i64_e64 s1, s[12:13], 1
	v_mov_b32_e32 v10, 0
	v_mov_b32_e32 v6, 0
	;; [unrolled: 1-line block ×8, first 2 shown]
	s_lshl_b32 s6, s6, 5
	s_lshl_b32 s7, s7, 5
	s_or_b32 s0, s0, s1
	s_and_b32 vcc_lo, exec_lo, s0
	s_cbranch_vccnz .LBB180_12
; %bb.4:
	v_lshl_add_u32 v3, v1, 4, v0
	s_mul_i32 s1, s27, s8
	s_mul_hi_u32 s4, s26, s8
	s_mul_i32 s0, s26, s8
	s_add_i32 s1, s4, s1
	v_lshrrev_b32_e32 v8, 3, v3
	v_and_b32_e32 v6, 31, v3
	s_lshl_b64 s[0:1], s[0:1], 3
	v_lshrrev_b32_e32 v17, 5, v3
	v_and_b32_e32 v16, 7, v0
	v_add_nc_u32_e32 v9, s7, v8
	v_or_b32_e32 v2, s6, v6
	s_mul_i32 s5, s21, s8
	s_mul_hi_u32 s14, s20, s8
	s_add_u32 s15, s22, s0
	v_ashrrev_i32_e32 v4, 31, v9
	v_mul_lo_u32 v7, s25, v9
	v_ashrrev_i32_e32 v3, 31, v2
	s_mul_i32 s4, s20, s8
	s_addc_u32 s20, s23, s1
	v_mul_lo_u32 v10, s24, v4
	v_mad_u64_u32 v[4:5], null, s24, v9, 0
	s_add_i32 s5, s14, s5
	v_lshlrev_b32_e32 v11, 3, v6
	s_lshl_b64 s[0:1], s[4:5], 3
	v_lshlrev_b32_e32 v12, 3, v16
	s_add_u32 s4, s16, s0
	s_waitcnt lgkmcnt(0)
	v_cmp_gt_i32_e64 s0, s9, v2
	v_add3_u32 v5, v5, v10, v7
	v_lshlrev_b64 v[6:7], 3, v[2:3]
	s_addc_u32 s1, s17, s1
	v_lshl_or_b32 v8, v8, 6, v12
	v_lshl_or_b32 v18, v17, 8, v11
	v_lshlrev_b64 v[2:3], 3, v[4:5]
	v_mov_b32_e32 v4, 0
	v_add_co_u32 v19, vcc_lo, s4, v6
	v_add_co_ci_u32_e64 v20, null, s1, v7, vcc_lo
	v_add_co_u32 v22, vcc_lo, s15, v2
	v_add_co_ci_u32_e64 v23, null, s20, v3, vcc_lo
	v_mov_b32_e32 v2, 0
	v_mov_b32_e32 v6, 0
	;; [unrolled: 1-line block ×3, first 2 shown]
	v_cmp_gt_i32_e64 s1, s9, v9
	v_add_nc_u32_e32 v21, 0x800, v8
	v_lshlrev_b32_e32 v24, 3, v0
	v_lshl_add_u32 v25, v1, 6, 0x800
	v_mov_b32_e32 v3, 0
	v_mov_b32_e32 v5, 0
	;; [unrolled: 1-line block ×5, first 2 shown]
	s_mov_b64 s[4:5], 0
	s_branch .LBB180_6
.LBB180_5:                              ;   in Loop: Header=BB180_6 Depth=1
	s_or_b32 exec_lo, exec_lo, s14
	s_waitcnt vmcnt(0)
	ds_write_b64 v21, v[14:15]
	s_waitcnt lgkmcnt(0)
	s_barrier
	buffer_gl0_inv
	ds_read_b128 v[12:15], v25
	ds_read2_b64 v[26:29], v24 offset1:16
	ds_read_b128 v[30:33], v25 offset:1024
	ds_read_b128 v[34:37], v25 offset:16
	ds_read2_b64 v[38:41], v24 offset0:32 offset1:48
	ds_read_b128 v[42:45], v25 offset:1040
	s_add_u32 s4, s4, 8
	s_addc_u32 s5, s5, 0
	v_cmp_gt_i64_e64 s14, s[12:13], s[4:5]
	s_and_b32 vcc_lo, exec_lo, s14
	s_waitcnt lgkmcnt(4)
	v_fma_f64 v[10:11], v[26:27], v[12:13], v[10:11]
	v_fma_f64 v[6:7], v[28:29], v[12:13], v[6:7]
	s_waitcnt lgkmcnt(3)
	v_fma_f64 v[12:13], v[26:27], v[30:31], v[4:5]
	v_fma_f64 v[26:27], v[28:29], v[30:31], v[2:3]
	ds_read2_b64 v[2:5], v24 offset0:64 offset1:80
	s_waitcnt lgkmcnt(2)
	v_fma_f64 v[28:29], v[38:39], v[14:15], v[10:11]
	v_fma_f64 v[6:7], v[40:41], v[14:15], v[6:7]
	;; [unrolled: 1-line block ×4, first 2 shown]
	ds_read2_b64 v[10:13], v24 offset0:96 offset1:112
	s_waitcnt lgkmcnt(1)
	v_fma_f64 v[30:31], v[2:3], v[34:35], v[28:29]
	v_fma_f64 v[6:7], v[4:5], v[34:35], v[6:7]
	;; [unrolled: 1-line block ×4, first 2 shown]
	ds_read_b128 v[2:5], v25 offset:32
	ds_read2_b64 v[26:29], v24 offset0:128 offset1:144
	s_waitcnt lgkmcnt(2)
	v_fma_f64 v[42:43], v[10:11], v[36:37], v[30:31]
	v_fma_f64 v[6:7], v[12:13], v[36:37], v[6:7]
	;; [unrolled: 1-line block ×4, first 2 shown]
	ds_read_b128 v[10:13], v25 offset:1056
	ds_read_b128 v[30:33], v25 offset:48
	ds_read2_b64 v[34:37], v24 offset0:160 offset1:176
	ds_read_b128 v[38:41], v25 offset:1072
	s_waitcnt lgkmcnt(4)
	v_fma_f64 v[42:43], v[26:27], v[2:3], v[42:43]
	v_fma_f64 v[2:3], v[28:29], v[2:3], v[6:7]
	s_waitcnt lgkmcnt(3)
	v_fma_f64 v[6:7], v[26:27], v[10:11], v[14:15]
	v_fma_f64 v[10:11], v[28:29], v[10:11], v[44:45]
	ds_read2_b64 v[26:29], v24 offset0:192 offset1:208
	s_waitcnt lgkmcnt(2)
	v_fma_f64 v[42:43], v[34:35], v[4:5], v[42:43]
	v_fma_f64 v[2:3], v[36:37], v[4:5], v[2:3]
	;; [unrolled: 1-line block ×4, first 2 shown]
	ds_read2_b64 v[12:15], v24 offset0:224 offset1:240
	s_waitcnt lgkmcnt(0)
	s_barrier
	buffer_gl0_inv
	v_fma_f64 v[10:11], v[26:27], v[30:31], v[42:43]
	v_fma_f64 v[2:3], v[28:29], v[30:31], v[2:3]
	;; [unrolled: 1-line block ×8, first 2 shown]
	s_cbranch_vccz .LBB180_12
.LBB180_6:                              ; =>This Inner Loop Header: Depth=1
	v_mov_b32_e32 v12, 0
	v_mov_b32_e32 v13, 0
	s_and_saveexec_b32 s14, s0
	s_cbranch_execz .LBB180_10
; %bb.7:                                ;   in Loop: Header=BB180_6 Depth=1
	v_mov_b32_e32 v12, 0
	v_add_nc_u32_e32 v8, s4, v17
	v_mov_b32_e32 v13, 0
	s_mov_b32 s15, exec_lo
	v_cmpx_gt_u64_e64 s[12:13], v[8:9]
	s_cbranch_execz .LBB180_9
; %bb.8:                                ;   in Loop: Header=BB180_6 Depth=1
	v_mad_u64_u32 v[12:13], null, s18, v8, 0
	v_mad_u64_u32 v[13:14], null, s19, v8, v[13:14]
	v_lshlrev_b64 v[12:13], 3, v[12:13]
	v_add_co_u32 v12, vcc_lo, v19, v12
	v_add_co_ci_u32_e64 v13, null, v20, v13, vcc_lo
	global_load_dwordx2 v[12:13], v[12:13], off
.LBB180_9:                              ;   in Loop: Header=BB180_6 Depth=1
	s_or_b32 exec_lo, exec_lo, s15
.LBB180_10:                             ;   in Loop: Header=BB180_6 Depth=1
	s_or_b32 exec_lo, exec_lo, s14
	v_add_nc_u32_e32 v8, s4, v16
	v_mov_b32_e32 v14, 0
	v_mov_b32_e32 v15, 0
	s_waitcnt vmcnt(0)
	ds_write_b64 v18, v[12:13]
	v_cmp_gt_u64_e32 vcc_lo, s[12:13], v[8:9]
	s_and_b32 s15, vcc_lo, s1
	s_and_saveexec_b32 s14, s15
	s_cbranch_execz .LBB180_5
; %bb.11:                               ;   in Loop: Header=BB180_6 Depth=1
	v_lshlrev_b64 v[12:13], 3, v[8:9]
	v_add_co_u32 v12, vcc_lo, v22, v12
	v_add_co_ci_u32_e64 v13, null, v23, v13, vcc_lo
	global_load_dwordx2 v[14:15], v[12:13], off
	s_branch .LBB180_5
.LBB180_12:
	v_add_nc_u32_e32 v13, s7, v1
	v_add_nc_u32_e32 v0, s6, v0
	v_cmp_neq_f64_e64 s6, s[2:3], 0
	s_mul_i32 s1, s43, s8
	s_mul_hi_u32 s4, s42, s8
	v_ashrrev_i32_e32 v1, 31, v13
	v_mul_lo_u32 v12, s41, v13
	v_mad_u64_u32 v[8:9], null, s40, v13, 0
	s_mul_i32 s0, s42, s8
	v_mul_lo_u32 v1, s40, v1
	s_add_i32 s1, s4, s1
	v_cmp_le_i32_e32 vcc_lo, v0, v13
	s_lshl_b64 s[4:5], s[0:1], 3
	s_waitcnt lgkmcnt(0)
	v_cmp_gt_i32_e64 s0, s9, v13
	s_add_u32 s4, s38, s4
	s_addc_u32 s5, s39, s5
	v_add3_u32 v9, v9, v1, v12
	v_ashrrev_i32_e32 v1, 31, v0
	s_and_b32 s7, s0, vcc_lo
	v_lshlrev_b64 v[8:9], 3, v[8:9]
	v_cndmask_b32_e64 v12, 0, 1, s6
	v_add_co_u32 v14, s1, s4, v8
	v_add_co_ci_u32_e64 v15, null, s5, v9, s1
	s_and_saveexec_b32 s1, s7
	s_cbranch_execz .LBB180_16
; %bb.13:
	v_mul_f64 v[8:9], s[10:11], v[10:11]
	v_lshlrev_b64 v[10:11], 3, v[0:1]
	v_add_co_u32 v10, vcc_lo, v14, v10
	v_add_co_ci_u32_e64 v11, null, v15, v11, vcc_lo
	s_andn2_b32 vcc_lo, exec_lo, s6
	s_cbranch_vccnz .LBB180_15
; %bb.14:
	global_load_dwordx2 v[16:17], v[10:11], off
	s_waitcnt vmcnt(0)
	v_fma_f64 v[8:9], s[2:3], v[16:17], v[8:9]
.LBB180_15:
	global_store_dwordx2 v[10:11], v[8:9], off
.LBB180_16:
	s_or_b32 exec_lo, exec_lo, s1
	v_add_nc_u32_e32 v8, 16, v0
	v_cmp_le_i32_e32 vcc_lo, v8, v13
	v_ashrrev_i32_e32 v9, 31, v8
	s_and_b32 s0, s0, vcc_lo
	s_and_saveexec_b32 s1, s0
	s_cbranch_execz .LBB180_20
; %bb.17:
	v_mul_f64 v[6:7], s[10:11], v[6:7]
	v_lshlrev_b64 v[10:11], 3, v[8:9]
	v_cmp_ne_u32_e32 vcc_lo, 1, v12
	v_add_co_u32 v10, s0, v14, v10
	v_add_co_ci_u32_e64 v11, null, v15, v11, s0
	s_cbranch_vccnz .LBB180_19
; %bb.18:
	global_load_dwordx2 v[14:15], v[10:11], off
	s_waitcnt vmcnt(0)
	v_fma_f64 v[6:7], s[2:3], v[14:15], v[6:7]
.LBB180_19:
	global_store_dwordx2 v[10:11], v[6:7], off
.LBB180_20:
	s_or_b32 exec_lo, exec_lo, s1
	v_add_nc_u32_e32 v10, 16, v13
	v_ashrrev_i32_e32 v11, 31, v10
	v_mul_lo_u32 v13, s41, v10
	v_mad_u64_u32 v[6:7], null, s40, v10, 0
	v_cmp_gt_i32_e64 s0, s9, v10
	v_mul_lo_u32 v11, s40, v11
	v_cmp_le_i32_e32 vcc_lo, v0, v10
	v_add3_u32 v7, v7, v11, v13
	v_lshlrev_b64 v[6:7], 3, v[6:7]
	v_add_co_u32 v6, s1, s4, v6
	v_add_co_ci_u32_e64 v7, null, s5, v7, s1
	s_and_b32 s1, s0, vcc_lo
	s_and_saveexec_b32 s4, s1
	s_cbranch_execz .LBB180_24
; %bb.21:
	v_mul_f64 v[4:5], s[10:11], v[4:5]
	v_lshlrev_b64 v[0:1], 3, v[0:1]
	v_cmp_ne_u32_e32 vcc_lo, 1, v12
	v_add_co_u32 v0, s1, v6, v0
	v_add_co_ci_u32_e64 v1, null, v7, v1, s1
	s_cbranch_vccnz .LBB180_23
; %bb.22:
	global_load_dwordx2 v[13:14], v[0:1], off
	s_waitcnt vmcnt(0)
	v_fma_f64 v[4:5], s[2:3], v[13:14], v[4:5]
.LBB180_23:
	global_store_dwordx2 v[0:1], v[4:5], off
.LBB180_24:
	s_or_b32 exec_lo, exec_lo, s4
	v_cmp_le_i32_e32 vcc_lo, v8, v10
	s_and_b32 s0, s0, vcc_lo
	s_and_saveexec_b32 s1, s0
	s_cbranch_execz .LBB180_28
; %bb.25:
	v_mul_f64 v[0:1], s[10:11], v[2:3]
	v_lshlrev_b64 v[2:3], 3, v[8:9]
	v_cmp_ne_u32_e32 vcc_lo, 1, v12
	v_add_co_u32 v2, s0, v6, v2
	v_add_co_ci_u32_e64 v3, null, v7, v3, s0
	s_cbranch_vccnz .LBB180_27
; %bb.26:
	global_load_dwordx2 v[4:5], v[2:3], off
	s_waitcnt vmcnt(0)
	v_fma_f64 v[0:1], s[2:3], v[4:5], v[0:1]
.LBB180_27:
	global_store_dwordx2 v[2:3], v[0:1], off
.LBB180_28:
	s_endpgm
	.section	.rodata,"a",@progbits
	.p2align	6, 0x0
	.amdhsa_kernel _ZL29rocblas_internal_gemmt_kernelIlLi16ELi32ELi8ELc78ELc78ELc85ELb0ELb0EdPKdS1_PdEviT_T9_T10_S3_lS5_S3_lS4_T11_S3_li
		.amdhsa_group_segment_fixed_size 4096
		.amdhsa_private_segment_fixed_size 0
		.amdhsa_kernarg_size 108
		.amdhsa_user_sgpr_count 6
		.amdhsa_user_sgpr_private_segment_buffer 1
		.amdhsa_user_sgpr_dispatch_ptr 0
		.amdhsa_user_sgpr_queue_ptr 0
		.amdhsa_user_sgpr_kernarg_segment_ptr 1
		.amdhsa_user_sgpr_dispatch_id 0
		.amdhsa_user_sgpr_flat_scratch_init 0
		.amdhsa_user_sgpr_private_segment_size 0
		.amdhsa_wavefront_size32 1
		.amdhsa_uses_dynamic_stack 0
		.amdhsa_system_sgpr_private_segment_wavefront_offset 0
		.amdhsa_system_sgpr_workgroup_id_x 1
		.amdhsa_system_sgpr_workgroup_id_y 1
		.amdhsa_system_sgpr_workgroup_id_z 1
		.amdhsa_system_sgpr_workgroup_info 0
		.amdhsa_system_vgpr_workitem_id 1
		.amdhsa_next_free_vgpr 46
		.amdhsa_next_free_sgpr 44
		.amdhsa_reserve_vcc 1
		.amdhsa_reserve_flat_scratch 0
		.amdhsa_float_round_mode_32 0
		.amdhsa_float_round_mode_16_64 0
		.amdhsa_float_denorm_mode_32 3
		.amdhsa_float_denorm_mode_16_64 3
		.amdhsa_dx10_clamp 1
		.amdhsa_ieee_mode 1
		.amdhsa_fp16_overflow 0
		.amdhsa_workgroup_processor_mode 1
		.amdhsa_memory_ordered 1
		.amdhsa_forward_progress 1
		.amdhsa_shared_vgpr_count 0
		.amdhsa_exception_fp_ieee_invalid_op 0
		.amdhsa_exception_fp_denorm_src 0
		.amdhsa_exception_fp_ieee_div_zero 0
		.amdhsa_exception_fp_ieee_overflow 0
		.amdhsa_exception_fp_ieee_underflow 0
		.amdhsa_exception_fp_ieee_inexact 0
		.amdhsa_exception_int_div_zero 0
	.end_amdhsa_kernel
	.section	.text._ZL29rocblas_internal_gemmt_kernelIlLi16ELi32ELi8ELc78ELc78ELc85ELb0ELb0EdPKdS1_PdEviT_T9_T10_S3_lS5_S3_lS4_T11_S3_li,"axG",@progbits,_ZL29rocblas_internal_gemmt_kernelIlLi16ELi32ELi8ELc78ELc78ELc85ELb0ELb0EdPKdS1_PdEviT_T9_T10_S3_lS5_S3_lS4_T11_S3_li,comdat
.Lfunc_end180:
	.size	_ZL29rocblas_internal_gemmt_kernelIlLi16ELi32ELi8ELc78ELc78ELc85ELb0ELb0EdPKdS1_PdEviT_T9_T10_S3_lS5_S3_lS4_T11_S3_li, .Lfunc_end180-_ZL29rocblas_internal_gemmt_kernelIlLi16ELi32ELi8ELc78ELc78ELc85ELb0ELb0EdPKdS1_PdEviT_T9_T10_S3_lS5_S3_lS4_T11_S3_li
                                        ; -- End function
	.set _ZL29rocblas_internal_gemmt_kernelIlLi16ELi32ELi8ELc78ELc78ELc85ELb0ELb0EdPKdS1_PdEviT_T9_T10_S3_lS5_S3_lS4_T11_S3_li.num_vgpr, 46
	.set _ZL29rocblas_internal_gemmt_kernelIlLi16ELi32ELi8ELc78ELc78ELc85ELb0ELb0EdPKdS1_PdEviT_T9_T10_S3_lS5_S3_lS4_T11_S3_li.num_agpr, 0
	.set _ZL29rocblas_internal_gemmt_kernelIlLi16ELi32ELi8ELc78ELc78ELc85ELb0ELb0EdPKdS1_PdEviT_T9_T10_S3_lS5_S3_lS4_T11_S3_li.numbered_sgpr, 44
	.set _ZL29rocblas_internal_gemmt_kernelIlLi16ELi32ELi8ELc78ELc78ELc85ELb0ELb0EdPKdS1_PdEviT_T9_T10_S3_lS5_S3_lS4_T11_S3_li.num_named_barrier, 0
	.set _ZL29rocblas_internal_gemmt_kernelIlLi16ELi32ELi8ELc78ELc78ELc85ELb0ELb0EdPKdS1_PdEviT_T9_T10_S3_lS5_S3_lS4_T11_S3_li.private_seg_size, 0
	.set _ZL29rocblas_internal_gemmt_kernelIlLi16ELi32ELi8ELc78ELc78ELc85ELb0ELb0EdPKdS1_PdEviT_T9_T10_S3_lS5_S3_lS4_T11_S3_li.uses_vcc, 1
	.set _ZL29rocblas_internal_gemmt_kernelIlLi16ELi32ELi8ELc78ELc78ELc85ELb0ELb0EdPKdS1_PdEviT_T9_T10_S3_lS5_S3_lS4_T11_S3_li.uses_flat_scratch, 0
	.set _ZL29rocblas_internal_gemmt_kernelIlLi16ELi32ELi8ELc78ELc78ELc85ELb0ELb0EdPKdS1_PdEviT_T9_T10_S3_lS5_S3_lS4_T11_S3_li.has_dyn_sized_stack, 0
	.set _ZL29rocblas_internal_gemmt_kernelIlLi16ELi32ELi8ELc78ELc78ELc85ELb0ELb0EdPKdS1_PdEviT_T9_T10_S3_lS5_S3_lS4_T11_S3_li.has_recursion, 0
	.set _ZL29rocblas_internal_gemmt_kernelIlLi16ELi32ELi8ELc78ELc78ELc85ELb0ELb0EdPKdS1_PdEviT_T9_T10_S3_lS5_S3_lS4_T11_S3_li.has_indirect_call, 0
	.section	.AMDGPU.csdata,"",@progbits
; Kernel info:
; codeLenInByte = 1680
; TotalNumSgprs: 46
; NumVgprs: 46
; ScratchSize: 0
; MemoryBound: 0
; FloatMode: 240
; IeeeMode: 1
; LDSByteSize: 4096 bytes/workgroup (compile time only)
; SGPRBlocks: 0
; VGPRBlocks: 5
; NumSGPRsForWavesPerEU: 46
; NumVGPRsForWavesPerEU: 46
; Occupancy: 16
; WaveLimiterHint : 0
; COMPUTE_PGM_RSRC2:SCRATCH_EN: 0
; COMPUTE_PGM_RSRC2:USER_SGPR: 6
; COMPUTE_PGM_RSRC2:TRAP_HANDLER: 0
; COMPUTE_PGM_RSRC2:TGID_X_EN: 1
; COMPUTE_PGM_RSRC2:TGID_Y_EN: 1
; COMPUTE_PGM_RSRC2:TGID_Z_EN: 1
; COMPUTE_PGM_RSRC2:TIDIG_COMP_CNT: 1
	.section	.text._ZL29rocblas_internal_gemmt_kernelIlLi16ELi32ELi8ELc78ELc84ELc85ELb0ELb0EdPKdS1_PdEviT_T9_T10_S3_lS5_S3_lS4_T11_S3_li,"axG",@progbits,_ZL29rocblas_internal_gemmt_kernelIlLi16ELi32ELi8ELc78ELc84ELc85ELb0ELb0EdPKdS1_PdEviT_T9_T10_S3_lS5_S3_lS4_T11_S3_li,comdat
	.globl	_ZL29rocblas_internal_gemmt_kernelIlLi16ELi32ELi8ELc78ELc84ELc85ELb0ELb0EdPKdS1_PdEviT_T9_T10_S3_lS5_S3_lS4_T11_S3_li ; -- Begin function _ZL29rocblas_internal_gemmt_kernelIlLi16ELi32ELi8ELc78ELc84ELc85ELb0ELb0EdPKdS1_PdEviT_T9_T10_S3_lS5_S3_lS4_T11_S3_li
	.p2align	8
	.type	_ZL29rocblas_internal_gemmt_kernelIlLi16ELi32ELi8ELc78ELc84ELc85ELb0ELb0EdPKdS1_PdEviT_T9_T10_S3_lS5_S3_lS4_T11_S3_li,@function
_ZL29rocblas_internal_gemmt_kernelIlLi16ELi32ELi8ELc78ELc84ELc85ELb0ELb0EdPKdS1_PdEviT_T9_T10_S3_lS5_S3_lS4_T11_S3_li: ; @_ZL29rocblas_internal_gemmt_kernelIlLi16ELi32ELi8ELc78ELc84ELc85ELb0ELb0EdPKdS1_PdEviT_T9_T10_S3_lS5_S3_lS4_T11_S3_li
; %bb.0:
	s_load_dwordx8 s[36:43], s[4:5], 0x48
	s_waitcnt lgkmcnt(0)
	s_load_dwordx2 s[2:3], s[36:37], 0x0
	s_load_dwordx16 s[12:27], s[4:5], 0x8
	s_waitcnt lgkmcnt(0)
	v_cmp_neq_f64_e64 s0, s[2:3], 1.0
	s_load_dwordx2 s[10:11], s[14:15], 0x0
	s_and_b32 vcc_lo, exec_lo, s0
	s_cbranch_vccnz .LBB181_2
; %bb.1:
	s_waitcnt lgkmcnt(0)
	v_cmp_neq_f64_e64 s0, s[10:11], 0
	s_cmp_lg_u64 s[12:13], 0
	s_cselect_b32 s1, -1, 0
	s_and_b32 s0, s1, s0
.LBB181_2:
	s_andn2_b32 vcc_lo, exec_lo, s0
	s_cbranch_vccnz .LBB181_28
; %bb.3:
	s_waitcnt lgkmcnt(0)
	v_cmp_eq_f64_e64 s0, s[10:11], 0
	s_load_dword s9, s[4:5], 0x0
	v_cmp_lt_i64_e64 s1, s[12:13], 1
	v_mov_b32_e32 v10, 0
	v_mov_b32_e32 v6, 0
	;; [unrolled: 1-line block ×8, first 2 shown]
	s_lshl_b32 s6, s6, 5
	s_lshl_b32 s7, s7, 5
	s_or_b32 s0, s0, s1
	s_and_b32 vcc_lo, exec_lo, s0
	s_cbranch_vccnz .LBB181_12
; %bb.4:
	v_lshl_add_u32 v3, v1, 4, v0
	s_mul_i32 s1, s27, s8
	s_mul_hi_u32 s4, s26, s8
	s_mul_i32 s0, s26, s8
	s_add_i32 s1, s4, s1
	v_and_b32_e32 v5, 31, v3
	v_lshrrev_b32_e32 v8, 3, v3
	s_lshl_b64 s[0:1], s[0:1], 3
	v_lshrrev_b32_e32 v17, 5, v3
	v_and_b32_e32 v16, 7, v0
	v_or_b32_e32 v2, s6, v5
	v_add_nc_u32_e32 v4, s7, v8
	s_add_u32 s4, s22, s0
	s_mul_i32 s0, s21, s8
	s_mul_hi_u32 s5, s20, s8
	v_ashrrev_i32_e32 v3, 31, v2
	v_lshlrev_b32_e32 v9, 3, v5
	v_ashrrev_i32_e32 v5, 31, v4
	s_addc_u32 s14, s23, s1
	s_add_i32 s1, s5, s0
	s_mul_i32 s0, s20, s8
	v_lshlrev_b64 v[6:7], 3, v[2:3]
	s_lshl_b64 s[0:1], s[0:1], 3
	v_lshlrev_b32_e32 v10, 3, v16
	s_add_u32 s5, s16, s0
	s_waitcnt lgkmcnt(0)
	v_cmp_gt_i32_e64 s0, s9, v2
	v_lshlrev_b64 v[2:3], 3, v[4:5]
	s_addc_u32 s1, s17, s1
	v_lshl_or_b32 v8, v8, 6, v10
	v_add_co_u32 v19, vcc_lo, s5, v6
	v_add_co_ci_u32_e64 v20, null, s1, v7, vcc_lo
	v_add_co_u32 v22, vcc_lo, s4, v2
	v_cmp_gt_i32_e64 s1, s9, v4
	v_add_co_ci_u32_e64 v23, null, s14, v3, vcc_lo
	v_mov_b32_e32 v2, 0
	v_mov_b32_e32 v4, 0
	;; [unrolled: 1-line block ×4, first 2 shown]
	v_lshl_or_b32 v18, v17, 8, v9
	v_add_nc_u32_e32 v21, 0x800, v8
	v_lshlrev_b32_e32 v24, 3, v0
	v_lshl_add_u32 v25, v1, 6, 0x800
	v_mov_b32_e32 v3, 0
	v_mov_b32_e32 v5, 0
	;; [unrolled: 1-line block ×5, first 2 shown]
	s_mov_b64 s[4:5], 0
	s_branch .LBB181_6
.LBB181_5:                              ;   in Loop: Header=BB181_6 Depth=1
	s_or_b32 exec_lo, exec_lo, s14
	s_waitcnt vmcnt(0)
	ds_write_b64 v21, v[14:15]
	s_waitcnt lgkmcnt(0)
	s_barrier
	buffer_gl0_inv
	ds_read_b128 v[12:15], v25
	ds_read2_b64 v[26:29], v24 offset1:16
	ds_read_b128 v[30:33], v25 offset:1024
	ds_read_b128 v[34:37], v25 offset:16
	ds_read2_b64 v[38:41], v24 offset0:32 offset1:48
	ds_read_b128 v[42:45], v25 offset:1040
	s_add_u32 s4, s4, 8
	s_addc_u32 s5, s5, 0
	v_cmp_gt_i64_e64 s14, s[12:13], s[4:5]
	s_and_b32 vcc_lo, exec_lo, s14
	s_waitcnt lgkmcnt(4)
	v_fma_f64 v[10:11], v[26:27], v[12:13], v[10:11]
	v_fma_f64 v[6:7], v[28:29], v[12:13], v[6:7]
	s_waitcnt lgkmcnt(3)
	v_fma_f64 v[12:13], v[26:27], v[30:31], v[4:5]
	v_fma_f64 v[26:27], v[28:29], v[30:31], v[2:3]
	ds_read2_b64 v[2:5], v24 offset0:64 offset1:80
	s_waitcnt lgkmcnt(2)
	v_fma_f64 v[28:29], v[38:39], v[14:15], v[10:11]
	v_fma_f64 v[6:7], v[40:41], v[14:15], v[6:7]
	;; [unrolled: 1-line block ×4, first 2 shown]
	ds_read2_b64 v[10:13], v24 offset0:96 offset1:112
	s_waitcnt lgkmcnt(1)
	v_fma_f64 v[30:31], v[2:3], v[34:35], v[28:29]
	v_fma_f64 v[6:7], v[4:5], v[34:35], v[6:7]
	;; [unrolled: 1-line block ×4, first 2 shown]
	ds_read_b128 v[2:5], v25 offset:32
	ds_read2_b64 v[26:29], v24 offset0:128 offset1:144
	s_waitcnt lgkmcnt(2)
	v_fma_f64 v[42:43], v[10:11], v[36:37], v[30:31]
	v_fma_f64 v[6:7], v[12:13], v[36:37], v[6:7]
	;; [unrolled: 1-line block ×4, first 2 shown]
	ds_read_b128 v[10:13], v25 offset:1056
	ds_read_b128 v[30:33], v25 offset:48
	ds_read2_b64 v[34:37], v24 offset0:160 offset1:176
	ds_read_b128 v[38:41], v25 offset:1072
	s_waitcnt lgkmcnt(4)
	v_fma_f64 v[42:43], v[26:27], v[2:3], v[42:43]
	v_fma_f64 v[2:3], v[28:29], v[2:3], v[6:7]
	s_waitcnt lgkmcnt(3)
	v_fma_f64 v[6:7], v[26:27], v[10:11], v[14:15]
	v_fma_f64 v[10:11], v[28:29], v[10:11], v[44:45]
	ds_read2_b64 v[26:29], v24 offset0:192 offset1:208
	s_waitcnt lgkmcnt(2)
	v_fma_f64 v[42:43], v[34:35], v[4:5], v[42:43]
	v_fma_f64 v[2:3], v[36:37], v[4:5], v[2:3]
	;; [unrolled: 1-line block ×4, first 2 shown]
	ds_read2_b64 v[12:15], v24 offset0:224 offset1:240
	s_waitcnt lgkmcnt(0)
	s_barrier
	buffer_gl0_inv
	v_fma_f64 v[10:11], v[26:27], v[30:31], v[42:43]
	v_fma_f64 v[2:3], v[28:29], v[30:31], v[2:3]
	;; [unrolled: 1-line block ×8, first 2 shown]
	s_cbranch_vccz .LBB181_12
.LBB181_6:                              ; =>This Inner Loop Header: Depth=1
	v_mov_b32_e32 v12, 0
	v_mov_b32_e32 v13, 0
	s_and_saveexec_b32 s14, s0
	s_cbranch_execz .LBB181_10
; %bb.7:                                ;   in Loop: Header=BB181_6 Depth=1
	v_mov_b32_e32 v12, 0
	v_add_nc_u32_e32 v8, s4, v17
	v_mov_b32_e32 v13, 0
	s_mov_b32 s15, exec_lo
	v_cmpx_gt_u64_e64 s[12:13], v[8:9]
	s_cbranch_execz .LBB181_9
; %bb.8:                                ;   in Loop: Header=BB181_6 Depth=1
	v_mad_u64_u32 v[12:13], null, s18, v8, 0
	v_mad_u64_u32 v[13:14], null, s19, v8, v[13:14]
	v_lshlrev_b64 v[12:13], 3, v[12:13]
	v_add_co_u32 v12, vcc_lo, v19, v12
	v_add_co_ci_u32_e64 v13, null, v20, v13, vcc_lo
	global_load_dwordx2 v[12:13], v[12:13], off
.LBB181_9:                              ;   in Loop: Header=BB181_6 Depth=1
	s_or_b32 exec_lo, exec_lo, s15
.LBB181_10:                             ;   in Loop: Header=BB181_6 Depth=1
	s_or_b32 exec_lo, exec_lo, s14
	v_add_nc_u32_e32 v8, s4, v16
	v_mov_b32_e32 v14, 0
	v_mov_b32_e32 v15, 0
	s_waitcnt vmcnt(0)
	ds_write_b64 v18, v[12:13]
	v_cmp_gt_u64_e32 vcc_lo, s[12:13], v[8:9]
	s_and_b32 s15, vcc_lo, s1
	s_and_saveexec_b32 s14, s15
	s_cbranch_execz .LBB181_5
; %bb.11:                               ;   in Loop: Header=BB181_6 Depth=1
	v_mad_u64_u32 v[12:13], null, s24, v8, 0
	v_mad_u64_u32 v[13:14], null, s25, v8, v[13:14]
	v_lshlrev_b64 v[12:13], 3, v[12:13]
	v_add_co_u32 v12, vcc_lo, v22, v12
	v_add_co_ci_u32_e64 v13, null, v23, v13, vcc_lo
	global_load_dwordx2 v[14:15], v[12:13], off
	s_branch .LBB181_5
.LBB181_12:
	v_add_nc_u32_e32 v13, s7, v1
	v_add_nc_u32_e32 v0, s6, v0
	v_cmp_neq_f64_e64 s6, s[2:3], 0
	s_mul_i32 s1, s43, s8
	s_mul_hi_u32 s4, s42, s8
	v_ashrrev_i32_e32 v1, 31, v13
	v_mul_lo_u32 v12, s41, v13
	v_mad_u64_u32 v[8:9], null, s40, v13, 0
	s_mul_i32 s0, s42, s8
	v_mul_lo_u32 v1, s40, v1
	s_add_i32 s1, s4, s1
	v_cmp_le_i32_e32 vcc_lo, v0, v13
	s_lshl_b64 s[4:5], s[0:1], 3
	s_waitcnt lgkmcnt(0)
	v_cmp_gt_i32_e64 s0, s9, v13
	s_add_u32 s4, s38, s4
	s_addc_u32 s5, s39, s5
	v_add3_u32 v9, v9, v1, v12
	v_ashrrev_i32_e32 v1, 31, v0
	s_and_b32 s7, s0, vcc_lo
	v_lshlrev_b64 v[8:9], 3, v[8:9]
	v_cndmask_b32_e64 v12, 0, 1, s6
	v_add_co_u32 v14, s1, s4, v8
	v_add_co_ci_u32_e64 v15, null, s5, v9, s1
	s_and_saveexec_b32 s1, s7
	s_cbranch_execz .LBB181_16
; %bb.13:
	v_mul_f64 v[8:9], s[10:11], v[10:11]
	v_lshlrev_b64 v[10:11], 3, v[0:1]
	v_add_co_u32 v10, vcc_lo, v14, v10
	v_add_co_ci_u32_e64 v11, null, v15, v11, vcc_lo
	s_andn2_b32 vcc_lo, exec_lo, s6
	s_cbranch_vccnz .LBB181_15
; %bb.14:
	global_load_dwordx2 v[16:17], v[10:11], off
	s_waitcnt vmcnt(0)
	v_fma_f64 v[8:9], s[2:3], v[16:17], v[8:9]
.LBB181_15:
	global_store_dwordx2 v[10:11], v[8:9], off
.LBB181_16:
	s_or_b32 exec_lo, exec_lo, s1
	v_add_nc_u32_e32 v8, 16, v0
	v_cmp_le_i32_e32 vcc_lo, v8, v13
	v_ashrrev_i32_e32 v9, 31, v8
	s_and_b32 s0, s0, vcc_lo
	s_and_saveexec_b32 s1, s0
	s_cbranch_execz .LBB181_20
; %bb.17:
	v_mul_f64 v[6:7], s[10:11], v[6:7]
	v_lshlrev_b64 v[10:11], 3, v[8:9]
	v_cmp_ne_u32_e32 vcc_lo, 1, v12
	v_add_co_u32 v10, s0, v14, v10
	v_add_co_ci_u32_e64 v11, null, v15, v11, s0
	s_cbranch_vccnz .LBB181_19
; %bb.18:
	global_load_dwordx2 v[14:15], v[10:11], off
	s_waitcnt vmcnt(0)
	v_fma_f64 v[6:7], s[2:3], v[14:15], v[6:7]
.LBB181_19:
	global_store_dwordx2 v[10:11], v[6:7], off
.LBB181_20:
	s_or_b32 exec_lo, exec_lo, s1
	v_add_nc_u32_e32 v10, 16, v13
	v_ashrrev_i32_e32 v11, 31, v10
	v_mul_lo_u32 v13, s41, v10
	v_mad_u64_u32 v[6:7], null, s40, v10, 0
	v_cmp_gt_i32_e64 s0, s9, v10
	v_mul_lo_u32 v11, s40, v11
	v_cmp_le_i32_e32 vcc_lo, v0, v10
	v_add3_u32 v7, v7, v11, v13
	v_lshlrev_b64 v[6:7], 3, v[6:7]
	v_add_co_u32 v6, s1, s4, v6
	v_add_co_ci_u32_e64 v7, null, s5, v7, s1
	s_and_b32 s1, s0, vcc_lo
	s_and_saveexec_b32 s4, s1
	s_cbranch_execz .LBB181_24
; %bb.21:
	v_mul_f64 v[4:5], s[10:11], v[4:5]
	v_lshlrev_b64 v[0:1], 3, v[0:1]
	v_cmp_ne_u32_e32 vcc_lo, 1, v12
	v_add_co_u32 v0, s1, v6, v0
	v_add_co_ci_u32_e64 v1, null, v7, v1, s1
	s_cbranch_vccnz .LBB181_23
; %bb.22:
	global_load_dwordx2 v[13:14], v[0:1], off
	s_waitcnt vmcnt(0)
	v_fma_f64 v[4:5], s[2:3], v[13:14], v[4:5]
.LBB181_23:
	global_store_dwordx2 v[0:1], v[4:5], off
.LBB181_24:
	s_or_b32 exec_lo, exec_lo, s4
	v_cmp_le_i32_e32 vcc_lo, v8, v10
	s_and_b32 s0, s0, vcc_lo
	s_and_saveexec_b32 s1, s0
	s_cbranch_execz .LBB181_28
; %bb.25:
	v_mul_f64 v[0:1], s[10:11], v[2:3]
	v_lshlrev_b64 v[2:3], 3, v[8:9]
	v_cmp_ne_u32_e32 vcc_lo, 1, v12
	v_add_co_u32 v2, s0, v6, v2
	v_add_co_ci_u32_e64 v3, null, v7, v3, s0
	s_cbranch_vccnz .LBB181_27
; %bb.26:
	global_load_dwordx2 v[4:5], v[2:3], off
	s_waitcnt vmcnt(0)
	v_fma_f64 v[0:1], s[2:3], v[4:5], v[0:1]
.LBB181_27:
	global_store_dwordx2 v[2:3], v[0:1], off
.LBB181_28:
	s_endpgm
	.section	.rodata,"a",@progbits
	.p2align	6, 0x0
	.amdhsa_kernel _ZL29rocblas_internal_gemmt_kernelIlLi16ELi32ELi8ELc78ELc84ELc85ELb0ELb0EdPKdS1_PdEviT_T9_T10_S3_lS5_S3_lS4_T11_S3_li
		.amdhsa_group_segment_fixed_size 4096
		.amdhsa_private_segment_fixed_size 0
		.amdhsa_kernarg_size 108
		.amdhsa_user_sgpr_count 6
		.amdhsa_user_sgpr_private_segment_buffer 1
		.amdhsa_user_sgpr_dispatch_ptr 0
		.amdhsa_user_sgpr_queue_ptr 0
		.amdhsa_user_sgpr_kernarg_segment_ptr 1
		.amdhsa_user_sgpr_dispatch_id 0
		.amdhsa_user_sgpr_flat_scratch_init 0
		.amdhsa_user_sgpr_private_segment_size 0
		.amdhsa_wavefront_size32 1
		.amdhsa_uses_dynamic_stack 0
		.amdhsa_system_sgpr_private_segment_wavefront_offset 0
		.amdhsa_system_sgpr_workgroup_id_x 1
		.amdhsa_system_sgpr_workgroup_id_y 1
		.amdhsa_system_sgpr_workgroup_id_z 1
		.amdhsa_system_sgpr_workgroup_info 0
		.amdhsa_system_vgpr_workitem_id 1
		.amdhsa_next_free_vgpr 46
		.amdhsa_next_free_sgpr 44
		.amdhsa_reserve_vcc 1
		.amdhsa_reserve_flat_scratch 0
		.amdhsa_float_round_mode_32 0
		.amdhsa_float_round_mode_16_64 0
		.amdhsa_float_denorm_mode_32 3
		.amdhsa_float_denorm_mode_16_64 3
		.amdhsa_dx10_clamp 1
		.amdhsa_ieee_mode 1
		.amdhsa_fp16_overflow 0
		.amdhsa_workgroup_processor_mode 1
		.amdhsa_memory_ordered 1
		.amdhsa_forward_progress 1
		.amdhsa_shared_vgpr_count 0
		.amdhsa_exception_fp_ieee_invalid_op 0
		.amdhsa_exception_fp_denorm_src 0
		.amdhsa_exception_fp_ieee_div_zero 0
		.amdhsa_exception_fp_ieee_overflow 0
		.amdhsa_exception_fp_ieee_underflow 0
		.amdhsa_exception_fp_ieee_inexact 0
		.amdhsa_exception_int_div_zero 0
	.end_amdhsa_kernel
	.section	.text._ZL29rocblas_internal_gemmt_kernelIlLi16ELi32ELi8ELc78ELc84ELc85ELb0ELb0EdPKdS1_PdEviT_T9_T10_S3_lS5_S3_lS4_T11_S3_li,"axG",@progbits,_ZL29rocblas_internal_gemmt_kernelIlLi16ELi32ELi8ELc78ELc84ELc85ELb0ELb0EdPKdS1_PdEviT_T9_T10_S3_lS5_S3_lS4_T11_S3_li,comdat
.Lfunc_end181:
	.size	_ZL29rocblas_internal_gemmt_kernelIlLi16ELi32ELi8ELc78ELc84ELc85ELb0ELb0EdPKdS1_PdEviT_T9_T10_S3_lS5_S3_lS4_T11_S3_li, .Lfunc_end181-_ZL29rocblas_internal_gemmt_kernelIlLi16ELi32ELi8ELc78ELc84ELc85ELb0ELb0EdPKdS1_PdEviT_T9_T10_S3_lS5_S3_lS4_T11_S3_li
                                        ; -- End function
	.set _ZL29rocblas_internal_gemmt_kernelIlLi16ELi32ELi8ELc78ELc84ELc85ELb0ELb0EdPKdS1_PdEviT_T9_T10_S3_lS5_S3_lS4_T11_S3_li.num_vgpr, 46
	.set _ZL29rocblas_internal_gemmt_kernelIlLi16ELi32ELi8ELc78ELc84ELc85ELb0ELb0EdPKdS1_PdEviT_T9_T10_S3_lS5_S3_lS4_T11_S3_li.num_agpr, 0
	.set _ZL29rocblas_internal_gemmt_kernelIlLi16ELi32ELi8ELc78ELc84ELc85ELb0ELb0EdPKdS1_PdEviT_T9_T10_S3_lS5_S3_lS4_T11_S3_li.numbered_sgpr, 44
	.set _ZL29rocblas_internal_gemmt_kernelIlLi16ELi32ELi8ELc78ELc84ELc85ELb0ELb0EdPKdS1_PdEviT_T9_T10_S3_lS5_S3_lS4_T11_S3_li.num_named_barrier, 0
	.set _ZL29rocblas_internal_gemmt_kernelIlLi16ELi32ELi8ELc78ELc84ELc85ELb0ELb0EdPKdS1_PdEviT_T9_T10_S3_lS5_S3_lS4_T11_S3_li.private_seg_size, 0
	.set _ZL29rocblas_internal_gemmt_kernelIlLi16ELi32ELi8ELc78ELc84ELc85ELb0ELb0EdPKdS1_PdEviT_T9_T10_S3_lS5_S3_lS4_T11_S3_li.uses_vcc, 1
	.set _ZL29rocblas_internal_gemmt_kernelIlLi16ELi32ELi8ELc78ELc84ELc85ELb0ELb0EdPKdS1_PdEviT_T9_T10_S3_lS5_S3_lS4_T11_S3_li.uses_flat_scratch, 0
	.set _ZL29rocblas_internal_gemmt_kernelIlLi16ELi32ELi8ELc78ELc84ELc85ELb0ELb0EdPKdS1_PdEviT_T9_T10_S3_lS5_S3_lS4_T11_S3_li.has_dyn_sized_stack, 0
	.set _ZL29rocblas_internal_gemmt_kernelIlLi16ELi32ELi8ELc78ELc84ELc85ELb0ELb0EdPKdS1_PdEviT_T9_T10_S3_lS5_S3_lS4_T11_S3_li.has_recursion, 0
	.set _ZL29rocblas_internal_gemmt_kernelIlLi16ELi32ELi8ELc78ELc84ELc85ELb0ELb0EdPKdS1_PdEviT_T9_T10_S3_lS5_S3_lS4_T11_S3_li.has_indirect_call, 0
	.section	.AMDGPU.csdata,"",@progbits
; Kernel info:
; codeLenInByte = 1664
; TotalNumSgprs: 46
; NumVgprs: 46
; ScratchSize: 0
; MemoryBound: 0
; FloatMode: 240
; IeeeMode: 1
; LDSByteSize: 4096 bytes/workgroup (compile time only)
; SGPRBlocks: 0
; VGPRBlocks: 5
; NumSGPRsForWavesPerEU: 46
; NumVGPRsForWavesPerEU: 46
; Occupancy: 16
; WaveLimiterHint : 0
; COMPUTE_PGM_RSRC2:SCRATCH_EN: 0
; COMPUTE_PGM_RSRC2:USER_SGPR: 6
; COMPUTE_PGM_RSRC2:TRAP_HANDLER: 0
; COMPUTE_PGM_RSRC2:TGID_X_EN: 1
; COMPUTE_PGM_RSRC2:TGID_Y_EN: 1
; COMPUTE_PGM_RSRC2:TGID_Z_EN: 1
; COMPUTE_PGM_RSRC2:TIDIG_COMP_CNT: 1
	.section	.text._ZL29rocblas_internal_gemmt_kernelIlLi16ELi32ELi8ELc78ELc67ELc85ELb0ELb0EdPKdS1_PdEviT_T9_T10_S3_lS5_S3_lS4_T11_S3_li,"axG",@progbits,_ZL29rocblas_internal_gemmt_kernelIlLi16ELi32ELi8ELc78ELc67ELc85ELb0ELb0EdPKdS1_PdEviT_T9_T10_S3_lS5_S3_lS4_T11_S3_li,comdat
	.globl	_ZL29rocblas_internal_gemmt_kernelIlLi16ELi32ELi8ELc78ELc67ELc85ELb0ELb0EdPKdS1_PdEviT_T9_T10_S3_lS5_S3_lS4_T11_S3_li ; -- Begin function _ZL29rocblas_internal_gemmt_kernelIlLi16ELi32ELi8ELc78ELc67ELc85ELb0ELb0EdPKdS1_PdEviT_T9_T10_S3_lS5_S3_lS4_T11_S3_li
	.p2align	8
	.type	_ZL29rocblas_internal_gemmt_kernelIlLi16ELi32ELi8ELc78ELc67ELc85ELb0ELb0EdPKdS1_PdEviT_T9_T10_S3_lS5_S3_lS4_T11_S3_li,@function
_ZL29rocblas_internal_gemmt_kernelIlLi16ELi32ELi8ELc78ELc67ELc85ELb0ELb0EdPKdS1_PdEviT_T9_T10_S3_lS5_S3_lS4_T11_S3_li: ; @_ZL29rocblas_internal_gemmt_kernelIlLi16ELi32ELi8ELc78ELc67ELc85ELb0ELb0EdPKdS1_PdEviT_T9_T10_S3_lS5_S3_lS4_T11_S3_li
; %bb.0:
	s_load_dwordx8 s[36:43], s[4:5], 0x48
	s_waitcnt lgkmcnt(0)
	s_load_dwordx2 s[2:3], s[36:37], 0x0
	s_load_dwordx16 s[12:27], s[4:5], 0x8
	s_waitcnt lgkmcnt(0)
	v_cmp_neq_f64_e64 s0, s[2:3], 1.0
	s_load_dwordx2 s[10:11], s[14:15], 0x0
	s_and_b32 vcc_lo, exec_lo, s0
	s_cbranch_vccnz .LBB182_2
; %bb.1:
	s_waitcnt lgkmcnt(0)
	v_cmp_neq_f64_e64 s0, s[10:11], 0
	s_cmp_lg_u64 s[12:13], 0
	s_cselect_b32 s1, -1, 0
	s_and_b32 s0, s1, s0
.LBB182_2:
	s_andn2_b32 vcc_lo, exec_lo, s0
	s_cbranch_vccnz .LBB182_28
; %bb.3:
	s_waitcnt lgkmcnt(0)
	v_cmp_eq_f64_e64 s0, s[10:11], 0
	s_load_dword s9, s[4:5], 0x0
	v_cmp_lt_i64_e64 s1, s[12:13], 1
	v_mov_b32_e32 v10, 0
	v_mov_b32_e32 v6, 0
	;; [unrolled: 1-line block ×8, first 2 shown]
	s_lshl_b32 s6, s6, 5
	s_lshl_b32 s7, s7, 5
	s_or_b32 s0, s0, s1
	s_and_b32 vcc_lo, exec_lo, s0
	s_cbranch_vccnz .LBB182_12
; %bb.4:
	v_lshl_add_u32 v3, v1, 4, v0
	s_mul_i32 s1, s27, s8
	s_mul_hi_u32 s4, s26, s8
	s_mul_i32 s0, s26, s8
	s_add_i32 s1, s4, s1
	v_and_b32_e32 v5, 31, v3
	v_lshrrev_b32_e32 v8, 3, v3
	s_lshl_b64 s[0:1], s[0:1], 3
	v_lshrrev_b32_e32 v17, 5, v3
	v_and_b32_e32 v16, 7, v0
	v_or_b32_e32 v2, s6, v5
	v_add_nc_u32_e32 v4, s7, v8
	s_add_u32 s4, s22, s0
	s_mul_i32 s0, s21, s8
	s_mul_hi_u32 s5, s20, s8
	v_ashrrev_i32_e32 v3, 31, v2
	v_lshlrev_b32_e32 v9, 3, v5
	v_ashrrev_i32_e32 v5, 31, v4
	s_addc_u32 s14, s23, s1
	s_add_i32 s1, s5, s0
	s_mul_i32 s0, s20, s8
	v_lshlrev_b64 v[6:7], 3, v[2:3]
	s_lshl_b64 s[0:1], s[0:1], 3
	v_lshlrev_b32_e32 v10, 3, v16
	s_add_u32 s5, s16, s0
	s_waitcnt lgkmcnt(0)
	v_cmp_gt_i32_e64 s0, s9, v2
	v_lshlrev_b64 v[2:3], 3, v[4:5]
	s_addc_u32 s1, s17, s1
	v_lshl_or_b32 v8, v8, 6, v10
	v_add_co_u32 v19, vcc_lo, s5, v6
	v_add_co_ci_u32_e64 v20, null, s1, v7, vcc_lo
	v_add_co_u32 v22, vcc_lo, s4, v2
	v_cmp_gt_i32_e64 s1, s9, v4
	v_add_co_ci_u32_e64 v23, null, s14, v3, vcc_lo
	v_mov_b32_e32 v2, 0
	v_mov_b32_e32 v4, 0
	;; [unrolled: 1-line block ×4, first 2 shown]
	v_lshl_or_b32 v18, v17, 8, v9
	v_add_nc_u32_e32 v21, 0x800, v8
	v_lshlrev_b32_e32 v24, 3, v0
	v_lshl_add_u32 v25, v1, 6, 0x800
	v_mov_b32_e32 v3, 0
	v_mov_b32_e32 v5, 0
	;; [unrolled: 1-line block ×5, first 2 shown]
	s_mov_b64 s[4:5], 0
	s_branch .LBB182_6
.LBB182_5:                              ;   in Loop: Header=BB182_6 Depth=1
	s_or_b32 exec_lo, exec_lo, s14
	s_waitcnt vmcnt(0)
	ds_write_b64 v21, v[14:15]
	s_waitcnt lgkmcnt(0)
	s_barrier
	buffer_gl0_inv
	ds_read_b128 v[12:15], v25
	ds_read2_b64 v[26:29], v24 offset1:16
	ds_read_b128 v[30:33], v25 offset:1024
	ds_read_b128 v[34:37], v25 offset:16
	ds_read2_b64 v[38:41], v24 offset0:32 offset1:48
	ds_read_b128 v[42:45], v25 offset:1040
	s_add_u32 s4, s4, 8
	s_addc_u32 s5, s5, 0
	v_cmp_gt_i64_e64 s14, s[12:13], s[4:5]
	s_and_b32 vcc_lo, exec_lo, s14
	s_waitcnt lgkmcnt(4)
	v_fma_f64 v[10:11], v[26:27], v[12:13], v[10:11]
	v_fma_f64 v[6:7], v[28:29], v[12:13], v[6:7]
	s_waitcnt lgkmcnt(3)
	v_fma_f64 v[12:13], v[26:27], v[30:31], v[4:5]
	v_fma_f64 v[26:27], v[28:29], v[30:31], v[2:3]
	ds_read2_b64 v[2:5], v24 offset0:64 offset1:80
	s_waitcnt lgkmcnt(2)
	v_fma_f64 v[28:29], v[38:39], v[14:15], v[10:11]
	v_fma_f64 v[6:7], v[40:41], v[14:15], v[6:7]
	;; [unrolled: 1-line block ×4, first 2 shown]
	ds_read2_b64 v[10:13], v24 offset0:96 offset1:112
	s_waitcnt lgkmcnt(1)
	v_fma_f64 v[30:31], v[2:3], v[34:35], v[28:29]
	v_fma_f64 v[6:7], v[4:5], v[34:35], v[6:7]
	v_fma_f64 v[14:15], v[2:3], v[42:43], v[14:15]
	v_fma_f64 v[32:33], v[4:5], v[42:43], v[26:27]
	ds_read_b128 v[2:5], v25 offset:32
	ds_read2_b64 v[26:29], v24 offset0:128 offset1:144
	s_waitcnt lgkmcnt(2)
	v_fma_f64 v[42:43], v[10:11], v[36:37], v[30:31]
	v_fma_f64 v[6:7], v[12:13], v[36:37], v[6:7]
	;; [unrolled: 1-line block ×4, first 2 shown]
	ds_read_b128 v[10:13], v25 offset:1056
	ds_read_b128 v[30:33], v25 offset:48
	ds_read2_b64 v[34:37], v24 offset0:160 offset1:176
	ds_read_b128 v[38:41], v25 offset:1072
	s_waitcnt lgkmcnt(4)
	v_fma_f64 v[42:43], v[26:27], v[2:3], v[42:43]
	v_fma_f64 v[2:3], v[28:29], v[2:3], v[6:7]
	s_waitcnt lgkmcnt(3)
	v_fma_f64 v[6:7], v[26:27], v[10:11], v[14:15]
	v_fma_f64 v[10:11], v[28:29], v[10:11], v[44:45]
	ds_read2_b64 v[26:29], v24 offset0:192 offset1:208
	s_waitcnt lgkmcnt(2)
	v_fma_f64 v[42:43], v[34:35], v[4:5], v[42:43]
	v_fma_f64 v[2:3], v[36:37], v[4:5], v[2:3]
	;; [unrolled: 1-line block ×4, first 2 shown]
	ds_read2_b64 v[12:15], v24 offset0:224 offset1:240
	s_waitcnt lgkmcnt(0)
	s_barrier
	buffer_gl0_inv
	v_fma_f64 v[10:11], v[26:27], v[30:31], v[42:43]
	v_fma_f64 v[2:3], v[28:29], v[30:31], v[2:3]
	;; [unrolled: 1-line block ×8, first 2 shown]
	s_cbranch_vccz .LBB182_12
.LBB182_6:                              ; =>This Inner Loop Header: Depth=1
	v_mov_b32_e32 v12, 0
	v_mov_b32_e32 v13, 0
	s_and_saveexec_b32 s14, s0
	s_cbranch_execz .LBB182_10
; %bb.7:                                ;   in Loop: Header=BB182_6 Depth=1
	v_mov_b32_e32 v12, 0
	v_add_nc_u32_e32 v8, s4, v17
	v_mov_b32_e32 v13, 0
	s_mov_b32 s15, exec_lo
	v_cmpx_gt_u64_e64 s[12:13], v[8:9]
	s_cbranch_execz .LBB182_9
; %bb.8:                                ;   in Loop: Header=BB182_6 Depth=1
	v_mad_u64_u32 v[12:13], null, s18, v8, 0
	v_mad_u64_u32 v[13:14], null, s19, v8, v[13:14]
	v_lshlrev_b64 v[12:13], 3, v[12:13]
	v_add_co_u32 v12, vcc_lo, v19, v12
	v_add_co_ci_u32_e64 v13, null, v20, v13, vcc_lo
	global_load_dwordx2 v[12:13], v[12:13], off
.LBB182_9:                              ;   in Loop: Header=BB182_6 Depth=1
	s_or_b32 exec_lo, exec_lo, s15
.LBB182_10:                             ;   in Loop: Header=BB182_6 Depth=1
	s_or_b32 exec_lo, exec_lo, s14
	v_add_nc_u32_e32 v8, s4, v16
	v_mov_b32_e32 v14, 0
	v_mov_b32_e32 v15, 0
	s_waitcnt vmcnt(0)
	ds_write_b64 v18, v[12:13]
	v_cmp_gt_u64_e32 vcc_lo, s[12:13], v[8:9]
	s_and_b32 s15, vcc_lo, s1
	s_and_saveexec_b32 s14, s15
	s_cbranch_execz .LBB182_5
; %bb.11:                               ;   in Loop: Header=BB182_6 Depth=1
	v_mad_u64_u32 v[12:13], null, s24, v8, 0
	v_mad_u64_u32 v[13:14], null, s25, v8, v[13:14]
	v_lshlrev_b64 v[12:13], 3, v[12:13]
	v_add_co_u32 v12, vcc_lo, v22, v12
	v_add_co_ci_u32_e64 v13, null, v23, v13, vcc_lo
	global_load_dwordx2 v[14:15], v[12:13], off
	s_branch .LBB182_5
.LBB182_12:
	v_add_nc_u32_e32 v13, s7, v1
	v_add_nc_u32_e32 v0, s6, v0
	v_cmp_neq_f64_e64 s6, s[2:3], 0
	s_mul_i32 s1, s43, s8
	s_mul_hi_u32 s4, s42, s8
	v_ashrrev_i32_e32 v1, 31, v13
	v_mul_lo_u32 v12, s41, v13
	v_mad_u64_u32 v[8:9], null, s40, v13, 0
	s_mul_i32 s0, s42, s8
	v_mul_lo_u32 v1, s40, v1
	s_add_i32 s1, s4, s1
	v_cmp_le_i32_e32 vcc_lo, v0, v13
	s_lshl_b64 s[4:5], s[0:1], 3
	s_waitcnt lgkmcnt(0)
	v_cmp_gt_i32_e64 s0, s9, v13
	s_add_u32 s4, s38, s4
	s_addc_u32 s5, s39, s5
	v_add3_u32 v9, v9, v1, v12
	v_ashrrev_i32_e32 v1, 31, v0
	s_and_b32 s7, s0, vcc_lo
	v_lshlrev_b64 v[8:9], 3, v[8:9]
	v_cndmask_b32_e64 v12, 0, 1, s6
	v_add_co_u32 v14, s1, s4, v8
	v_add_co_ci_u32_e64 v15, null, s5, v9, s1
	s_and_saveexec_b32 s1, s7
	s_cbranch_execz .LBB182_16
; %bb.13:
	v_mul_f64 v[8:9], s[10:11], v[10:11]
	v_lshlrev_b64 v[10:11], 3, v[0:1]
	v_add_co_u32 v10, vcc_lo, v14, v10
	v_add_co_ci_u32_e64 v11, null, v15, v11, vcc_lo
	s_andn2_b32 vcc_lo, exec_lo, s6
	s_cbranch_vccnz .LBB182_15
; %bb.14:
	global_load_dwordx2 v[16:17], v[10:11], off
	s_waitcnt vmcnt(0)
	v_fma_f64 v[8:9], s[2:3], v[16:17], v[8:9]
.LBB182_15:
	global_store_dwordx2 v[10:11], v[8:9], off
.LBB182_16:
	s_or_b32 exec_lo, exec_lo, s1
	v_add_nc_u32_e32 v8, 16, v0
	v_cmp_le_i32_e32 vcc_lo, v8, v13
	v_ashrrev_i32_e32 v9, 31, v8
	s_and_b32 s0, s0, vcc_lo
	s_and_saveexec_b32 s1, s0
	s_cbranch_execz .LBB182_20
; %bb.17:
	v_mul_f64 v[6:7], s[10:11], v[6:7]
	v_lshlrev_b64 v[10:11], 3, v[8:9]
	v_cmp_ne_u32_e32 vcc_lo, 1, v12
	v_add_co_u32 v10, s0, v14, v10
	v_add_co_ci_u32_e64 v11, null, v15, v11, s0
	s_cbranch_vccnz .LBB182_19
; %bb.18:
	global_load_dwordx2 v[14:15], v[10:11], off
	s_waitcnt vmcnt(0)
	v_fma_f64 v[6:7], s[2:3], v[14:15], v[6:7]
.LBB182_19:
	global_store_dwordx2 v[10:11], v[6:7], off
.LBB182_20:
	s_or_b32 exec_lo, exec_lo, s1
	v_add_nc_u32_e32 v10, 16, v13
	v_ashrrev_i32_e32 v11, 31, v10
	v_mul_lo_u32 v13, s41, v10
	v_mad_u64_u32 v[6:7], null, s40, v10, 0
	v_cmp_gt_i32_e64 s0, s9, v10
	v_mul_lo_u32 v11, s40, v11
	v_cmp_le_i32_e32 vcc_lo, v0, v10
	v_add3_u32 v7, v7, v11, v13
	v_lshlrev_b64 v[6:7], 3, v[6:7]
	v_add_co_u32 v6, s1, s4, v6
	v_add_co_ci_u32_e64 v7, null, s5, v7, s1
	s_and_b32 s1, s0, vcc_lo
	s_and_saveexec_b32 s4, s1
	s_cbranch_execz .LBB182_24
; %bb.21:
	v_mul_f64 v[4:5], s[10:11], v[4:5]
	v_lshlrev_b64 v[0:1], 3, v[0:1]
	v_cmp_ne_u32_e32 vcc_lo, 1, v12
	v_add_co_u32 v0, s1, v6, v0
	v_add_co_ci_u32_e64 v1, null, v7, v1, s1
	s_cbranch_vccnz .LBB182_23
; %bb.22:
	global_load_dwordx2 v[13:14], v[0:1], off
	s_waitcnt vmcnt(0)
	v_fma_f64 v[4:5], s[2:3], v[13:14], v[4:5]
.LBB182_23:
	global_store_dwordx2 v[0:1], v[4:5], off
.LBB182_24:
	s_or_b32 exec_lo, exec_lo, s4
	v_cmp_le_i32_e32 vcc_lo, v8, v10
	s_and_b32 s0, s0, vcc_lo
	s_and_saveexec_b32 s1, s0
	s_cbranch_execz .LBB182_28
; %bb.25:
	v_mul_f64 v[0:1], s[10:11], v[2:3]
	v_lshlrev_b64 v[2:3], 3, v[8:9]
	v_cmp_ne_u32_e32 vcc_lo, 1, v12
	v_add_co_u32 v2, s0, v6, v2
	v_add_co_ci_u32_e64 v3, null, v7, v3, s0
	s_cbranch_vccnz .LBB182_27
; %bb.26:
	global_load_dwordx2 v[4:5], v[2:3], off
	s_waitcnt vmcnt(0)
	v_fma_f64 v[0:1], s[2:3], v[4:5], v[0:1]
.LBB182_27:
	global_store_dwordx2 v[2:3], v[0:1], off
.LBB182_28:
	s_endpgm
	.section	.rodata,"a",@progbits
	.p2align	6, 0x0
	.amdhsa_kernel _ZL29rocblas_internal_gemmt_kernelIlLi16ELi32ELi8ELc78ELc67ELc85ELb0ELb0EdPKdS1_PdEviT_T9_T10_S3_lS5_S3_lS4_T11_S3_li
		.amdhsa_group_segment_fixed_size 4096
		.amdhsa_private_segment_fixed_size 0
		.amdhsa_kernarg_size 108
		.amdhsa_user_sgpr_count 6
		.amdhsa_user_sgpr_private_segment_buffer 1
		.amdhsa_user_sgpr_dispatch_ptr 0
		.amdhsa_user_sgpr_queue_ptr 0
		.amdhsa_user_sgpr_kernarg_segment_ptr 1
		.amdhsa_user_sgpr_dispatch_id 0
		.amdhsa_user_sgpr_flat_scratch_init 0
		.amdhsa_user_sgpr_private_segment_size 0
		.amdhsa_wavefront_size32 1
		.amdhsa_uses_dynamic_stack 0
		.amdhsa_system_sgpr_private_segment_wavefront_offset 0
		.amdhsa_system_sgpr_workgroup_id_x 1
		.amdhsa_system_sgpr_workgroup_id_y 1
		.amdhsa_system_sgpr_workgroup_id_z 1
		.amdhsa_system_sgpr_workgroup_info 0
		.amdhsa_system_vgpr_workitem_id 1
		.amdhsa_next_free_vgpr 46
		.amdhsa_next_free_sgpr 44
		.amdhsa_reserve_vcc 1
		.amdhsa_reserve_flat_scratch 0
		.amdhsa_float_round_mode_32 0
		.amdhsa_float_round_mode_16_64 0
		.amdhsa_float_denorm_mode_32 3
		.amdhsa_float_denorm_mode_16_64 3
		.amdhsa_dx10_clamp 1
		.amdhsa_ieee_mode 1
		.amdhsa_fp16_overflow 0
		.amdhsa_workgroup_processor_mode 1
		.amdhsa_memory_ordered 1
		.amdhsa_forward_progress 1
		.amdhsa_shared_vgpr_count 0
		.amdhsa_exception_fp_ieee_invalid_op 0
		.amdhsa_exception_fp_denorm_src 0
		.amdhsa_exception_fp_ieee_div_zero 0
		.amdhsa_exception_fp_ieee_overflow 0
		.amdhsa_exception_fp_ieee_underflow 0
		.amdhsa_exception_fp_ieee_inexact 0
		.amdhsa_exception_int_div_zero 0
	.end_amdhsa_kernel
	.section	.text._ZL29rocblas_internal_gemmt_kernelIlLi16ELi32ELi8ELc78ELc67ELc85ELb0ELb0EdPKdS1_PdEviT_T9_T10_S3_lS5_S3_lS4_T11_S3_li,"axG",@progbits,_ZL29rocblas_internal_gemmt_kernelIlLi16ELi32ELi8ELc78ELc67ELc85ELb0ELb0EdPKdS1_PdEviT_T9_T10_S3_lS5_S3_lS4_T11_S3_li,comdat
.Lfunc_end182:
	.size	_ZL29rocblas_internal_gemmt_kernelIlLi16ELi32ELi8ELc78ELc67ELc85ELb0ELb0EdPKdS1_PdEviT_T9_T10_S3_lS5_S3_lS4_T11_S3_li, .Lfunc_end182-_ZL29rocblas_internal_gemmt_kernelIlLi16ELi32ELi8ELc78ELc67ELc85ELb0ELb0EdPKdS1_PdEviT_T9_T10_S3_lS5_S3_lS4_T11_S3_li
                                        ; -- End function
	.set _ZL29rocblas_internal_gemmt_kernelIlLi16ELi32ELi8ELc78ELc67ELc85ELb0ELb0EdPKdS1_PdEviT_T9_T10_S3_lS5_S3_lS4_T11_S3_li.num_vgpr, 46
	.set _ZL29rocblas_internal_gemmt_kernelIlLi16ELi32ELi8ELc78ELc67ELc85ELb0ELb0EdPKdS1_PdEviT_T9_T10_S3_lS5_S3_lS4_T11_S3_li.num_agpr, 0
	.set _ZL29rocblas_internal_gemmt_kernelIlLi16ELi32ELi8ELc78ELc67ELc85ELb0ELb0EdPKdS1_PdEviT_T9_T10_S3_lS5_S3_lS4_T11_S3_li.numbered_sgpr, 44
	.set _ZL29rocblas_internal_gemmt_kernelIlLi16ELi32ELi8ELc78ELc67ELc85ELb0ELb0EdPKdS1_PdEviT_T9_T10_S3_lS5_S3_lS4_T11_S3_li.num_named_barrier, 0
	.set _ZL29rocblas_internal_gemmt_kernelIlLi16ELi32ELi8ELc78ELc67ELc85ELb0ELb0EdPKdS1_PdEviT_T9_T10_S3_lS5_S3_lS4_T11_S3_li.private_seg_size, 0
	.set _ZL29rocblas_internal_gemmt_kernelIlLi16ELi32ELi8ELc78ELc67ELc85ELb0ELb0EdPKdS1_PdEviT_T9_T10_S3_lS5_S3_lS4_T11_S3_li.uses_vcc, 1
	.set _ZL29rocblas_internal_gemmt_kernelIlLi16ELi32ELi8ELc78ELc67ELc85ELb0ELb0EdPKdS1_PdEviT_T9_T10_S3_lS5_S3_lS4_T11_S3_li.uses_flat_scratch, 0
	.set _ZL29rocblas_internal_gemmt_kernelIlLi16ELi32ELi8ELc78ELc67ELc85ELb0ELb0EdPKdS1_PdEviT_T9_T10_S3_lS5_S3_lS4_T11_S3_li.has_dyn_sized_stack, 0
	.set _ZL29rocblas_internal_gemmt_kernelIlLi16ELi32ELi8ELc78ELc67ELc85ELb0ELb0EdPKdS1_PdEviT_T9_T10_S3_lS5_S3_lS4_T11_S3_li.has_recursion, 0
	.set _ZL29rocblas_internal_gemmt_kernelIlLi16ELi32ELi8ELc78ELc67ELc85ELb0ELb0EdPKdS1_PdEviT_T9_T10_S3_lS5_S3_lS4_T11_S3_li.has_indirect_call, 0
	.section	.AMDGPU.csdata,"",@progbits
; Kernel info:
; codeLenInByte = 1664
; TotalNumSgprs: 46
; NumVgprs: 46
; ScratchSize: 0
; MemoryBound: 0
; FloatMode: 240
; IeeeMode: 1
; LDSByteSize: 4096 bytes/workgroup (compile time only)
; SGPRBlocks: 0
; VGPRBlocks: 5
; NumSGPRsForWavesPerEU: 46
; NumVGPRsForWavesPerEU: 46
; Occupancy: 16
; WaveLimiterHint : 0
; COMPUTE_PGM_RSRC2:SCRATCH_EN: 0
; COMPUTE_PGM_RSRC2:USER_SGPR: 6
; COMPUTE_PGM_RSRC2:TRAP_HANDLER: 0
; COMPUTE_PGM_RSRC2:TGID_X_EN: 1
; COMPUTE_PGM_RSRC2:TGID_Y_EN: 1
; COMPUTE_PGM_RSRC2:TGID_Z_EN: 1
; COMPUTE_PGM_RSRC2:TIDIG_COMP_CNT: 1
	.section	.text._ZL29rocblas_internal_gemmt_kernelIlLi16ELi32ELi8ELc84ELc78ELc85ELb0ELb0EdPKdS1_PdEviT_T9_T10_S3_lS5_S3_lS4_T11_S3_li,"axG",@progbits,_ZL29rocblas_internal_gemmt_kernelIlLi16ELi32ELi8ELc84ELc78ELc85ELb0ELb0EdPKdS1_PdEviT_T9_T10_S3_lS5_S3_lS4_T11_S3_li,comdat
	.globl	_ZL29rocblas_internal_gemmt_kernelIlLi16ELi32ELi8ELc84ELc78ELc85ELb0ELb0EdPKdS1_PdEviT_T9_T10_S3_lS5_S3_lS4_T11_S3_li ; -- Begin function _ZL29rocblas_internal_gemmt_kernelIlLi16ELi32ELi8ELc84ELc78ELc85ELb0ELb0EdPKdS1_PdEviT_T9_T10_S3_lS5_S3_lS4_T11_S3_li
	.p2align	8
	.type	_ZL29rocblas_internal_gemmt_kernelIlLi16ELi32ELi8ELc84ELc78ELc85ELb0ELb0EdPKdS1_PdEviT_T9_T10_S3_lS5_S3_lS4_T11_S3_li,@function
_ZL29rocblas_internal_gemmt_kernelIlLi16ELi32ELi8ELc84ELc78ELc85ELb0ELb0EdPKdS1_PdEviT_T9_T10_S3_lS5_S3_lS4_T11_S3_li: ; @_ZL29rocblas_internal_gemmt_kernelIlLi16ELi32ELi8ELc84ELc78ELc85ELb0ELb0EdPKdS1_PdEviT_T9_T10_S3_lS5_S3_lS4_T11_S3_li
; %bb.0:
	s_load_dwordx8 s[36:43], s[4:5], 0x48
	s_waitcnt lgkmcnt(0)
	s_load_dwordx2 s[2:3], s[36:37], 0x0
	s_load_dwordx16 s[12:27], s[4:5], 0x8
	s_waitcnt lgkmcnt(0)
	v_cmp_neq_f64_e64 s0, s[2:3], 1.0
	s_load_dwordx2 s[10:11], s[14:15], 0x0
	s_and_b32 vcc_lo, exec_lo, s0
	s_cbranch_vccnz .LBB183_2
; %bb.1:
	s_waitcnt lgkmcnt(0)
	v_cmp_neq_f64_e64 s0, s[10:11], 0
	s_cmp_lg_u64 s[12:13], 0
	s_cselect_b32 s1, -1, 0
	s_and_b32 s0, s1, s0
.LBB183_2:
	s_andn2_b32 vcc_lo, exec_lo, s0
	s_cbranch_vccnz .LBB183_28
; %bb.3:
	s_waitcnt lgkmcnt(0)
	v_cmp_eq_f64_e64 s0, s[10:11], 0
	s_load_dword s9, s[4:5], 0x0
	v_cmp_lt_i64_e64 s1, s[12:13], 1
	v_mov_b32_e32 v10, 0
	v_mov_b32_e32 v6, 0
	v_mov_b32_e32 v4, 0
	v_mov_b32_e32 v2, 0
	v_mov_b32_e32 v11, 0
	v_mov_b32_e32 v7, 0
	v_mov_b32_e32 v5, 0
	v_mov_b32_e32 v3, 0
	s_lshl_b32 s6, s6, 5
	s_lshl_b32 s7, s7, 5
	s_or_b32 s0, s0, s1
	s_and_b32 vcc_lo, exec_lo, s0
	s_cbranch_vccnz .LBB183_12
; %bb.4:
	v_lshl_add_u32 v6, v1, 4, v0
	s_mul_i32 s1, s27, s8
	s_mul_hi_u32 s4, s26, s8
	s_mul_i32 s0, s26, s8
	s_add_i32 s1, s4, s1
	v_lshrrev_b32_e32 v7, 3, v6
	v_and_b32_e32 v8, 31, v6
	s_lshl_b64 s[0:1], s[0:1], 3
	s_mul_hi_u32 s5, s20, s8
	s_add_u32 s4, s22, s0
	v_add_nc_u32_e32 v9, s7, v7
	v_or_b32_e32 v10, s6, v8
	s_mul_i32 s0, s21, s8
	s_addc_u32 s14, s23, s1
	s_add_i32 s1, s5, s0
	v_ashrrev_i32_e32 v4, 31, v9
	s_mul_i32 s0, s20, s8
	v_mul_lo_u32 v11, s19, v10
	v_mad_u64_u32 v[2:3], null, s18, v10, 0
	s_lshl_b64 s[0:1], s[0:1], 3
	v_mul_lo_u32 v12, s24, v4
	v_mul_lo_u32 v13, s25, v9
	v_mad_u64_u32 v[4:5], null, s24, v9, 0
	s_add_u32 s5, s16, s0
	s_addc_u32 s1, s17, s1
	s_ashr_i32 s0, s6, 31
	v_and_b32_e32 v16, 7, v0
	s_mul_i32 s0, s18, s0
	v_lshrrev_b32_e32 v17, 5, v6
	v_add3_u32 v3, v3, s0, v11
	v_add3_u32 v5, v5, v12, v13
	v_lshlrev_b32_e32 v6, 3, v8
	v_lshlrev_b32_e32 v8, 3, v16
	s_waitcnt lgkmcnt(0)
	v_cmp_gt_i32_e64 s0, s9, v10
	v_lshlrev_b64 v[2:3], 3, v[2:3]
	v_lshlrev_b64 v[4:5], 3, v[4:5]
	v_lshl_or_b32 v18, v17, 8, v6
	v_lshl_or_b32 v6, v7, 6, v8
	v_mov_b32_e32 v10, 0
	v_lshlrev_b32_e32 v24, 3, v0
	v_add_co_u32 v19, vcc_lo, s5, v2
	v_add_co_ci_u32_e64 v20, null, s1, v3, vcc_lo
	v_add_co_u32 v22, vcc_lo, s4, v4
	v_add_nc_u32_e32 v21, 0x800, v6
	v_add_co_ci_u32_e64 v23, null, s14, v5, vcc_lo
	v_mov_b32_e32 v2, 0
	v_mov_b32_e32 v4, 0
	;; [unrolled: 1-line block ×3, first 2 shown]
	v_cmp_gt_i32_e64 s1, s9, v9
	v_lshl_add_u32 v25, v1, 6, 0x800
	v_mov_b32_e32 v3, 0
	v_mov_b32_e32 v5, 0
	;; [unrolled: 1-line block ×5, first 2 shown]
	s_mov_b64 s[4:5], 0
	s_branch .LBB183_6
.LBB183_5:                              ;   in Loop: Header=BB183_6 Depth=1
	s_or_b32 exec_lo, exec_lo, s14
	s_waitcnt vmcnt(0)
	ds_write_b64 v21, v[14:15]
	s_waitcnt lgkmcnt(0)
	s_barrier
	buffer_gl0_inv
	ds_read_b128 v[12:15], v25
	ds_read2_b64 v[26:29], v24 offset1:16
	ds_read_b128 v[30:33], v25 offset:1024
	ds_read_b128 v[34:37], v25 offset:16
	ds_read2_b64 v[38:41], v24 offset0:32 offset1:48
	ds_read_b128 v[42:45], v25 offset:1040
	s_add_u32 s4, s4, 8
	s_addc_u32 s5, s5, 0
	v_cmp_gt_i64_e64 s14, s[12:13], s[4:5]
	s_and_b32 vcc_lo, exec_lo, s14
	s_waitcnt lgkmcnt(4)
	v_fma_f64 v[10:11], v[26:27], v[12:13], v[10:11]
	v_fma_f64 v[6:7], v[28:29], v[12:13], v[6:7]
	s_waitcnt lgkmcnt(3)
	v_fma_f64 v[12:13], v[26:27], v[30:31], v[4:5]
	v_fma_f64 v[26:27], v[28:29], v[30:31], v[2:3]
	ds_read2_b64 v[2:5], v24 offset0:64 offset1:80
	s_waitcnt lgkmcnt(2)
	v_fma_f64 v[28:29], v[38:39], v[14:15], v[10:11]
	v_fma_f64 v[6:7], v[40:41], v[14:15], v[6:7]
	;; [unrolled: 1-line block ×4, first 2 shown]
	ds_read2_b64 v[10:13], v24 offset0:96 offset1:112
	s_waitcnt lgkmcnt(1)
	v_fma_f64 v[30:31], v[2:3], v[34:35], v[28:29]
	v_fma_f64 v[6:7], v[4:5], v[34:35], v[6:7]
	;; [unrolled: 1-line block ×4, first 2 shown]
	ds_read_b128 v[2:5], v25 offset:32
	ds_read2_b64 v[26:29], v24 offset0:128 offset1:144
	s_waitcnt lgkmcnt(2)
	v_fma_f64 v[42:43], v[10:11], v[36:37], v[30:31]
	v_fma_f64 v[6:7], v[12:13], v[36:37], v[6:7]
	;; [unrolled: 1-line block ×4, first 2 shown]
	ds_read_b128 v[10:13], v25 offset:1056
	ds_read_b128 v[30:33], v25 offset:48
	ds_read2_b64 v[34:37], v24 offset0:160 offset1:176
	ds_read_b128 v[38:41], v25 offset:1072
	s_waitcnt lgkmcnt(4)
	v_fma_f64 v[42:43], v[26:27], v[2:3], v[42:43]
	v_fma_f64 v[2:3], v[28:29], v[2:3], v[6:7]
	s_waitcnt lgkmcnt(3)
	v_fma_f64 v[6:7], v[26:27], v[10:11], v[14:15]
	v_fma_f64 v[10:11], v[28:29], v[10:11], v[44:45]
	ds_read2_b64 v[26:29], v24 offset0:192 offset1:208
	s_waitcnt lgkmcnt(2)
	v_fma_f64 v[42:43], v[34:35], v[4:5], v[42:43]
	v_fma_f64 v[2:3], v[36:37], v[4:5], v[2:3]
	;; [unrolled: 1-line block ×4, first 2 shown]
	ds_read2_b64 v[12:15], v24 offset0:224 offset1:240
	s_waitcnt lgkmcnt(0)
	s_barrier
	buffer_gl0_inv
	v_fma_f64 v[10:11], v[26:27], v[30:31], v[42:43]
	v_fma_f64 v[2:3], v[28:29], v[30:31], v[2:3]
	;; [unrolled: 1-line block ×8, first 2 shown]
	s_cbranch_vccz .LBB183_12
.LBB183_6:                              ; =>This Inner Loop Header: Depth=1
	v_mov_b32_e32 v12, 0
	v_mov_b32_e32 v13, 0
	s_and_saveexec_b32 s14, s0
	s_cbranch_execz .LBB183_10
; %bb.7:                                ;   in Loop: Header=BB183_6 Depth=1
	v_mov_b32_e32 v12, 0
	v_add_nc_u32_e32 v8, s4, v17
	v_mov_b32_e32 v13, 0
	s_mov_b32 s15, exec_lo
	v_cmpx_gt_u64_e64 s[12:13], v[8:9]
	s_cbranch_execz .LBB183_9
; %bb.8:                                ;   in Loop: Header=BB183_6 Depth=1
	v_lshlrev_b64 v[12:13], 3, v[8:9]
	v_add_co_u32 v12, vcc_lo, v19, v12
	v_add_co_ci_u32_e64 v13, null, v20, v13, vcc_lo
	global_load_dwordx2 v[12:13], v[12:13], off
.LBB183_9:                              ;   in Loop: Header=BB183_6 Depth=1
	s_or_b32 exec_lo, exec_lo, s15
.LBB183_10:                             ;   in Loop: Header=BB183_6 Depth=1
	s_or_b32 exec_lo, exec_lo, s14
	v_add_nc_u32_e32 v8, s4, v16
	v_mov_b32_e32 v14, 0
	v_mov_b32_e32 v15, 0
	s_waitcnt vmcnt(0)
	ds_write_b64 v18, v[12:13]
	v_cmp_gt_u64_e32 vcc_lo, s[12:13], v[8:9]
	s_and_b32 s15, vcc_lo, s1
	s_and_saveexec_b32 s14, s15
	s_cbranch_execz .LBB183_5
; %bb.11:                               ;   in Loop: Header=BB183_6 Depth=1
	v_lshlrev_b64 v[12:13], 3, v[8:9]
	v_add_co_u32 v12, vcc_lo, v22, v12
	v_add_co_ci_u32_e64 v13, null, v23, v13, vcc_lo
	global_load_dwordx2 v[14:15], v[12:13], off
	s_branch .LBB183_5
.LBB183_12:
	v_add_nc_u32_e32 v13, s7, v1
	v_add_nc_u32_e32 v0, s6, v0
	v_cmp_neq_f64_e64 s6, s[2:3], 0
	s_mul_i32 s1, s43, s8
	s_mul_hi_u32 s4, s42, s8
	v_ashrrev_i32_e32 v1, 31, v13
	v_mul_lo_u32 v12, s41, v13
	v_mad_u64_u32 v[8:9], null, s40, v13, 0
	s_mul_i32 s0, s42, s8
	v_mul_lo_u32 v1, s40, v1
	s_add_i32 s1, s4, s1
	v_cmp_le_i32_e32 vcc_lo, v0, v13
	s_lshl_b64 s[4:5], s[0:1], 3
	s_waitcnt lgkmcnt(0)
	v_cmp_gt_i32_e64 s0, s9, v13
	s_add_u32 s4, s38, s4
	s_addc_u32 s5, s39, s5
	v_add3_u32 v9, v9, v1, v12
	v_ashrrev_i32_e32 v1, 31, v0
	s_and_b32 s7, s0, vcc_lo
	v_lshlrev_b64 v[8:9], 3, v[8:9]
	v_cndmask_b32_e64 v12, 0, 1, s6
	v_add_co_u32 v14, s1, s4, v8
	v_add_co_ci_u32_e64 v15, null, s5, v9, s1
	s_and_saveexec_b32 s1, s7
	s_cbranch_execz .LBB183_16
; %bb.13:
	v_mul_f64 v[8:9], s[10:11], v[10:11]
	v_lshlrev_b64 v[10:11], 3, v[0:1]
	v_add_co_u32 v10, vcc_lo, v14, v10
	v_add_co_ci_u32_e64 v11, null, v15, v11, vcc_lo
	s_andn2_b32 vcc_lo, exec_lo, s6
	s_cbranch_vccnz .LBB183_15
; %bb.14:
	global_load_dwordx2 v[16:17], v[10:11], off
	s_waitcnt vmcnt(0)
	v_fma_f64 v[8:9], s[2:3], v[16:17], v[8:9]
.LBB183_15:
	global_store_dwordx2 v[10:11], v[8:9], off
.LBB183_16:
	s_or_b32 exec_lo, exec_lo, s1
	v_add_nc_u32_e32 v8, 16, v0
	v_cmp_le_i32_e32 vcc_lo, v8, v13
	v_ashrrev_i32_e32 v9, 31, v8
	s_and_b32 s0, s0, vcc_lo
	s_and_saveexec_b32 s1, s0
	s_cbranch_execz .LBB183_20
; %bb.17:
	v_mul_f64 v[6:7], s[10:11], v[6:7]
	v_lshlrev_b64 v[10:11], 3, v[8:9]
	v_cmp_ne_u32_e32 vcc_lo, 1, v12
	v_add_co_u32 v10, s0, v14, v10
	v_add_co_ci_u32_e64 v11, null, v15, v11, s0
	s_cbranch_vccnz .LBB183_19
; %bb.18:
	global_load_dwordx2 v[14:15], v[10:11], off
	s_waitcnt vmcnt(0)
	v_fma_f64 v[6:7], s[2:3], v[14:15], v[6:7]
.LBB183_19:
	global_store_dwordx2 v[10:11], v[6:7], off
.LBB183_20:
	s_or_b32 exec_lo, exec_lo, s1
	v_add_nc_u32_e32 v10, 16, v13
	v_ashrrev_i32_e32 v11, 31, v10
	v_mul_lo_u32 v13, s41, v10
	v_mad_u64_u32 v[6:7], null, s40, v10, 0
	v_cmp_gt_i32_e64 s0, s9, v10
	v_mul_lo_u32 v11, s40, v11
	v_cmp_le_i32_e32 vcc_lo, v0, v10
	v_add3_u32 v7, v7, v11, v13
	v_lshlrev_b64 v[6:7], 3, v[6:7]
	v_add_co_u32 v6, s1, s4, v6
	v_add_co_ci_u32_e64 v7, null, s5, v7, s1
	s_and_b32 s1, s0, vcc_lo
	s_and_saveexec_b32 s4, s1
	s_cbranch_execz .LBB183_24
; %bb.21:
	v_mul_f64 v[4:5], s[10:11], v[4:5]
	v_lshlrev_b64 v[0:1], 3, v[0:1]
	v_cmp_ne_u32_e32 vcc_lo, 1, v12
	v_add_co_u32 v0, s1, v6, v0
	v_add_co_ci_u32_e64 v1, null, v7, v1, s1
	s_cbranch_vccnz .LBB183_23
; %bb.22:
	global_load_dwordx2 v[13:14], v[0:1], off
	s_waitcnt vmcnt(0)
	v_fma_f64 v[4:5], s[2:3], v[13:14], v[4:5]
.LBB183_23:
	global_store_dwordx2 v[0:1], v[4:5], off
.LBB183_24:
	s_or_b32 exec_lo, exec_lo, s4
	v_cmp_le_i32_e32 vcc_lo, v8, v10
	s_and_b32 s0, s0, vcc_lo
	s_and_saveexec_b32 s1, s0
	s_cbranch_execz .LBB183_28
; %bb.25:
	v_mul_f64 v[0:1], s[10:11], v[2:3]
	v_lshlrev_b64 v[2:3], 3, v[8:9]
	v_cmp_ne_u32_e32 vcc_lo, 1, v12
	v_add_co_u32 v2, s0, v6, v2
	v_add_co_ci_u32_e64 v3, null, v7, v3, s0
	s_cbranch_vccnz .LBB183_27
; %bb.26:
	global_load_dwordx2 v[4:5], v[2:3], off
	s_waitcnt vmcnt(0)
	v_fma_f64 v[0:1], s[2:3], v[4:5], v[0:1]
.LBB183_27:
	global_store_dwordx2 v[2:3], v[0:1], off
.LBB183_28:
	s_endpgm
	.section	.rodata,"a",@progbits
	.p2align	6, 0x0
	.amdhsa_kernel _ZL29rocblas_internal_gemmt_kernelIlLi16ELi32ELi8ELc84ELc78ELc85ELb0ELb0EdPKdS1_PdEviT_T9_T10_S3_lS5_S3_lS4_T11_S3_li
		.amdhsa_group_segment_fixed_size 4096
		.amdhsa_private_segment_fixed_size 0
		.amdhsa_kernarg_size 108
		.amdhsa_user_sgpr_count 6
		.amdhsa_user_sgpr_private_segment_buffer 1
		.amdhsa_user_sgpr_dispatch_ptr 0
		.amdhsa_user_sgpr_queue_ptr 0
		.amdhsa_user_sgpr_kernarg_segment_ptr 1
		.amdhsa_user_sgpr_dispatch_id 0
		.amdhsa_user_sgpr_flat_scratch_init 0
		.amdhsa_user_sgpr_private_segment_size 0
		.amdhsa_wavefront_size32 1
		.amdhsa_uses_dynamic_stack 0
		.amdhsa_system_sgpr_private_segment_wavefront_offset 0
		.amdhsa_system_sgpr_workgroup_id_x 1
		.amdhsa_system_sgpr_workgroup_id_y 1
		.amdhsa_system_sgpr_workgroup_id_z 1
		.amdhsa_system_sgpr_workgroup_info 0
		.amdhsa_system_vgpr_workitem_id 1
		.amdhsa_next_free_vgpr 46
		.amdhsa_next_free_sgpr 44
		.amdhsa_reserve_vcc 1
		.amdhsa_reserve_flat_scratch 0
		.amdhsa_float_round_mode_32 0
		.amdhsa_float_round_mode_16_64 0
		.amdhsa_float_denorm_mode_32 3
		.amdhsa_float_denorm_mode_16_64 3
		.amdhsa_dx10_clamp 1
		.amdhsa_ieee_mode 1
		.amdhsa_fp16_overflow 0
		.amdhsa_workgroup_processor_mode 1
		.amdhsa_memory_ordered 1
		.amdhsa_forward_progress 1
		.amdhsa_shared_vgpr_count 0
		.amdhsa_exception_fp_ieee_invalid_op 0
		.amdhsa_exception_fp_denorm_src 0
		.amdhsa_exception_fp_ieee_div_zero 0
		.amdhsa_exception_fp_ieee_overflow 0
		.amdhsa_exception_fp_ieee_underflow 0
		.amdhsa_exception_fp_ieee_inexact 0
		.amdhsa_exception_int_div_zero 0
	.end_amdhsa_kernel
	.section	.text._ZL29rocblas_internal_gemmt_kernelIlLi16ELi32ELi8ELc84ELc78ELc85ELb0ELb0EdPKdS1_PdEviT_T9_T10_S3_lS5_S3_lS4_T11_S3_li,"axG",@progbits,_ZL29rocblas_internal_gemmt_kernelIlLi16ELi32ELi8ELc84ELc78ELc85ELb0ELb0EdPKdS1_PdEviT_T9_T10_S3_lS5_S3_lS4_T11_S3_li,comdat
.Lfunc_end183:
	.size	_ZL29rocblas_internal_gemmt_kernelIlLi16ELi32ELi8ELc84ELc78ELc85ELb0ELb0EdPKdS1_PdEviT_T9_T10_S3_lS5_S3_lS4_T11_S3_li, .Lfunc_end183-_ZL29rocblas_internal_gemmt_kernelIlLi16ELi32ELi8ELc84ELc78ELc85ELb0ELb0EdPKdS1_PdEviT_T9_T10_S3_lS5_S3_lS4_T11_S3_li
                                        ; -- End function
	.set _ZL29rocblas_internal_gemmt_kernelIlLi16ELi32ELi8ELc84ELc78ELc85ELb0ELb0EdPKdS1_PdEviT_T9_T10_S3_lS5_S3_lS4_T11_S3_li.num_vgpr, 46
	.set _ZL29rocblas_internal_gemmt_kernelIlLi16ELi32ELi8ELc84ELc78ELc85ELb0ELb0EdPKdS1_PdEviT_T9_T10_S3_lS5_S3_lS4_T11_S3_li.num_agpr, 0
	.set _ZL29rocblas_internal_gemmt_kernelIlLi16ELi32ELi8ELc84ELc78ELc85ELb0ELb0EdPKdS1_PdEviT_T9_T10_S3_lS5_S3_lS4_T11_S3_li.numbered_sgpr, 44
	.set _ZL29rocblas_internal_gemmt_kernelIlLi16ELi32ELi8ELc84ELc78ELc85ELb0ELb0EdPKdS1_PdEviT_T9_T10_S3_lS5_S3_lS4_T11_S3_li.num_named_barrier, 0
	.set _ZL29rocblas_internal_gemmt_kernelIlLi16ELi32ELi8ELc84ELc78ELc85ELb0ELb0EdPKdS1_PdEviT_T9_T10_S3_lS5_S3_lS4_T11_S3_li.private_seg_size, 0
	.set _ZL29rocblas_internal_gemmt_kernelIlLi16ELi32ELi8ELc84ELc78ELc85ELb0ELb0EdPKdS1_PdEviT_T9_T10_S3_lS5_S3_lS4_T11_S3_li.uses_vcc, 1
	.set _ZL29rocblas_internal_gemmt_kernelIlLi16ELi32ELi8ELc84ELc78ELc85ELb0ELb0EdPKdS1_PdEviT_T9_T10_S3_lS5_S3_lS4_T11_S3_li.uses_flat_scratch, 0
	.set _ZL29rocblas_internal_gemmt_kernelIlLi16ELi32ELi8ELc84ELc78ELc85ELb0ELb0EdPKdS1_PdEviT_T9_T10_S3_lS5_S3_lS4_T11_S3_li.has_dyn_sized_stack, 0
	.set _ZL29rocblas_internal_gemmt_kernelIlLi16ELi32ELi8ELc84ELc78ELc85ELb0ELb0EdPKdS1_PdEviT_T9_T10_S3_lS5_S3_lS4_T11_S3_li.has_recursion, 0
	.set _ZL29rocblas_internal_gemmt_kernelIlLi16ELi32ELi8ELc84ELc78ELc85ELb0ELb0EdPKdS1_PdEviT_T9_T10_S3_lS5_S3_lS4_T11_S3_li.has_indirect_call, 0
	.section	.AMDGPU.csdata,"",@progbits
; Kernel info:
; codeLenInByte = 1692
; TotalNumSgprs: 46
; NumVgprs: 46
; ScratchSize: 0
; MemoryBound: 0
; FloatMode: 240
; IeeeMode: 1
; LDSByteSize: 4096 bytes/workgroup (compile time only)
; SGPRBlocks: 0
; VGPRBlocks: 5
; NumSGPRsForWavesPerEU: 46
; NumVGPRsForWavesPerEU: 46
; Occupancy: 16
; WaveLimiterHint : 0
; COMPUTE_PGM_RSRC2:SCRATCH_EN: 0
; COMPUTE_PGM_RSRC2:USER_SGPR: 6
; COMPUTE_PGM_RSRC2:TRAP_HANDLER: 0
; COMPUTE_PGM_RSRC2:TGID_X_EN: 1
; COMPUTE_PGM_RSRC2:TGID_Y_EN: 1
; COMPUTE_PGM_RSRC2:TGID_Z_EN: 1
; COMPUTE_PGM_RSRC2:TIDIG_COMP_CNT: 1
	.section	.text._ZL29rocblas_internal_gemmt_kernelIlLi16ELi32ELi8ELc84ELc84ELc85ELb0ELb0EdPKdS1_PdEviT_T9_T10_S3_lS5_S3_lS4_T11_S3_li,"axG",@progbits,_ZL29rocblas_internal_gemmt_kernelIlLi16ELi32ELi8ELc84ELc84ELc85ELb0ELb0EdPKdS1_PdEviT_T9_T10_S3_lS5_S3_lS4_T11_S3_li,comdat
	.globl	_ZL29rocblas_internal_gemmt_kernelIlLi16ELi32ELi8ELc84ELc84ELc85ELb0ELb0EdPKdS1_PdEviT_T9_T10_S3_lS5_S3_lS4_T11_S3_li ; -- Begin function _ZL29rocblas_internal_gemmt_kernelIlLi16ELi32ELi8ELc84ELc84ELc85ELb0ELb0EdPKdS1_PdEviT_T9_T10_S3_lS5_S3_lS4_T11_S3_li
	.p2align	8
	.type	_ZL29rocblas_internal_gemmt_kernelIlLi16ELi32ELi8ELc84ELc84ELc85ELb0ELb0EdPKdS1_PdEviT_T9_T10_S3_lS5_S3_lS4_T11_S3_li,@function
_ZL29rocblas_internal_gemmt_kernelIlLi16ELi32ELi8ELc84ELc84ELc85ELb0ELb0EdPKdS1_PdEviT_T9_T10_S3_lS5_S3_lS4_T11_S3_li: ; @_ZL29rocblas_internal_gemmt_kernelIlLi16ELi32ELi8ELc84ELc84ELc85ELb0ELb0EdPKdS1_PdEviT_T9_T10_S3_lS5_S3_lS4_T11_S3_li
; %bb.0:
	s_load_dwordx8 s[36:43], s[4:5], 0x48
	s_waitcnt lgkmcnt(0)
	s_load_dwordx2 s[2:3], s[36:37], 0x0
	s_load_dwordx16 s[12:27], s[4:5], 0x8
	s_waitcnt lgkmcnt(0)
	v_cmp_neq_f64_e64 s0, s[2:3], 1.0
	s_load_dwordx2 s[10:11], s[14:15], 0x0
	s_and_b32 vcc_lo, exec_lo, s0
	s_cbranch_vccnz .LBB184_2
; %bb.1:
	s_waitcnt lgkmcnt(0)
	v_cmp_neq_f64_e64 s0, s[10:11], 0
	s_cmp_lg_u64 s[12:13], 0
	s_cselect_b32 s1, -1, 0
	s_and_b32 s0, s1, s0
.LBB184_2:
	s_andn2_b32 vcc_lo, exec_lo, s0
	s_cbranch_vccnz .LBB184_28
; %bb.3:
	s_waitcnt lgkmcnt(0)
	v_cmp_eq_f64_e64 s0, s[10:11], 0
	s_load_dword s9, s[4:5], 0x0
	v_cmp_lt_i64_e64 s1, s[12:13], 1
	v_mov_b32_e32 v10, 0
	v_mov_b32_e32 v6, 0
	;; [unrolled: 1-line block ×8, first 2 shown]
	s_lshl_b32 s6, s6, 5
	s_lshl_b32 s7, s7, 5
	s_or_b32 s0, s0, s1
	s_and_b32 vcc_lo, exec_lo, s0
	s_cbranch_vccnz .LBB184_12
; %bb.4:
	v_lshl_add_u32 v5, v1, 4, v0
	s_mul_i32 s1, s27, s8
	s_mul_hi_u32 s4, s26, s8
	s_mul_i32 s0, s26, s8
	s_add_i32 s1, s4, s1
	v_and_b32_e32 v6, 31, v5
	s_lshl_b64 s[0:1], s[0:1], 3
	s_mul_i32 s4, s21, s8
	s_add_u32 s5, s22, s0
	s_addc_u32 s14, s23, s1
	v_or_b32_e32 v7, s6, v6
	s_mul_hi_u32 s1, s20, s8
	s_mul_i32 s0, s20, s8
	s_add_i32 s1, s1, s4
	v_lshrrev_b32_e32 v9, 3, v5
	v_mul_lo_u32 v8, s19, v7
	v_mad_u64_u32 v[2:3], null, s18, v7, 0
	s_lshl_b64 s[0:1], s[0:1], 3
	v_add_nc_u32_e32 v4, s7, v9
	s_add_u32 s4, s16, s0
	s_addc_u32 s1, s17, s1
	s_ashr_i32 s0, s6, 31
	v_and_b32_e32 v16, 7, v0
	s_mul_i32 s0, s18, s0
	v_lshrrev_b32_e32 v17, 5, v5
	v_add3_u32 v3, v3, s0, v8
	v_lshlrev_b32_e32 v6, 3, v6
	v_ashrrev_i32_e32 v5, 31, v4
	v_lshlrev_b32_e32 v8, 3, v16
	s_waitcnt lgkmcnt(0)
	v_cmp_gt_i32_e64 s0, s9, v7
	v_lshlrev_b64 v[2:3], 3, v[2:3]
	v_lshl_or_b32 v18, v17, 8, v6
	v_lshlrev_b64 v[5:6], 3, v[4:5]
	v_lshl_or_b32 v7, v9, 6, v8
	v_mov_b32_e32 v10, 0
	v_lshlrev_b32_e32 v24, 3, v0
	v_add_co_u32 v19, vcc_lo, s4, v2
	v_add_co_ci_u32_e64 v20, null, s1, v3, vcc_lo
	v_add_co_u32 v22, vcc_lo, s5, v5
	v_cmp_gt_i32_e64 s1, s9, v4
	v_add_nc_u32_e32 v21, 0x800, v7
	v_add_co_ci_u32_e64 v23, null, s14, v6, vcc_lo
	v_mov_b32_e32 v2, 0
	v_mov_b32_e32 v4, 0
	;; [unrolled: 1-line block ×3, first 2 shown]
	v_lshl_add_u32 v25, v1, 6, 0x800
	v_mov_b32_e32 v3, 0
	v_mov_b32_e32 v5, 0
	;; [unrolled: 1-line block ×5, first 2 shown]
	s_mov_b64 s[4:5], 0
	s_branch .LBB184_6
.LBB184_5:                              ;   in Loop: Header=BB184_6 Depth=1
	s_or_b32 exec_lo, exec_lo, s14
	s_waitcnt vmcnt(0)
	ds_write_b64 v21, v[14:15]
	s_waitcnt lgkmcnt(0)
	s_barrier
	buffer_gl0_inv
	ds_read_b128 v[12:15], v25
	ds_read2_b64 v[26:29], v24 offset1:16
	ds_read_b128 v[30:33], v25 offset:1024
	ds_read_b128 v[34:37], v25 offset:16
	ds_read2_b64 v[38:41], v24 offset0:32 offset1:48
	ds_read_b128 v[42:45], v25 offset:1040
	s_add_u32 s4, s4, 8
	s_addc_u32 s5, s5, 0
	v_cmp_gt_i64_e64 s14, s[12:13], s[4:5]
	s_and_b32 vcc_lo, exec_lo, s14
	s_waitcnt lgkmcnt(4)
	v_fma_f64 v[10:11], v[26:27], v[12:13], v[10:11]
	v_fma_f64 v[6:7], v[28:29], v[12:13], v[6:7]
	s_waitcnt lgkmcnt(3)
	v_fma_f64 v[12:13], v[26:27], v[30:31], v[4:5]
	v_fma_f64 v[26:27], v[28:29], v[30:31], v[2:3]
	ds_read2_b64 v[2:5], v24 offset0:64 offset1:80
	s_waitcnt lgkmcnt(2)
	v_fma_f64 v[28:29], v[38:39], v[14:15], v[10:11]
	v_fma_f64 v[6:7], v[40:41], v[14:15], v[6:7]
	;; [unrolled: 1-line block ×4, first 2 shown]
	ds_read2_b64 v[10:13], v24 offset0:96 offset1:112
	s_waitcnt lgkmcnt(1)
	v_fma_f64 v[30:31], v[2:3], v[34:35], v[28:29]
	v_fma_f64 v[6:7], v[4:5], v[34:35], v[6:7]
	;; [unrolled: 1-line block ×4, first 2 shown]
	ds_read_b128 v[2:5], v25 offset:32
	ds_read2_b64 v[26:29], v24 offset0:128 offset1:144
	s_waitcnt lgkmcnt(2)
	v_fma_f64 v[42:43], v[10:11], v[36:37], v[30:31]
	v_fma_f64 v[6:7], v[12:13], v[36:37], v[6:7]
	;; [unrolled: 1-line block ×4, first 2 shown]
	ds_read_b128 v[10:13], v25 offset:1056
	ds_read_b128 v[30:33], v25 offset:48
	ds_read2_b64 v[34:37], v24 offset0:160 offset1:176
	ds_read_b128 v[38:41], v25 offset:1072
	s_waitcnt lgkmcnt(4)
	v_fma_f64 v[42:43], v[26:27], v[2:3], v[42:43]
	v_fma_f64 v[2:3], v[28:29], v[2:3], v[6:7]
	s_waitcnt lgkmcnt(3)
	v_fma_f64 v[6:7], v[26:27], v[10:11], v[14:15]
	v_fma_f64 v[10:11], v[28:29], v[10:11], v[44:45]
	ds_read2_b64 v[26:29], v24 offset0:192 offset1:208
	s_waitcnt lgkmcnt(2)
	v_fma_f64 v[42:43], v[34:35], v[4:5], v[42:43]
	v_fma_f64 v[2:3], v[36:37], v[4:5], v[2:3]
	;; [unrolled: 1-line block ×4, first 2 shown]
	ds_read2_b64 v[12:15], v24 offset0:224 offset1:240
	s_waitcnt lgkmcnt(0)
	s_barrier
	buffer_gl0_inv
	v_fma_f64 v[10:11], v[26:27], v[30:31], v[42:43]
	v_fma_f64 v[2:3], v[28:29], v[30:31], v[2:3]
	;; [unrolled: 1-line block ×8, first 2 shown]
	s_cbranch_vccz .LBB184_12
.LBB184_6:                              ; =>This Inner Loop Header: Depth=1
	v_mov_b32_e32 v12, 0
	v_mov_b32_e32 v13, 0
	s_and_saveexec_b32 s14, s0
	s_cbranch_execz .LBB184_10
; %bb.7:                                ;   in Loop: Header=BB184_6 Depth=1
	v_mov_b32_e32 v12, 0
	v_add_nc_u32_e32 v8, s4, v17
	v_mov_b32_e32 v13, 0
	s_mov_b32 s15, exec_lo
	v_cmpx_gt_u64_e64 s[12:13], v[8:9]
	s_cbranch_execz .LBB184_9
; %bb.8:                                ;   in Loop: Header=BB184_6 Depth=1
	v_lshlrev_b64 v[12:13], 3, v[8:9]
	v_add_co_u32 v12, vcc_lo, v19, v12
	v_add_co_ci_u32_e64 v13, null, v20, v13, vcc_lo
	global_load_dwordx2 v[12:13], v[12:13], off
.LBB184_9:                              ;   in Loop: Header=BB184_6 Depth=1
	s_or_b32 exec_lo, exec_lo, s15
.LBB184_10:                             ;   in Loop: Header=BB184_6 Depth=1
	s_or_b32 exec_lo, exec_lo, s14
	v_add_nc_u32_e32 v8, s4, v16
	v_mov_b32_e32 v14, 0
	v_mov_b32_e32 v15, 0
	s_waitcnt vmcnt(0)
	ds_write_b64 v18, v[12:13]
	v_cmp_gt_u64_e32 vcc_lo, s[12:13], v[8:9]
	s_and_b32 s15, vcc_lo, s1
	s_and_saveexec_b32 s14, s15
	s_cbranch_execz .LBB184_5
; %bb.11:                               ;   in Loop: Header=BB184_6 Depth=1
	v_mad_u64_u32 v[12:13], null, s24, v8, 0
	v_mad_u64_u32 v[13:14], null, s25, v8, v[13:14]
	v_lshlrev_b64 v[12:13], 3, v[12:13]
	v_add_co_u32 v12, vcc_lo, v22, v12
	v_add_co_ci_u32_e64 v13, null, v23, v13, vcc_lo
	global_load_dwordx2 v[14:15], v[12:13], off
	s_branch .LBB184_5
.LBB184_12:
	v_add_nc_u32_e32 v13, s7, v1
	v_add_nc_u32_e32 v0, s6, v0
	v_cmp_neq_f64_e64 s6, s[2:3], 0
	s_mul_i32 s1, s43, s8
	s_mul_hi_u32 s4, s42, s8
	v_ashrrev_i32_e32 v1, 31, v13
	v_mul_lo_u32 v12, s41, v13
	v_mad_u64_u32 v[8:9], null, s40, v13, 0
	s_mul_i32 s0, s42, s8
	v_mul_lo_u32 v1, s40, v1
	s_add_i32 s1, s4, s1
	v_cmp_le_i32_e32 vcc_lo, v0, v13
	s_lshl_b64 s[4:5], s[0:1], 3
	s_waitcnt lgkmcnt(0)
	v_cmp_gt_i32_e64 s0, s9, v13
	s_add_u32 s4, s38, s4
	s_addc_u32 s5, s39, s5
	v_add3_u32 v9, v9, v1, v12
	v_ashrrev_i32_e32 v1, 31, v0
	s_and_b32 s7, s0, vcc_lo
	v_lshlrev_b64 v[8:9], 3, v[8:9]
	v_cndmask_b32_e64 v12, 0, 1, s6
	v_add_co_u32 v14, s1, s4, v8
	v_add_co_ci_u32_e64 v15, null, s5, v9, s1
	s_and_saveexec_b32 s1, s7
	s_cbranch_execz .LBB184_16
; %bb.13:
	v_mul_f64 v[8:9], s[10:11], v[10:11]
	v_lshlrev_b64 v[10:11], 3, v[0:1]
	v_add_co_u32 v10, vcc_lo, v14, v10
	v_add_co_ci_u32_e64 v11, null, v15, v11, vcc_lo
	s_andn2_b32 vcc_lo, exec_lo, s6
	s_cbranch_vccnz .LBB184_15
; %bb.14:
	global_load_dwordx2 v[16:17], v[10:11], off
	s_waitcnt vmcnt(0)
	v_fma_f64 v[8:9], s[2:3], v[16:17], v[8:9]
.LBB184_15:
	global_store_dwordx2 v[10:11], v[8:9], off
.LBB184_16:
	s_or_b32 exec_lo, exec_lo, s1
	v_add_nc_u32_e32 v8, 16, v0
	v_cmp_le_i32_e32 vcc_lo, v8, v13
	v_ashrrev_i32_e32 v9, 31, v8
	s_and_b32 s0, s0, vcc_lo
	s_and_saveexec_b32 s1, s0
	s_cbranch_execz .LBB184_20
; %bb.17:
	v_mul_f64 v[6:7], s[10:11], v[6:7]
	v_lshlrev_b64 v[10:11], 3, v[8:9]
	v_cmp_ne_u32_e32 vcc_lo, 1, v12
	v_add_co_u32 v10, s0, v14, v10
	v_add_co_ci_u32_e64 v11, null, v15, v11, s0
	s_cbranch_vccnz .LBB184_19
; %bb.18:
	global_load_dwordx2 v[14:15], v[10:11], off
	s_waitcnt vmcnt(0)
	v_fma_f64 v[6:7], s[2:3], v[14:15], v[6:7]
.LBB184_19:
	global_store_dwordx2 v[10:11], v[6:7], off
.LBB184_20:
	s_or_b32 exec_lo, exec_lo, s1
	v_add_nc_u32_e32 v10, 16, v13
	v_ashrrev_i32_e32 v11, 31, v10
	v_mul_lo_u32 v13, s41, v10
	v_mad_u64_u32 v[6:7], null, s40, v10, 0
	v_cmp_gt_i32_e64 s0, s9, v10
	v_mul_lo_u32 v11, s40, v11
	v_cmp_le_i32_e32 vcc_lo, v0, v10
	v_add3_u32 v7, v7, v11, v13
	v_lshlrev_b64 v[6:7], 3, v[6:7]
	v_add_co_u32 v6, s1, s4, v6
	v_add_co_ci_u32_e64 v7, null, s5, v7, s1
	s_and_b32 s1, s0, vcc_lo
	s_and_saveexec_b32 s4, s1
	s_cbranch_execz .LBB184_24
; %bb.21:
	v_mul_f64 v[4:5], s[10:11], v[4:5]
	v_lshlrev_b64 v[0:1], 3, v[0:1]
	v_cmp_ne_u32_e32 vcc_lo, 1, v12
	v_add_co_u32 v0, s1, v6, v0
	v_add_co_ci_u32_e64 v1, null, v7, v1, s1
	s_cbranch_vccnz .LBB184_23
; %bb.22:
	global_load_dwordx2 v[13:14], v[0:1], off
	s_waitcnt vmcnt(0)
	v_fma_f64 v[4:5], s[2:3], v[13:14], v[4:5]
.LBB184_23:
	global_store_dwordx2 v[0:1], v[4:5], off
.LBB184_24:
	s_or_b32 exec_lo, exec_lo, s4
	v_cmp_le_i32_e32 vcc_lo, v8, v10
	s_and_b32 s0, s0, vcc_lo
	s_and_saveexec_b32 s1, s0
	s_cbranch_execz .LBB184_28
; %bb.25:
	v_mul_f64 v[0:1], s[10:11], v[2:3]
	v_lshlrev_b64 v[2:3], 3, v[8:9]
	v_cmp_ne_u32_e32 vcc_lo, 1, v12
	v_add_co_u32 v2, s0, v6, v2
	v_add_co_ci_u32_e64 v3, null, v7, v3, s0
	s_cbranch_vccnz .LBB184_27
; %bb.26:
	global_load_dwordx2 v[4:5], v[2:3], off
	s_waitcnt vmcnt(0)
	v_fma_f64 v[0:1], s[2:3], v[4:5], v[0:1]
.LBB184_27:
	global_store_dwordx2 v[2:3], v[0:1], off
.LBB184_28:
	s_endpgm
	.section	.rodata,"a",@progbits
	.p2align	6, 0x0
	.amdhsa_kernel _ZL29rocblas_internal_gemmt_kernelIlLi16ELi32ELi8ELc84ELc84ELc85ELb0ELb0EdPKdS1_PdEviT_T9_T10_S3_lS5_S3_lS4_T11_S3_li
		.amdhsa_group_segment_fixed_size 4096
		.amdhsa_private_segment_fixed_size 0
		.amdhsa_kernarg_size 108
		.amdhsa_user_sgpr_count 6
		.amdhsa_user_sgpr_private_segment_buffer 1
		.amdhsa_user_sgpr_dispatch_ptr 0
		.amdhsa_user_sgpr_queue_ptr 0
		.amdhsa_user_sgpr_kernarg_segment_ptr 1
		.amdhsa_user_sgpr_dispatch_id 0
		.amdhsa_user_sgpr_flat_scratch_init 0
		.amdhsa_user_sgpr_private_segment_size 0
		.amdhsa_wavefront_size32 1
		.amdhsa_uses_dynamic_stack 0
		.amdhsa_system_sgpr_private_segment_wavefront_offset 0
		.amdhsa_system_sgpr_workgroup_id_x 1
		.amdhsa_system_sgpr_workgroup_id_y 1
		.amdhsa_system_sgpr_workgroup_id_z 1
		.amdhsa_system_sgpr_workgroup_info 0
		.amdhsa_system_vgpr_workitem_id 1
		.amdhsa_next_free_vgpr 46
		.amdhsa_next_free_sgpr 44
		.amdhsa_reserve_vcc 1
		.amdhsa_reserve_flat_scratch 0
		.amdhsa_float_round_mode_32 0
		.amdhsa_float_round_mode_16_64 0
		.amdhsa_float_denorm_mode_32 3
		.amdhsa_float_denorm_mode_16_64 3
		.amdhsa_dx10_clamp 1
		.amdhsa_ieee_mode 1
		.amdhsa_fp16_overflow 0
		.amdhsa_workgroup_processor_mode 1
		.amdhsa_memory_ordered 1
		.amdhsa_forward_progress 1
		.amdhsa_shared_vgpr_count 0
		.amdhsa_exception_fp_ieee_invalid_op 0
		.amdhsa_exception_fp_denorm_src 0
		.amdhsa_exception_fp_ieee_div_zero 0
		.amdhsa_exception_fp_ieee_overflow 0
		.amdhsa_exception_fp_ieee_underflow 0
		.amdhsa_exception_fp_ieee_inexact 0
		.amdhsa_exception_int_div_zero 0
	.end_amdhsa_kernel
	.section	.text._ZL29rocblas_internal_gemmt_kernelIlLi16ELi32ELi8ELc84ELc84ELc85ELb0ELb0EdPKdS1_PdEviT_T9_T10_S3_lS5_S3_lS4_T11_S3_li,"axG",@progbits,_ZL29rocblas_internal_gemmt_kernelIlLi16ELi32ELi8ELc84ELc84ELc85ELb0ELb0EdPKdS1_PdEviT_T9_T10_S3_lS5_S3_lS4_T11_S3_li,comdat
.Lfunc_end184:
	.size	_ZL29rocblas_internal_gemmt_kernelIlLi16ELi32ELi8ELc84ELc84ELc85ELb0ELb0EdPKdS1_PdEviT_T9_T10_S3_lS5_S3_lS4_T11_S3_li, .Lfunc_end184-_ZL29rocblas_internal_gemmt_kernelIlLi16ELi32ELi8ELc84ELc84ELc85ELb0ELb0EdPKdS1_PdEviT_T9_T10_S3_lS5_S3_lS4_T11_S3_li
                                        ; -- End function
	.set _ZL29rocblas_internal_gemmt_kernelIlLi16ELi32ELi8ELc84ELc84ELc85ELb0ELb0EdPKdS1_PdEviT_T9_T10_S3_lS5_S3_lS4_T11_S3_li.num_vgpr, 46
	.set _ZL29rocblas_internal_gemmt_kernelIlLi16ELi32ELi8ELc84ELc84ELc85ELb0ELb0EdPKdS1_PdEviT_T9_T10_S3_lS5_S3_lS4_T11_S3_li.num_agpr, 0
	.set _ZL29rocblas_internal_gemmt_kernelIlLi16ELi32ELi8ELc84ELc84ELc85ELb0ELb0EdPKdS1_PdEviT_T9_T10_S3_lS5_S3_lS4_T11_S3_li.numbered_sgpr, 44
	.set _ZL29rocblas_internal_gemmt_kernelIlLi16ELi32ELi8ELc84ELc84ELc85ELb0ELb0EdPKdS1_PdEviT_T9_T10_S3_lS5_S3_lS4_T11_S3_li.num_named_barrier, 0
	.set _ZL29rocblas_internal_gemmt_kernelIlLi16ELi32ELi8ELc84ELc84ELc85ELb0ELb0EdPKdS1_PdEviT_T9_T10_S3_lS5_S3_lS4_T11_S3_li.private_seg_size, 0
	.set _ZL29rocblas_internal_gemmt_kernelIlLi16ELi32ELi8ELc84ELc84ELc85ELb0ELb0EdPKdS1_PdEviT_T9_T10_S3_lS5_S3_lS4_T11_S3_li.uses_vcc, 1
	.set _ZL29rocblas_internal_gemmt_kernelIlLi16ELi32ELi8ELc84ELc84ELc85ELb0ELb0EdPKdS1_PdEviT_T9_T10_S3_lS5_S3_lS4_T11_S3_li.uses_flat_scratch, 0
	.set _ZL29rocblas_internal_gemmt_kernelIlLi16ELi32ELi8ELc84ELc84ELc85ELb0ELb0EdPKdS1_PdEviT_T9_T10_S3_lS5_S3_lS4_T11_S3_li.has_dyn_sized_stack, 0
	.set _ZL29rocblas_internal_gemmt_kernelIlLi16ELi32ELi8ELc84ELc84ELc85ELb0ELb0EdPKdS1_PdEviT_T9_T10_S3_lS5_S3_lS4_T11_S3_li.has_recursion, 0
	.set _ZL29rocblas_internal_gemmt_kernelIlLi16ELi32ELi8ELc84ELc84ELc85ELb0ELb0EdPKdS1_PdEviT_T9_T10_S3_lS5_S3_lS4_T11_S3_li.has_indirect_call, 0
	.section	.AMDGPU.csdata,"",@progbits
; Kernel info:
; codeLenInByte = 1676
; TotalNumSgprs: 46
; NumVgprs: 46
; ScratchSize: 0
; MemoryBound: 0
; FloatMode: 240
; IeeeMode: 1
; LDSByteSize: 4096 bytes/workgroup (compile time only)
; SGPRBlocks: 0
; VGPRBlocks: 5
; NumSGPRsForWavesPerEU: 46
; NumVGPRsForWavesPerEU: 46
; Occupancy: 16
; WaveLimiterHint : 0
; COMPUTE_PGM_RSRC2:SCRATCH_EN: 0
; COMPUTE_PGM_RSRC2:USER_SGPR: 6
; COMPUTE_PGM_RSRC2:TRAP_HANDLER: 0
; COMPUTE_PGM_RSRC2:TGID_X_EN: 1
; COMPUTE_PGM_RSRC2:TGID_Y_EN: 1
; COMPUTE_PGM_RSRC2:TGID_Z_EN: 1
; COMPUTE_PGM_RSRC2:TIDIG_COMP_CNT: 1
	.section	.text._ZL29rocblas_internal_gemmt_kernelIlLi16ELi32ELi8ELc84ELc67ELc85ELb0ELb0EdPKdS1_PdEviT_T9_T10_S3_lS5_S3_lS4_T11_S3_li,"axG",@progbits,_ZL29rocblas_internal_gemmt_kernelIlLi16ELi32ELi8ELc84ELc67ELc85ELb0ELb0EdPKdS1_PdEviT_T9_T10_S3_lS5_S3_lS4_T11_S3_li,comdat
	.globl	_ZL29rocblas_internal_gemmt_kernelIlLi16ELi32ELi8ELc84ELc67ELc85ELb0ELb0EdPKdS1_PdEviT_T9_T10_S3_lS5_S3_lS4_T11_S3_li ; -- Begin function _ZL29rocblas_internal_gemmt_kernelIlLi16ELi32ELi8ELc84ELc67ELc85ELb0ELb0EdPKdS1_PdEviT_T9_T10_S3_lS5_S3_lS4_T11_S3_li
	.p2align	8
	.type	_ZL29rocblas_internal_gemmt_kernelIlLi16ELi32ELi8ELc84ELc67ELc85ELb0ELb0EdPKdS1_PdEviT_T9_T10_S3_lS5_S3_lS4_T11_S3_li,@function
_ZL29rocblas_internal_gemmt_kernelIlLi16ELi32ELi8ELc84ELc67ELc85ELb0ELb0EdPKdS1_PdEviT_T9_T10_S3_lS5_S3_lS4_T11_S3_li: ; @_ZL29rocblas_internal_gemmt_kernelIlLi16ELi32ELi8ELc84ELc67ELc85ELb0ELb0EdPKdS1_PdEviT_T9_T10_S3_lS5_S3_lS4_T11_S3_li
; %bb.0:
	s_load_dwordx8 s[36:43], s[4:5], 0x48
	s_waitcnt lgkmcnt(0)
	s_load_dwordx2 s[2:3], s[36:37], 0x0
	s_load_dwordx16 s[12:27], s[4:5], 0x8
	s_waitcnt lgkmcnt(0)
	v_cmp_neq_f64_e64 s0, s[2:3], 1.0
	s_load_dwordx2 s[10:11], s[14:15], 0x0
	s_and_b32 vcc_lo, exec_lo, s0
	s_cbranch_vccnz .LBB185_2
; %bb.1:
	s_waitcnt lgkmcnt(0)
	v_cmp_neq_f64_e64 s0, s[10:11], 0
	s_cmp_lg_u64 s[12:13], 0
	s_cselect_b32 s1, -1, 0
	s_and_b32 s0, s1, s0
.LBB185_2:
	s_andn2_b32 vcc_lo, exec_lo, s0
	s_cbranch_vccnz .LBB185_28
; %bb.3:
	s_waitcnt lgkmcnt(0)
	v_cmp_eq_f64_e64 s0, s[10:11], 0
	s_load_dword s9, s[4:5], 0x0
	v_cmp_lt_i64_e64 s1, s[12:13], 1
	v_mov_b32_e32 v10, 0
	v_mov_b32_e32 v6, 0
	;; [unrolled: 1-line block ×8, first 2 shown]
	s_lshl_b32 s6, s6, 5
	s_lshl_b32 s7, s7, 5
	s_or_b32 s0, s0, s1
	s_and_b32 vcc_lo, exec_lo, s0
	s_cbranch_vccnz .LBB185_12
; %bb.4:
	v_lshl_add_u32 v5, v1, 4, v0
	s_mul_i32 s1, s27, s8
	s_mul_hi_u32 s4, s26, s8
	s_mul_i32 s0, s26, s8
	s_add_i32 s1, s4, s1
	v_and_b32_e32 v6, 31, v5
	s_lshl_b64 s[0:1], s[0:1], 3
	s_mul_i32 s4, s21, s8
	s_add_u32 s5, s22, s0
	s_addc_u32 s14, s23, s1
	v_or_b32_e32 v7, s6, v6
	s_mul_hi_u32 s1, s20, s8
	s_mul_i32 s0, s20, s8
	s_add_i32 s1, s1, s4
	v_lshrrev_b32_e32 v9, 3, v5
	v_mul_lo_u32 v8, s19, v7
	v_mad_u64_u32 v[2:3], null, s18, v7, 0
	s_lshl_b64 s[0:1], s[0:1], 3
	v_add_nc_u32_e32 v4, s7, v9
	s_add_u32 s4, s16, s0
	s_addc_u32 s1, s17, s1
	s_ashr_i32 s0, s6, 31
	v_and_b32_e32 v16, 7, v0
	s_mul_i32 s0, s18, s0
	v_lshrrev_b32_e32 v17, 5, v5
	v_add3_u32 v3, v3, s0, v8
	v_lshlrev_b32_e32 v6, 3, v6
	v_ashrrev_i32_e32 v5, 31, v4
	v_lshlrev_b32_e32 v8, 3, v16
	s_waitcnt lgkmcnt(0)
	v_cmp_gt_i32_e64 s0, s9, v7
	v_lshlrev_b64 v[2:3], 3, v[2:3]
	v_lshl_or_b32 v18, v17, 8, v6
	v_lshlrev_b64 v[5:6], 3, v[4:5]
	v_lshl_or_b32 v7, v9, 6, v8
	v_mov_b32_e32 v10, 0
	v_lshlrev_b32_e32 v24, 3, v0
	v_add_co_u32 v19, vcc_lo, s4, v2
	v_add_co_ci_u32_e64 v20, null, s1, v3, vcc_lo
	v_add_co_u32 v22, vcc_lo, s5, v5
	v_cmp_gt_i32_e64 s1, s9, v4
	v_add_nc_u32_e32 v21, 0x800, v7
	v_add_co_ci_u32_e64 v23, null, s14, v6, vcc_lo
	v_mov_b32_e32 v2, 0
	v_mov_b32_e32 v4, 0
	;; [unrolled: 1-line block ×3, first 2 shown]
	v_lshl_add_u32 v25, v1, 6, 0x800
	v_mov_b32_e32 v3, 0
	v_mov_b32_e32 v5, 0
	;; [unrolled: 1-line block ×5, first 2 shown]
	s_mov_b64 s[4:5], 0
	s_branch .LBB185_6
.LBB185_5:                              ;   in Loop: Header=BB185_6 Depth=1
	s_or_b32 exec_lo, exec_lo, s14
	s_waitcnt vmcnt(0)
	ds_write_b64 v21, v[14:15]
	s_waitcnt lgkmcnt(0)
	s_barrier
	buffer_gl0_inv
	ds_read_b128 v[12:15], v25
	ds_read2_b64 v[26:29], v24 offset1:16
	ds_read_b128 v[30:33], v25 offset:1024
	ds_read_b128 v[34:37], v25 offset:16
	ds_read2_b64 v[38:41], v24 offset0:32 offset1:48
	ds_read_b128 v[42:45], v25 offset:1040
	s_add_u32 s4, s4, 8
	s_addc_u32 s5, s5, 0
	v_cmp_gt_i64_e64 s14, s[12:13], s[4:5]
	s_and_b32 vcc_lo, exec_lo, s14
	s_waitcnt lgkmcnt(4)
	v_fma_f64 v[10:11], v[26:27], v[12:13], v[10:11]
	v_fma_f64 v[6:7], v[28:29], v[12:13], v[6:7]
	s_waitcnt lgkmcnt(3)
	v_fma_f64 v[12:13], v[26:27], v[30:31], v[4:5]
	v_fma_f64 v[26:27], v[28:29], v[30:31], v[2:3]
	ds_read2_b64 v[2:5], v24 offset0:64 offset1:80
	s_waitcnt lgkmcnt(2)
	v_fma_f64 v[28:29], v[38:39], v[14:15], v[10:11]
	v_fma_f64 v[6:7], v[40:41], v[14:15], v[6:7]
	;; [unrolled: 1-line block ×4, first 2 shown]
	ds_read2_b64 v[10:13], v24 offset0:96 offset1:112
	s_waitcnt lgkmcnt(1)
	v_fma_f64 v[30:31], v[2:3], v[34:35], v[28:29]
	v_fma_f64 v[6:7], v[4:5], v[34:35], v[6:7]
	;; [unrolled: 1-line block ×4, first 2 shown]
	ds_read_b128 v[2:5], v25 offset:32
	ds_read2_b64 v[26:29], v24 offset0:128 offset1:144
	s_waitcnt lgkmcnt(2)
	v_fma_f64 v[42:43], v[10:11], v[36:37], v[30:31]
	v_fma_f64 v[6:7], v[12:13], v[36:37], v[6:7]
	;; [unrolled: 1-line block ×4, first 2 shown]
	ds_read_b128 v[10:13], v25 offset:1056
	ds_read_b128 v[30:33], v25 offset:48
	ds_read2_b64 v[34:37], v24 offset0:160 offset1:176
	ds_read_b128 v[38:41], v25 offset:1072
	s_waitcnt lgkmcnt(4)
	v_fma_f64 v[42:43], v[26:27], v[2:3], v[42:43]
	v_fma_f64 v[2:3], v[28:29], v[2:3], v[6:7]
	s_waitcnt lgkmcnt(3)
	v_fma_f64 v[6:7], v[26:27], v[10:11], v[14:15]
	v_fma_f64 v[10:11], v[28:29], v[10:11], v[44:45]
	ds_read2_b64 v[26:29], v24 offset0:192 offset1:208
	s_waitcnt lgkmcnt(2)
	v_fma_f64 v[42:43], v[34:35], v[4:5], v[42:43]
	v_fma_f64 v[2:3], v[36:37], v[4:5], v[2:3]
	;; [unrolled: 1-line block ×4, first 2 shown]
	ds_read2_b64 v[12:15], v24 offset0:224 offset1:240
	s_waitcnt lgkmcnt(0)
	s_barrier
	buffer_gl0_inv
	v_fma_f64 v[10:11], v[26:27], v[30:31], v[42:43]
	v_fma_f64 v[2:3], v[28:29], v[30:31], v[2:3]
	;; [unrolled: 1-line block ×8, first 2 shown]
	s_cbranch_vccz .LBB185_12
.LBB185_6:                              ; =>This Inner Loop Header: Depth=1
	v_mov_b32_e32 v12, 0
	v_mov_b32_e32 v13, 0
	s_and_saveexec_b32 s14, s0
	s_cbranch_execz .LBB185_10
; %bb.7:                                ;   in Loop: Header=BB185_6 Depth=1
	v_mov_b32_e32 v12, 0
	v_add_nc_u32_e32 v8, s4, v17
	v_mov_b32_e32 v13, 0
	s_mov_b32 s15, exec_lo
	v_cmpx_gt_u64_e64 s[12:13], v[8:9]
	s_cbranch_execz .LBB185_9
; %bb.8:                                ;   in Loop: Header=BB185_6 Depth=1
	v_lshlrev_b64 v[12:13], 3, v[8:9]
	v_add_co_u32 v12, vcc_lo, v19, v12
	v_add_co_ci_u32_e64 v13, null, v20, v13, vcc_lo
	global_load_dwordx2 v[12:13], v[12:13], off
.LBB185_9:                              ;   in Loop: Header=BB185_6 Depth=1
	s_or_b32 exec_lo, exec_lo, s15
.LBB185_10:                             ;   in Loop: Header=BB185_6 Depth=1
	s_or_b32 exec_lo, exec_lo, s14
	v_add_nc_u32_e32 v8, s4, v16
	v_mov_b32_e32 v14, 0
	v_mov_b32_e32 v15, 0
	s_waitcnt vmcnt(0)
	ds_write_b64 v18, v[12:13]
	v_cmp_gt_u64_e32 vcc_lo, s[12:13], v[8:9]
	s_and_b32 s15, vcc_lo, s1
	s_and_saveexec_b32 s14, s15
	s_cbranch_execz .LBB185_5
; %bb.11:                               ;   in Loop: Header=BB185_6 Depth=1
	v_mad_u64_u32 v[12:13], null, s24, v8, 0
	v_mad_u64_u32 v[13:14], null, s25, v8, v[13:14]
	v_lshlrev_b64 v[12:13], 3, v[12:13]
	v_add_co_u32 v12, vcc_lo, v22, v12
	v_add_co_ci_u32_e64 v13, null, v23, v13, vcc_lo
	global_load_dwordx2 v[14:15], v[12:13], off
	s_branch .LBB185_5
.LBB185_12:
	v_add_nc_u32_e32 v13, s7, v1
	v_add_nc_u32_e32 v0, s6, v0
	v_cmp_neq_f64_e64 s6, s[2:3], 0
	s_mul_i32 s1, s43, s8
	s_mul_hi_u32 s4, s42, s8
	v_ashrrev_i32_e32 v1, 31, v13
	v_mul_lo_u32 v12, s41, v13
	v_mad_u64_u32 v[8:9], null, s40, v13, 0
	s_mul_i32 s0, s42, s8
	v_mul_lo_u32 v1, s40, v1
	s_add_i32 s1, s4, s1
	v_cmp_le_i32_e32 vcc_lo, v0, v13
	s_lshl_b64 s[4:5], s[0:1], 3
	s_waitcnt lgkmcnt(0)
	v_cmp_gt_i32_e64 s0, s9, v13
	s_add_u32 s4, s38, s4
	s_addc_u32 s5, s39, s5
	v_add3_u32 v9, v9, v1, v12
	v_ashrrev_i32_e32 v1, 31, v0
	s_and_b32 s7, s0, vcc_lo
	v_lshlrev_b64 v[8:9], 3, v[8:9]
	v_cndmask_b32_e64 v12, 0, 1, s6
	v_add_co_u32 v14, s1, s4, v8
	v_add_co_ci_u32_e64 v15, null, s5, v9, s1
	s_and_saveexec_b32 s1, s7
	s_cbranch_execz .LBB185_16
; %bb.13:
	v_mul_f64 v[8:9], s[10:11], v[10:11]
	v_lshlrev_b64 v[10:11], 3, v[0:1]
	v_add_co_u32 v10, vcc_lo, v14, v10
	v_add_co_ci_u32_e64 v11, null, v15, v11, vcc_lo
	s_andn2_b32 vcc_lo, exec_lo, s6
	s_cbranch_vccnz .LBB185_15
; %bb.14:
	global_load_dwordx2 v[16:17], v[10:11], off
	s_waitcnt vmcnt(0)
	v_fma_f64 v[8:9], s[2:3], v[16:17], v[8:9]
.LBB185_15:
	global_store_dwordx2 v[10:11], v[8:9], off
.LBB185_16:
	s_or_b32 exec_lo, exec_lo, s1
	v_add_nc_u32_e32 v8, 16, v0
	v_cmp_le_i32_e32 vcc_lo, v8, v13
	v_ashrrev_i32_e32 v9, 31, v8
	s_and_b32 s0, s0, vcc_lo
	s_and_saveexec_b32 s1, s0
	s_cbranch_execz .LBB185_20
; %bb.17:
	v_mul_f64 v[6:7], s[10:11], v[6:7]
	v_lshlrev_b64 v[10:11], 3, v[8:9]
	v_cmp_ne_u32_e32 vcc_lo, 1, v12
	v_add_co_u32 v10, s0, v14, v10
	v_add_co_ci_u32_e64 v11, null, v15, v11, s0
	s_cbranch_vccnz .LBB185_19
; %bb.18:
	global_load_dwordx2 v[14:15], v[10:11], off
	s_waitcnt vmcnt(0)
	v_fma_f64 v[6:7], s[2:3], v[14:15], v[6:7]
.LBB185_19:
	global_store_dwordx2 v[10:11], v[6:7], off
.LBB185_20:
	s_or_b32 exec_lo, exec_lo, s1
	v_add_nc_u32_e32 v10, 16, v13
	v_ashrrev_i32_e32 v11, 31, v10
	v_mul_lo_u32 v13, s41, v10
	v_mad_u64_u32 v[6:7], null, s40, v10, 0
	v_cmp_gt_i32_e64 s0, s9, v10
	v_mul_lo_u32 v11, s40, v11
	v_cmp_le_i32_e32 vcc_lo, v0, v10
	v_add3_u32 v7, v7, v11, v13
	v_lshlrev_b64 v[6:7], 3, v[6:7]
	v_add_co_u32 v6, s1, s4, v6
	v_add_co_ci_u32_e64 v7, null, s5, v7, s1
	s_and_b32 s1, s0, vcc_lo
	s_and_saveexec_b32 s4, s1
	s_cbranch_execz .LBB185_24
; %bb.21:
	v_mul_f64 v[4:5], s[10:11], v[4:5]
	v_lshlrev_b64 v[0:1], 3, v[0:1]
	v_cmp_ne_u32_e32 vcc_lo, 1, v12
	v_add_co_u32 v0, s1, v6, v0
	v_add_co_ci_u32_e64 v1, null, v7, v1, s1
	s_cbranch_vccnz .LBB185_23
; %bb.22:
	global_load_dwordx2 v[13:14], v[0:1], off
	s_waitcnt vmcnt(0)
	v_fma_f64 v[4:5], s[2:3], v[13:14], v[4:5]
.LBB185_23:
	global_store_dwordx2 v[0:1], v[4:5], off
.LBB185_24:
	s_or_b32 exec_lo, exec_lo, s4
	v_cmp_le_i32_e32 vcc_lo, v8, v10
	s_and_b32 s0, s0, vcc_lo
	s_and_saveexec_b32 s1, s0
	s_cbranch_execz .LBB185_28
; %bb.25:
	v_mul_f64 v[0:1], s[10:11], v[2:3]
	v_lshlrev_b64 v[2:3], 3, v[8:9]
	v_cmp_ne_u32_e32 vcc_lo, 1, v12
	v_add_co_u32 v2, s0, v6, v2
	v_add_co_ci_u32_e64 v3, null, v7, v3, s0
	s_cbranch_vccnz .LBB185_27
; %bb.26:
	global_load_dwordx2 v[4:5], v[2:3], off
	s_waitcnt vmcnt(0)
	v_fma_f64 v[0:1], s[2:3], v[4:5], v[0:1]
.LBB185_27:
	global_store_dwordx2 v[2:3], v[0:1], off
.LBB185_28:
	s_endpgm
	.section	.rodata,"a",@progbits
	.p2align	6, 0x0
	.amdhsa_kernel _ZL29rocblas_internal_gemmt_kernelIlLi16ELi32ELi8ELc84ELc67ELc85ELb0ELb0EdPKdS1_PdEviT_T9_T10_S3_lS5_S3_lS4_T11_S3_li
		.amdhsa_group_segment_fixed_size 4096
		.amdhsa_private_segment_fixed_size 0
		.amdhsa_kernarg_size 108
		.amdhsa_user_sgpr_count 6
		.amdhsa_user_sgpr_private_segment_buffer 1
		.amdhsa_user_sgpr_dispatch_ptr 0
		.amdhsa_user_sgpr_queue_ptr 0
		.amdhsa_user_sgpr_kernarg_segment_ptr 1
		.amdhsa_user_sgpr_dispatch_id 0
		.amdhsa_user_sgpr_flat_scratch_init 0
		.amdhsa_user_sgpr_private_segment_size 0
		.amdhsa_wavefront_size32 1
		.amdhsa_uses_dynamic_stack 0
		.amdhsa_system_sgpr_private_segment_wavefront_offset 0
		.amdhsa_system_sgpr_workgroup_id_x 1
		.amdhsa_system_sgpr_workgroup_id_y 1
		.amdhsa_system_sgpr_workgroup_id_z 1
		.amdhsa_system_sgpr_workgroup_info 0
		.amdhsa_system_vgpr_workitem_id 1
		.amdhsa_next_free_vgpr 46
		.amdhsa_next_free_sgpr 44
		.amdhsa_reserve_vcc 1
		.amdhsa_reserve_flat_scratch 0
		.amdhsa_float_round_mode_32 0
		.amdhsa_float_round_mode_16_64 0
		.amdhsa_float_denorm_mode_32 3
		.amdhsa_float_denorm_mode_16_64 3
		.amdhsa_dx10_clamp 1
		.amdhsa_ieee_mode 1
		.amdhsa_fp16_overflow 0
		.amdhsa_workgroup_processor_mode 1
		.amdhsa_memory_ordered 1
		.amdhsa_forward_progress 1
		.amdhsa_shared_vgpr_count 0
		.amdhsa_exception_fp_ieee_invalid_op 0
		.amdhsa_exception_fp_denorm_src 0
		.amdhsa_exception_fp_ieee_div_zero 0
		.amdhsa_exception_fp_ieee_overflow 0
		.amdhsa_exception_fp_ieee_underflow 0
		.amdhsa_exception_fp_ieee_inexact 0
		.amdhsa_exception_int_div_zero 0
	.end_amdhsa_kernel
	.section	.text._ZL29rocblas_internal_gemmt_kernelIlLi16ELi32ELi8ELc84ELc67ELc85ELb0ELb0EdPKdS1_PdEviT_T9_T10_S3_lS5_S3_lS4_T11_S3_li,"axG",@progbits,_ZL29rocblas_internal_gemmt_kernelIlLi16ELi32ELi8ELc84ELc67ELc85ELb0ELb0EdPKdS1_PdEviT_T9_T10_S3_lS5_S3_lS4_T11_S3_li,comdat
.Lfunc_end185:
	.size	_ZL29rocblas_internal_gemmt_kernelIlLi16ELi32ELi8ELc84ELc67ELc85ELb0ELb0EdPKdS1_PdEviT_T9_T10_S3_lS5_S3_lS4_T11_S3_li, .Lfunc_end185-_ZL29rocblas_internal_gemmt_kernelIlLi16ELi32ELi8ELc84ELc67ELc85ELb0ELb0EdPKdS1_PdEviT_T9_T10_S3_lS5_S3_lS4_T11_S3_li
                                        ; -- End function
	.set _ZL29rocblas_internal_gemmt_kernelIlLi16ELi32ELi8ELc84ELc67ELc85ELb0ELb0EdPKdS1_PdEviT_T9_T10_S3_lS5_S3_lS4_T11_S3_li.num_vgpr, 46
	.set _ZL29rocblas_internal_gemmt_kernelIlLi16ELi32ELi8ELc84ELc67ELc85ELb0ELb0EdPKdS1_PdEviT_T9_T10_S3_lS5_S3_lS4_T11_S3_li.num_agpr, 0
	.set _ZL29rocblas_internal_gemmt_kernelIlLi16ELi32ELi8ELc84ELc67ELc85ELb0ELb0EdPKdS1_PdEviT_T9_T10_S3_lS5_S3_lS4_T11_S3_li.numbered_sgpr, 44
	.set _ZL29rocblas_internal_gemmt_kernelIlLi16ELi32ELi8ELc84ELc67ELc85ELb0ELb0EdPKdS1_PdEviT_T9_T10_S3_lS5_S3_lS4_T11_S3_li.num_named_barrier, 0
	.set _ZL29rocblas_internal_gemmt_kernelIlLi16ELi32ELi8ELc84ELc67ELc85ELb0ELb0EdPKdS1_PdEviT_T9_T10_S3_lS5_S3_lS4_T11_S3_li.private_seg_size, 0
	.set _ZL29rocblas_internal_gemmt_kernelIlLi16ELi32ELi8ELc84ELc67ELc85ELb0ELb0EdPKdS1_PdEviT_T9_T10_S3_lS5_S3_lS4_T11_S3_li.uses_vcc, 1
	.set _ZL29rocblas_internal_gemmt_kernelIlLi16ELi32ELi8ELc84ELc67ELc85ELb0ELb0EdPKdS1_PdEviT_T9_T10_S3_lS5_S3_lS4_T11_S3_li.uses_flat_scratch, 0
	.set _ZL29rocblas_internal_gemmt_kernelIlLi16ELi32ELi8ELc84ELc67ELc85ELb0ELb0EdPKdS1_PdEviT_T9_T10_S3_lS5_S3_lS4_T11_S3_li.has_dyn_sized_stack, 0
	.set _ZL29rocblas_internal_gemmt_kernelIlLi16ELi32ELi8ELc84ELc67ELc85ELb0ELb0EdPKdS1_PdEviT_T9_T10_S3_lS5_S3_lS4_T11_S3_li.has_recursion, 0
	.set _ZL29rocblas_internal_gemmt_kernelIlLi16ELi32ELi8ELc84ELc67ELc85ELb0ELb0EdPKdS1_PdEviT_T9_T10_S3_lS5_S3_lS4_T11_S3_li.has_indirect_call, 0
	.section	.AMDGPU.csdata,"",@progbits
; Kernel info:
; codeLenInByte = 1676
; TotalNumSgprs: 46
; NumVgprs: 46
; ScratchSize: 0
; MemoryBound: 0
; FloatMode: 240
; IeeeMode: 1
; LDSByteSize: 4096 bytes/workgroup (compile time only)
; SGPRBlocks: 0
; VGPRBlocks: 5
; NumSGPRsForWavesPerEU: 46
; NumVGPRsForWavesPerEU: 46
; Occupancy: 16
; WaveLimiterHint : 0
; COMPUTE_PGM_RSRC2:SCRATCH_EN: 0
; COMPUTE_PGM_RSRC2:USER_SGPR: 6
; COMPUTE_PGM_RSRC2:TRAP_HANDLER: 0
; COMPUTE_PGM_RSRC2:TGID_X_EN: 1
; COMPUTE_PGM_RSRC2:TGID_Y_EN: 1
; COMPUTE_PGM_RSRC2:TGID_Z_EN: 1
; COMPUTE_PGM_RSRC2:TIDIG_COMP_CNT: 1
	.section	.text._ZL29rocblas_internal_gemmt_kernelIlLi16ELi32ELi8ELc67ELc78ELc85ELb0ELb0EdPKdS1_PdEviT_T9_T10_S3_lS5_S3_lS4_T11_S3_li,"axG",@progbits,_ZL29rocblas_internal_gemmt_kernelIlLi16ELi32ELi8ELc67ELc78ELc85ELb0ELb0EdPKdS1_PdEviT_T9_T10_S3_lS5_S3_lS4_T11_S3_li,comdat
	.globl	_ZL29rocblas_internal_gemmt_kernelIlLi16ELi32ELi8ELc67ELc78ELc85ELb0ELb0EdPKdS1_PdEviT_T9_T10_S3_lS5_S3_lS4_T11_S3_li ; -- Begin function _ZL29rocblas_internal_gemmt_kernelIlLi16ELi32ELi8ELc67ELc78ELc85ELb0ELb0EdPKdS1_PdEviT_T9_T10_S3_lS5_S3_lS4_T11_S3_li
	.p2align	8
	.type	_ZL29rocblas_internal_gemmt_kernelIlLi16ELi32ELi8ELc67ELc78ELc85ELb0ELb0EdPKdS1_PdEviT_T9_T10_S3_lS5_S3_lS4_T11_S3_li,@function
_ZL29rocblas_internal_gemmt_kernelIlLi16ELi32ELi8ELc67ELc78ELc85ELb0ELb0EdPKdS1_PdEviT_T9_T10_S3_lS5_S3_lS4_T11_S3_li: ; @_ZL29rocblas_internal_gemmt_kernelIlLi16ELi32ELi8ELc67ELc78ELc85ELb0ELb0EdPKdS1_PdEviT_T9_T10_S3_lS5_S3_lS4_T11_S3_li
; %bb.0:
	s_load_dwordx8 s[36:43], s[4:5], 0x48
	s_waitcnt lgkmcnt(0)
	s_load_dwordx2 s[2:3], s[36:37], 0x0
	s_load_dwordx16 s[12:27], s[4:5], 0x8
	s_waitcnt lgkmcnt(0)
	v_cmp_neq_f64_e64 s0, s[2:3], 1.0
	s_load_dwordx2 s[10:11], s[14:15], 0x0
	s_and_b32 vcc_lo, exec_lo, s0
	s_cbranch_vccnz .LBB186_2
; %bb.1:
	s_waitcnt lgkmcnt(0)
	v_cmp_neq_f64_e64 s0, s[10:11], 0
	s_cmp_lg_u64 s[12:13], 0
	s_cselect_b32 s1, -1, 0
	s_and_b32 s0, s1, s0
.LBB186_2:
	s_andn2_b32 vcc_lo, exec_lo, s0
	s_cbranch_vccnz .LBB186_28
; %bb.3:
	s_waitcnt lgkmcnt(0)
	v_cmp_eq_f64_e64 s0, s[10:11], 0
	s_load_dword s9, s[4:5], 0x0
	v_cmp_lt_i64_e64 s1, s[12:13], 1
	v_mov_b32_e32 v10, 0
	v_mov_b32_e32 v6, 0
	;; [unrolled: 1-line block ×8, first 2 shown]
	s_lshl_b32 s6, s6, 5
	s_lshl_b32 s7, s7, 5
	s_or_b32 s0, s0, s1
	s_and_b32 vcc_lo, exec_lo, s0
	s_cbranch_vccnz .LBB186_12
; %bb.4:
	v_lshl_add_u32 v6, v1, 4, v0
	s_mul_i32 s1, s27, s8
	s_mul_hi_u32 s4, s26, s8
	s_mul_i32 s0, s26, s8
	s_add_i32 s1, s4, s1
	v_lshrrev_b32_e32 v7, 3, v6
	v_and_b32_e32 v8, 31, v6
	s_lshl_b64 s[0:1], s[0:1], 3
	s_mul_hi_u32 s5, s20, s8
	s_add_u32 s4, s22, s0
	v_add_nc_u32_e32 v9, s7, v7
	v_or_b32_e32 v10, s6, v8
	s_mul_i32 s0, s21, s8
	s_addc_u32 s14, s23, s1
	s_add_i32 s1, s5, s0
	v_ashrrev_i32_e32 v4, 31, v9
	s_mul_i32 s0, s20, s8
	v_mul_lo_u32 v11, s19, v10
	v_mad_u64_u32 v[2:3], null, s18, v10, 0
	s_lshl_b64 s[0:1], s[0:1], 3
	v_mul_lo_u32 v12, s24, v4
	v_mul_lo_u32 v13, s25, v9
	v_mad_u64_u32 v[4:5], null, s24, v9, 0
	s_add_u32 s5, s16, s0
	s_addc_u32 s1, s17, s1
	s_ashr_i32 s0, s6, 31
	v_and_b32_e32 v16, 7, v0
	s_mul_i32 s0, s18, s0
	v_lshrrev_b32_e32 v17, 5, v6
	v_add3_u32 v3, v3, s0, v11
	v_add3_u32 v5, v5, v12, v13
	v_lshlrev_b32_e32 v6, 3, v8
	v_lshlrev_b32_e32 v8, 3, v16
	s_waitcnt lgkmcnt(0)
	v_cmp_gt_i32_e64 s0, s9, v10
	v_lshlrev_b64 v[2:3], 3, v[2:3]
	v_lshlrev_b64 v[4:5], 3, v[4:5]
	v_lshl_or_b32 v18, v17, 8, v6
	v_lshl_or_b32 v6, v7, 6, v8
	v_mov_b32_e32 v10, 0
	v_lshlrev_b32_e32 v24, 3, v0
	v_add_co_u32 v19, vcc_lo, s5, v2
	v_add_co_ci_u32_e64 v20, null, s1, v3, vcc_lo
	v_add_co_u32 v22, vcc_lo, s4, v4
	v_add_nc_u32_e32 v21, 0x800, v6
	v_add_co_ci_u32_e64 v23, null, s14, v5, vcc_lo
	v_mov_b32_e32 v2, 0
	v_mov_b32_e32 v4, 0
	;; [unrolled: 1-line block ×3, first 2 shown]
	v_cmp_gt_i32_e64 s1, s9, v9
	v_lshl_add_u32 v25, v1, 6, 0x800
	v_mov_b32_e32 v3, 0
	v_mov_b32_e32 v5, 0
	;; [unrolled: 1-line block ×5, first 2 shown]
	s_mov_b64 s[4:5], 0
	s_branch .LBB186_6
.LBB186_5:                              ;   in Loop: Header=BB186_6 Depth=1
	s_or_b32 exec_lo, exec_lo, s14
	s_waitcnt vmcnt(0)
	ds_write_b64 v21, v[14:15]
	s_waitcnt lgkmcnt(0)
	s_barrier
	buffer_gl0_inv
	ds_read_b128 v[12:15], v25
	ds_read2_b64 v[26:29], v24 offset1:16
	ds_read_b128 v[30:33], v25 offset:1024
	ds_read_b128 v[34:37], v25 offset:16
	ds_read2_b64 v[38:41], v24 offset0:32 offset1:48
	ds_read_b128 v[42:45], v25 offset:1040
	s_add_u32 s4, s4, 8
	s_addc_u32 s5, s5, 0
	v_cmp_gt_i64_e64 s14, s[12:13], s[4:5]
	s_and_b32 vcc_lo, exec_lo, s14
	s_waitcnt lgkmcnt(4)
	v_fma_f64 v[10:11], v[26:27], v[12:13], v[10:11]
	v_fma_f64 v[6:7], v[28:29], v[12:13], v[6:7]
	s_waitcnt lgkmcnt(3)
	v_fma_f64 v[12:13], v[26:27], v[30:31], v[4:5]
	v_fma_f64 v[26:27], v[28:29], v[30:31], v[2:3]
	ds_read2_b64 v[2:5], v24 offset0:64 offset1:80
	s_waitcnt lgkmcnt(2)
	v_fma_f64 v[28:29], v[38:39], v[14:15], v[10:11]
	v_fma_f64 v[6:7], v[40:41], v[14:15], v[6:7]
	;; [unrolled: 1-line block ×4, first 2 shown]
	ds_read2_b64 v[10:13], v24 offset0:96 offset1:112
	s_waitcnt lgkmcnt(1)
	v_fma_f64 v[30:31], v[2:3], v[34:35], v[28:29]
	v_fma_f64 v[6:7], v[4:5], v[34:35], v[6:7]
	;; [unrolled: 1-line block ×4, first 2 shown]
	ds_read_b128 v[2:5], v25 offset:32
	ds_read2_b64 v[26:29], v24 offset0:128 offset1:144
	s_waitcnt lgkmcnt(2)
	v_fma_f64 v[42:43], v[10:11], v[36:37], v[30:31]
	v_fma_f64 v[6:7], v[12:13], v[36:37], v[6:7]
	;; [unrolled: 1-line block ×4, first 2 shown]
	ds_read_b128 v[10:13], v25 offset:1056
	ds_read_b128 v[30:33], v25 offset:48
	ds_read2_b64 v[34:37], v24 offset0:160 offset1:176
	ds_read_b128 v[38:41], v25 offset:1072
	s_waitcnt lgkmcnt(4)
	v_fma_f64 v[42:43], v[26:27], v[2:3], v[42:43]
	v_fma_f64 v[2:3], v[28:29], v[2:3], v[6:7]
	s_waitcnt lgkmcnt(3)
	v_fma_f64 v[6:7], v[26:27], v[10:11], v[14:15]
	v_fma_f64 v[10:11], v[28:29], v[10:11], v[44:45]
	ds_read2_b64 v[26:29], v24 offset0:192 offset1:208
	s_waitcnt lgkmcnt(2)
	v_fma_f64 v[42:43], v[34:35], v[4:5], v[42:43]
	v_fma_f64 v[2:3], v[36:37], v[4:5], v[2:3]
	;; [unrolled: 1-line block ×4, first 2 shown]
	ds_read2_b64 v[12:15], v24 offset0:224 offset1:240
	s_waitcnt lgkmcnt(0)
	s_barrier
	buffer_gl0_inv
	v_fma_f64 v[10:11], v[26:27], v[30:31], v[42:43]
	v_fma_f64 v[2:3], v[28:29], v[30:31], v[2:3]
	;; [unrolled: 1-line block ×8, first 2 shown]
	s_cbranch_vccz .LBB186_12
.LBB186_6:                              ; =>This Inner Loop Header: Depth=1
	v_mov_b32_e32 v12, 0
	v_mov_b32_e32 v13, 0
	s_and_saveexec_b32 s14, s0
	s_cbranch_execz .LBB186_10
; %bb.7:                                ;   in Loop: Header=BB186_6 Depth=1
	v_mov_b32_e32 v12, 0
	v_add_nc_u32_e32 v8, s4, v17
	v_mov_b32_e32 v13, 0
	s_mov_b32 s15, exec_lo
	v_cmpx_gt_u64_e64 s[12:13], v[8:9]
	s_cbranch_execz .LBB186_9
; %bb.8:                                ;   in Loop: Header=BB186_6 Depth=1
	v_lshlrev_b64 v[12:13], 3, v[8:9]
	v_add_co_u32 v12, vcc_lo, v19, v12
	v_add_co_ci_u32_e64 v13, null, v20, v13, vcc_lo
	global_load_dwordx2 v[12:13], v[12:13], off
.LBB186_9:                              ;   in Loop: Header=BB186_6 Depth=1
	s_or_b32 exec_lo, exec_lo, s15
.LBB186_10:                             ;   in Loop: Header=BB186_6 Depth=1
	s_or_b32 exec_lo, exec_lo, s14
	v_add_nc_u32_e32 v8, s4, v16
	v_mov_b32_e32 v14, 0
	v_mov_b32_e32 v15, 0
	s_waitcnt vmcnt(0)
	ds_write_b64 v18, v[12:13]
	v_cmp_gt_u64_e32 vcc_lo, s[12:13], v[8:9]
	s_and_b32 s15, vcc_lo, s1
	s_and_saveexec_b32 s14, s15
	s_cbranch_execz .LBB186_5
; %bb.11:                               ;   in Loop: Header=BB186_6 Depth=1
	v_lshlrev_b64 v[12:13], 3, v[8:9]
	v_add_co_u32 v12, vcc_lo, v22, v12
	v_add_co_ci_u32_e64 v13, null, v23, v13, vcc_lo
	global_load_dwordx2 v[14:15], v[12:13], off
	s_branch .LBB186_5
.LBB186_12:
	v_add_nc_u32_e32 v13, s7, v1
	v_add_nc_u32_e32 v0, s6, v0
	v_cmp_neq_f64_e64 s6, s[2:3], 0
	s_mul_i32 s1, s43, s8
	s_mul_hi_u32 s4, s42, s8
	v_ashrrev_i32_e32 v1, 31, v13
	v_mul_lo_u32 v12, s41, v13
	v_mad_u64_u32 v[8:9], null, s40, v13, 0
	s_mul_i32 s0, s42, s8
	v_mul_lo_u32 v1, s40, v1
	s_add_i32 s1, s4, s1
	v_cmp_le_i32_e32 vcc_lo, v0, v13
	s_lshl_b64 s[4:5], s[0:1], 3
	s_waitcnt lgkmcnt(0)
	v_cmp_gt_i32_e64 s0, s9, v13
	s_add_u32 s4, s38, s4
	s_addc_u32 s5, s39, s5
	v_add3_u32 v9, v9, v1, v12
	v_ashrrev_i32_e32 v1, 31, v0
	s_and_b32 s7, s0, vcc_lo
	v_lshlrev_b64 v[8:9], 3, v[8:9]
	v_cndmask_b32_e64 v12, 0, 1, s6
	v_add_co_u32 v14, s1, s4, v8
	v_add_co_ci_u32_e64 v15, null, s5, v9, s1
	s_and_saveexec_b32 s1, s7
	s_cbranch_execz .LBB186_16
; %bb.13:
	v_mul_f64 v[8:9], s[10:11], v[10:11]
	v_lshlrev_b64 v[10:11], 3, v[0:1]
	v_add_co_u32 v10, vcc_lo, v14, v10
	v_add_co_ci_u32_e64 v11, null, v15, v11, vcc_lo
	s_andn2_b32 vcc_lo, exec_lo, s6
	s_cbranch_vccnz .LBB186_15
; %bb.14:
	global_load_dwordx2 v[16:17], v[10:11], off
	s_waitcnt vmcnt(0)
	v_fma_f64 v[8:9], s[2:3], v[16:17], v[8:9]
.LBB186_15:
	global_store_dwordx2 v[10:11], v[8:9], off
.LBB186_16:
	s_or_b32 exec_lo, exec_lo, s1
	v_add_nc_u32_e32 v8, 16, v0
	v_cmp_le_i32_e32 vcc_lo, v8, v13
	v_ashrrev_i32_e32 v9, 31, v8
	s_and_b32 s0, s0, vcc_lo
	s_and_saveexec_b32 s1, s0
	s_cbranch_execz .LBB186_20
; %bb.17:
	v_mul_f64 v[6:7], s[10:11], v[6:7]
	v_lshlrev_b64 v[10:11], 3, v[8:9]
	v_cmp_ne_u32_e32 vcc_lo, 1, v12
	v_add_co_u32 v10, s0, v14, v10
	v_add_co_ci_u32_e64 v11, null, v15, v11, s0
	s_cbranch_vccnz .LBB186_19
; %bb.18:
	global_load_dwordx2 v[14:15], v[10:11], off
	s_waitcnt vmcnt(0)
	v_fma_f64 v[6:7], s[2:3], v[14:15], v[6:7]
.LBB186_19:
	global_store_dwordx2 v[10:11], v[6:7], off
.LBB186_20:
	s_or_b32 exec_lo, exec_lo, s1
	v_add_nc_u32_e32 v10, 16, v13
	v_ashrrev_i32_e32 v11, 31, v10
	v_mul_lo_u32 v13, s41, v10
	v_mad_u64_u32 v[6:7], null, s40, v10, 0
	v_cmp_gt_i32_e64 s0, s9, v10
	v_mul_lo_u32 v11, s40, v11
	v_cmp_le_i32_e32 vcc_lo, v0, v10
	v_add3_u32 v7, v7, v11, v13
	v_lshlrev_b64 v[6:7], 3, v[6:7]
	v_add_co_u32 v6, s1, s4, v6
	v_add_co_ci_u32_e64 v7, null, s5, v7, s1
	s_and_b32 s1, s0, vcc_lo
	s_and_saveexec_b32 s4, s1
	s_cbranch_execz .LBB186_24
; %bb.21:
	v_mul_f64 v[4:5], s[10:11], v[4:5]
	v_lshlrev_b64 v[0:1], 3, v[0:1]
	v_cmp_ne_u32_e32 vcc_lo, 1, v12
	v_add_co_u32 v0, s1, v6, v0
	v_add_co_ci_u32_e64 v1, null, v7, v1, s1
	s_cbranch_vccnz .LBB186_23
; %bb.22:
	global_load_dwordx2 v[13:14], v[0:1], off
	s_waitcnt vmcnt(0)
	v_fma_f64 v[4:5], s[2:3], v[13:14], v[4:5]
.LBB186_23:
	global_store_dwordx2 v[0:1], v[4:5], off
.LBB186_24:
	s_or_b32 exec_lo, exec_lo, s4
	v_cmp_le_i32_e32 vcc_lo, v8, v10
	s_and_b32 s0, s0, vcc_lo
	s_and_saveexec_b32 s1, s0
	s_cbranch_execz .LBB186_28
; %bb.25:
	v_mul_f64 v[0:1], s[10:11], v[2:3]
	v_lshlrev_b64 v[2:3], 3, v[8:9]
	v_cmp_ne_u32_e32 vcc_lo, 1, v12
	v_add_co_u32 v2, s0, v6, v2
	v_add_co_ci_u32_e64 v3, null, v7, v3, s0
	s_cbranch_vccnz .LBB186_27
; %bb.26:
	global_load_dwordx2 v[4:5], v[2:3], off
	s_waitcnt vmcnt(0)
	v_fma_f64 v[0:1], s[2:3], v[4:5], v[0:1]
.LBB186_27:
	global_store_dwordx2 v[2:3], v[0:1], off
.LBB186_28:
	s_endpgm
	.section	.rodata,"a",@progbits
	.p2align	6, 0x0
	.amdhsa_kernel _ZL29rocblas_internal_gemmt_kernelIlLi16ELi32ELi8ELc67ELc78ELc85ELb0ELb0EdPKdS1_PdEviT_T9_T10_S3_lS5_S3_lS4_T11_S3_li
		.amdhsa_group_segment_fixed_size 4096
		.amdhsa_private_segment_fixed_size 0
		.amdhsa_kernarg_size 108
		.amdhsa_user_sgpr_count 6
		.amdhsa_user_sgpr_private_segment_buffer 1
		.amdhsa_user_sgpr_dispatch_ptr 0
		.amdhsa_user_sgpr_queue_ptr 0
		.amdhsa_user_sgpr_kernarg_segment_ptr 1
		.amdhsa_user_sgpr_dispatch_id 0
		.amdhsa_user_sgpr_flat_scratch_init 0
		.amdhsa_user_sgpr_private_segment_size 0
		.amdhsa_wavefront_size32 1
		.amdhsa_uses_dynamic_stack 0
		.amdhsa_system_sgpr_private_segment_wavefront_offset 0
		.amdhsa_system_sgpr_workgroup_id_x 1
		.amdhsa_system_sgpr_workgroup_id_y 1
		.amdhsa_system_sgpr_workgroup_id_z 1
		.amdhsa_system_sgpr_workgroup_info 0
		.amdhsa_system_vgpr_workitem_id 1
		.amdhsa_next_free_vgpr 46
		.amdhsa_next_free_sgpr 44
		.amdhsa_reserve_vcc 1
		.amdhsa_reserve_flat_scratch 0
		.amdhsa_float_round_mode_32 0
		.amdhsa_float_round_mode_16_64 0
		.amdhsa_float_denorm_mode_32 3
		.amdhsa_float_denorm_mode_16_64 3
		.amdhsa_dx10_clamp 1
		.amdhsa_ieee_mode 1
		.amdhsa_fp16_overflow 0
		.amdhsa_workgroup_processor_mode 1
		.amdhsa_memory_ordered 1
		.amdhsa_forward_progress 1
		.amdhsa_shared_vgpr_count 0
		.amdhsa_exception_fp_ieee_invalid_op 0
		.amdhsa_exception_fp_denorm_src 0
		.amdhsa_exception_fp_ieee_div_zero 0
		.amdhsa_exception_fp_ieee_overflow 0
		.amdhsa_exception_fp_ieee_underflow 0
		.amdhsa_exception_fp_ieee_inexact 0
		.amdhsa_exception_int_div_zero 0
	.end_amdhsa_kernel
	.section	.text._ZL29rocblas_internal_gemmt_kernelIlLi16ELi32ELi8ELc67ELc78ELc85ELb0ELb0EdPKdS1_PdEviT_T9_T10_S3_lS5_S3_lS4_T11_S3_li,"axG",@progbits,_ZL29rocblas_internal_gemmt_kernelIlLi16ELi32ELi8ELc67ELc78ELc85ELb0ELb0EdPKdS1_PdEviT_T9_T10_S3_lS5_S3_lS4_T11_S3_li,comdat
.Lfunc_end186:
	.size	_ZL29rocblas_internal_gemmt_kernelIlLi16ELi32ELi8ELc67ELc78ELc85ELb0ELb0EdPKdS1_PdEviT_T9_T10_S3_lS5_S3_lS4_T11_S3_li, .Lfunc_end186-_ZL29rocblas_internal_gemmt_kernelIlLi16ELi32ELi8ELc67ELc78ELc85ELb0ELb0EdPKdS1_PdEviT_T9_T10_S3_lS5_S3_lS4_T11_S3_li
                                        ; -- End function
	.set _ZL29rocblas_internal_gemmt_kernelIlLi16ELi32ELi8ELc67ELc78ELc85ELb0ELb0EdPKdS1_PdEviT_T9_T10_S3_lS5_S3_lS4_T11_S3_li.num_vgpr, 46
	.set _ZL29rocblas_internal_gemmt_kernelIlLi16ELi32ELi8ELc67ELc78ELc85ELb0ELb0EdPKdS1_PdEviT_T9_T10_S3_lS5_S3_lS4_T11_S3_li.num_agpr, 0
	.set _ZL29rocblas_internal_gemmt_kernelIlLi16ELi32ELi8ELc67ELc78ELc85ELb0ELb0EdPKdS1_PdEviT_T9_T10_S3_lS5_S3_lS4_T11_S3_li.numbered_sgpr, 44
	.set _ZL29rocblas_internal_gemmt_kernelIlLi16ELi32ELi8ELc67ELc78ELc85ELb0ELb0EdPKdS1_PdEviT_T9_T10_S3_lS5_S3_lS4_T11_S3_li.num_named_barrier, 0
	.set _ZL29rocblas_internal_gemmt_kernelIlLi16ELi32ELi8ELc67ELc78ELc85ELb0ELb0EdPKdS1_PdEviT_T9_T10_S3_lS5_S3_lS4_T11_S3_li.private_seg_size, 0
	.set _ZL29rocblas_internal_gemmt_kernelIlLi16ELi32ELi8ELc67ELc78ELc85ELb0ELb0EdPKdS1_PdEviT_T9_T10_S3_lS5_S3_lS4_T11_S3_li.uses_vcc, 1
	.set _ZL29rocblas_internal_gemmt_kernelIlLi16ELi32ELi8ELc67ELc78ELc85ELb0ELb0EdPKdS1_PdEviT_T9_T10_S3_lS5_S3_lS4_T11_S3_li.uses_flat_scratch, 0
	.set _ZL29rocblas_internal_gemmt_kernelIlLi16ELi32ELi8ELc67ELc78ELc85ELb0ELb0EdPKdS1_PdEviT_T9_T10_S3_lS5_S3_lS4_T11_S3_li.has_dyn_sized_stack, 0
	.set _ZL29rocblas_internal_gemmt_kernelIlLi16ELi32ELi8ELc67ELc78ELc85ELb0ELb0EdPKdS1_PdEviT_T9_T10_S3_lS5_S3_lS4_T11_S3_li.has_recursion, 0
	.set _ZL29rocblas_internal_gemmt_kernelIlLi16ELi32ELi8ELc67ELc78ELc85ELb0ELb0EdPKdS1_PdEviT_T9_T10_S3_lS5_S3_lS4_T11_S3_li.has_indirect_call, 0
	.section	.AMDGPU.csdata,"",@progbits
; Kernel info:
; codeLenInByte = 1692
; TotalNumSgprs: 46
; NumVgprs: 46
; ScratchSize: 0
; MemoryBound: 0
; FloatMode: 240
; IeeeMode: 1
; LDSByteSize: 4096 bytes/workgroup (compile time only)
; SGPRBlocks: 0
; VGPRBlocks: 5
; NumSGPRsForWavesPerEU: 46
; NumVGPRsForWavesPerEU: 46
; Occupancy: 16
; WaveLimiterHint : 0
; COMPUTE_PGM_RSRC2:SCRATCH_EN: 0
; COMPUTE_PGM_RSRC2:USER_SGPR: 6
; COMPUTE_PGM_RSRC2:TRAP_HANDLER: 0
; COMPUTE_PGM_RSRC2:TGID_X_EN: 1
; COMPUTE_PGM_RSRC2:TGID_Y_EN: 1
; COMPUTE_PGM_RSRC2:TGID_Z_EN: 1
; COMPUTE_PGM_RSRC2:TIDIG_COMP_CNT: 1
	.section	.text._ZL29rocblas_internal_gemmt_kernelIlLi16ELi32ELi8ELc67ELc84ELc85ELb0ELb0EdPKdS1_PdEviT_T9_T10_S3_lS5_S3_lS4_T11_S3_li,"axG",@progbits,_ZL29rocblas_internal_gemmt_kernelIlLi16ELi32ELi8ELc67ELc84ELc85ELb0ELb0EdPKdS1_PdEviT_T9_T10_S3_lS5_S3_lS4_T11_S3_li,comdat
	.globl	_ZL29rocblas_internal_gemmt_kernelIlLi16ELi32ELi8ELc67ELc84ELc85ELb0ELb0EdPKdS1_PdEviT_T9_T10_S3_lS5_S3_lS4_T11_S3_li ; -- Begin function _ZL29rocblas_internal_gemmt_kernelIlLi16ELi32ELi8ELc67ELc84ELc85ELb0ELb0EdPKdS1_PdEviT_T9_T10_S3_lS5_S3_lS4_T11_S3_li
	.p2align	8
	.type	_ZL29rocblas_internal_gemmt_kernelIlLi16ELi32ELi8ELc67ELc84ELc85ELb0ELb0EdPKdS1_PdEviT_T9_T10_S3_lS5_S3_lS4_T11_S3_li,@function
_ZL29rocblas_internal_gemmt_kernelIlLi16ELi32ELi8ELc67ELc84ELc85ELb0ELb0EdPKdS1_PdEviT_T9_T10_S3_lS5_S3_lS4_T11_S3_li: ; @_ZL29rocblas_internal_gemmt_kernelIlLi16ELi32ELi8ELc67ELc84ELc85ELb0ELb0EdPKdS1_PdEviT_T9_T10_S3_lS5_S3_lS4_T11_S3_li
; %bb.0:
	s_load_dwordx8 s[36:43], s[4:5], 0x48
	s_waitcnt lgkmcnt(0)
	s_load_dwordx2 s[2:3], s[36:37], 0x0
	s_load_dwordx16 s[12:27], s[4:5], 0x8
	s_waitcnt lgkmcnt(0)
	v_cmp_neq_f64_e64 s0, s[2:3], 1.0
	s_load_dwordx2 s[10:11], s[14:15], 0x0
	s_and_b32 vcc_lo, exec_lo, s0
	s_cbranch_vccnz .LBB187_2
; %bb.1:
	s_waitcnt lgkmcnt(0)
	v_cmp_neq_f64_e64 s0, s[10:11], 0
	s_cmp_lg_u64 s[12:13], 0
	s_cselect_b32 s1, -1, 0
	s_and_b32 s0, s1, s0
.LBB187_2:
	s_andn2_b32 vcc_lo, exec_lo, s0
	s_cbranch_vccnz .LBB187_28
; %bb.3:
	s_waitcnt lgkmcnt(0)
	v_cmp_eq_f64_e64 s0, s[10:11], 0
	s_load_dword s9, s[4:5], 0x0
	v_cmp_lt_i64_e64 s1, s[12:13], 1
	v_mov_b32_e32 v10, 0
	v_mov_b32_e32 v6, 0
	;; [unrolled: 1-line block ×8, first 2 shown]
	s_lshl_b32 s6, s6, 5
	s_lshl_b32 s7, s7, 5
	s_or_b32 s0, s0, s1
	s_and_b32 vcc_lo, exec_lo, s0
	s_cbranch_vccnz .LBB187_12
; %bb.4:
	v_lshl_add_u32 v5, v1, 4, v0
	s_mul_i32 s1, s27, s8
	s_mul_hi_u32 s4, s26, s8
	s_mul_i32 s0, s26, s8
	s_add_i32 s1, s4, s1
	v_and_b32_e32 v6, 31, v5
	s_lshl_b64 s[0:1], s[0:1], 3
	s_mul_i32 s4, s21, s8
	s_add_u32 s5, s22, s0
	s_addc_u32 s14, s23, s1
	v_or_b32_e32 v7, s6, v6
	s_mul_hi_u32 s1, s20, s8
	s_mul_i32 s0, s20, s8
	s_add_i32 s1, s1, s4
	v_lshrrev_b32_e32 v9, 3, v5
	v_mul_lo_u32 v8, s19, v7
	v_mad_u64_u32 v[2:3], null, s18, v7, 0
	s_lshl_b64 s[0:1], s[0:1], 3
	v_add_nc_u32_e32 v4, s7, v9
	s_add_u32 s4, s16, s0
	s_addc_u32 s1, s17, s1
	s_ashr_i32 s0, s6, 31
	v_and_b32_e32 v16, 7, v0
	s_mul_i32 s0, s18, s0
	v_lshrrev_b32_e32 v17, 5, v5
	v_add3_u32 v3, v3, s0, v8
	v_lshlrev_b32_e32 v6, 3, v6
	v_ashrrev_i32_e32 v5, 31, v4
	v_lshlrev_b32_e32 v8, 3, v16
	s_waitcnt lgkmcnt(0)
	v_cmp_gt_i32_e64 s0, s9, v7
	v_lshlrev_b64 v[2:3], 3, v[2:3]
	v_lshl_or_b32 v18, v17, 8, v6
	v_lshlrev_b64 v[5:6], 3, v[4:5]
	v_lshl_or_b32 v7, v9, 6, v8
	v_mov_b32_e32 v10, 0
	v_lshlrev_b32_e32 v24, 3, v0
	v_add_co_u32 v19, vcc_lo, s4, v2
	v_add_co_ci_u32_e64 v20, null, s1, v3, vcc_lo
	v_add_co_u32 v22, vcc_lo, s5, v5
	v_cmp_gt_i32_e64 s1, s9, v4
	v_add_nc_u32_e32 v21, 0x800, v7
	v_add_co_ci_u32_e64 v23, null, s14, v6, vcc_lo
	v_mov_b32_e32 v2, 0
	v_mov_b32_e32 v4, 0
	;; [unrolled: 1-line block ×3, first 2 shown]
	v_lshl_add_u32 v25, v1, 6, 0x800
	v_mov_b32_e32 v3, 0
	v_mov_b32_e32 v5, 0
	;; [unrolled: 1-line block ×5, first 2 shown]
	s_mov_b64 s[4:5], 0
	s_branch .LBB187_6
.LBB187_5:                              ;   in Loop: Header=BB187_6 Depth=1
	s_or_b32 exec_lo, exec_lo, s14
	s_waitcnt vmcnt(0)
	ds_write_b64 v21, v[14:15]
	s_waitcnt lgkmcnt(0)
	s_barrier
	buffer_gl0_inv
	ds_read_b128 v[12:15], v25
	ds_read2_b64 v[26:29], v24 offset1:16
	ds_read_b128 v[30:33], v25 offset:1024
	ds_read_b128 v[34:37], v25 offset:16
	ds_read2_b64 v[38:41], v24 offset0:32 offset1:48
	ds_read_b128 v[42:45], v25 offset:1040
	s_add_u32 s4, s4, 8
	s_addc_u32 s5, s5, 0
	v_cmp_gt_i64_e64 s14, s[12:13], s[4:5]
	s_and_b32 vcc_lo, exec_lo, s14
	s_waitcnt lgkmcnt(4)
	v_fma_f64 v[10:11], v[26:27], v[12:13], v[10:11]
	v_fma_f64 v[6:7], v[28:29], v[12:13], v[6:7]
	s_waitcnt lgkmcnt(3)
	v_fma_f64 v[12:13], v[26:27], v[30:31], v[4:5]
	v_fma_f64 v[26:27], v[28:29], v[30:31], v[2:3]
	ds_read2_b64 v[2:5], v24 offset0:64 offset1:80
	s_waitcnt lgkmcnt(2)
	v_fma_f64 v[28:29], v[38:39], v[14:15], v[10:11]
	v_fma_f64 v[6:7], v[40:41], v[14:15], v[6:7]
	;; [unrolled: 1-line block ×4, first 2 shown]
	ds_read2_b64 v[10:13], v24 offset0:96 offset1:112
	s_waitcnt lgkmcnt(1)
	v_fma_f64 v[30:31], v[2:3], v[34:35], v[28:29]
	v_fma_f64 v[6:7], v[4:5], v[34:35], v[6:7]
	;; [unrolled: 1-line block ×4, first 2 shown]
	ds_read_b128 v[2:5], v25 offset:32
	ds_read2_b64 v[26:29], v24 offset0:128 offset1:144
	s_waitcnt lgkmcnt(2)
	v_fma_f64 v[42:43], v[10:11], v[36:37], v[30:31]
	v_fma_f64 v[6:7], v[12:13], v[36:37], v[6:7]
	;; [unrolled: 1-line block ×4, first 2 shown]
	ds_read_b128 v[10:13], v25 offset:1056
	ds_read_b128 v[30:33], v25 offset:48
	ds_read2_b64 v[34:37], v24 offset0:160 offset1:176
	ds_read_b128 v[38:41], v25 offset:1072
	s_waitcnt lgkmcnt(4)
	v_fma_f64 v[42:43], v[26:27], v[2:3], v[42:43]
	v_fma_f64 v[2:3], v[28:29], v[2:3], v[6:7]
	s_waitcnt lgkmcnt(3)
	v_fma_f64 v[6:7], v[26:27], v[10:11], v[14:15]
	v_fma_f64 v[10:11], v[28:29], v[10:11], v[44:45]
	ds_read2_b64 v[26:29], v24 offset0:192 offset1:208
	s_waitcnt lgkmcnt(2)
	v_fma_f64 v[42:43], v[34:35], v[4:5], v[42:43]
	v_fma_f64 v[2:3], v[36:37], v[4:5], v[2:3]
	;; [unrolled: 1-line block ×4, first 2 shown]
	ds_read2_b64 v[12:15], v24 offset0:224 offset1:240
	s_waitcnt lgkmcnt(0)
	s_barrier
	buffer_gl0_inv
	v_fma_f64 v[10:11], v[26:27], v[30:31], v[42:43]
	v_fma_f64 v[2:3], v[28:29], v[30:31], v[2:3]
	;; [unrolled: 1-line block ×8, first 2 shown]
	s_cbranch_vccz .LBB187_12
.LBB187_6:                              ; =>This Inner Loop Header: Depth=1
	v_mov_b32_e32 v12, 0
	v_mov_b32_e32 v13, 0
	s_and_saveexec_b32 s14, s0
	s_cbranch_execz .LBB187_10
; %bb.7:                                ;   in Loop: Header=BB187_6 Depth=1
	v_mov_b32_e32 v12, 0
	v_add_nc_u32_e32 v8, s4, v17
	v_mov_b32_e32 v13, 0
	s_mov_b32 s15, exec_lo
	v_cmpx_gt_u64_e64 s[12:13], v[8:9]
	s_cbranch_execz .LBB187_9
; %bb.8:                                ;   in Loop: Header=BB187_6 Depth=1
	v_lshlrev_b64 v[12:13], 3, v[8:9]
	v_add_co_u32 v12, vcc_lo, v19, v12
	v_add_co_ci_u32_e64 v13, null, v20, v13, vcc_lo
	global_load_dwordx2 v[12:13], v[12:13], off
.LBB187_9:                              ;   in Loop: Header=BB187_6 Depth=1
	s_or_b32 exec_lo, exec_lo, s15
.LBB187_10:                             ;   in Loop: Header=BB187_6 Depth=1
	s_or_b32 exec_lo, exec_lo, s14
	v_add_nc_u32_e32 v8, s4, v16
	v_mov_b32_e32 v14, 0
	v_mov_b32_e32 v15, 0
	s_waitcnt vmcnt(0)
	ds_write_b64 v18, v[12:13]
	v_cmp_gt_u64_e32 vcc_lo, s[12:13], v[8:9]
	s_and_b32 s15, vcc_lo, s1
	s_and_saveexec_b32 s14, s15
	s_cbranch_execz .LBB187_5
; %bb.11:                               ;   in Loop: Header=BB187_6 Depth=1
	v_mad_u64_u32 v[12:13], null, s24, v8, 0
	v_mad_u64_u32 v[13:14], null, s25, v8, v[13:14]
	v_lshlrev_b64 v[12:13], 3, v[12:13]
	v_add_co_u32 v12, vcc_lo, v22, v12
	v_add_co_ci_u32_e64 v13, null, v23, v13, vcc_lo
	global_load_dwordx2 v[14:15], v[12:13], off
	s_branch .LBB187_5
.LBB187_12:
	v_add_nc_u32_e32 v13, s7, v1
	v_add_nc_u32_e32 v0, s6, v0
	v_cmp_neq_f64_e64 s6, s[2:3], 0
	s_mul_i32 s1, s43, s8
	s_mul_hi_u32 s4, s42, s8
	v_ashrrev_i32_e32 v1, 31, v13
	v_mul_lo_u32 v12, s41, v13
	v_mad_u64_u32 v[8:9], null, s40, v13, 0
	s_mul_i32 s0, s42, s8
	v_mul_lo_u32 v1, s40, v1
	s_add_i32 s1, s4, s1
	v_cmp_le_i32_e32 vcc_lo, v0, v13
	s_lshl_b64 s[4:5], s[0:1], 3
	s_waitcnt lgkmcnt(0)
	v_cmp_gt_i32_e64 s0, s9, v13
	s_add_u32 s4, s38, s4
	s_addc_u32 s5, s39, s5
	v_add3_u32 v9, v9, v1, v12
	v_ashrrev_i32_e32 v1, 31, v0
	s_and_b32 s7, s0, vcc_lo
	v_lshlrev_b64 v[8:9], 3, v[8:9]
	v_cndmask_b32_e64 v12, 0, 1, s6
	v_add_co_u32 v14, s1, s4, v8
	v_add_co_ci_u32_e64 v15, null, s5, v9, s1
	s_and_saveexec_b32 s1, s7
	s_cbranch_execz .LBB187_16
; %bb.13:
	v_mul_f64 v[8:9], s[10:11], v[10:11]
	v_lshlrev_b64 v[10:11], 3, v[0:1]
	v_add_co_u32 v10, vcc_lo, v14, v10
	v_add_co_ci_u32_e64 v11, null, v15, v11, vcc_lo
	s_andn2_b32 vcc_lo, exec_lo, s6
	s_cbranch_vccnz .LBB187_15
; %bb.14:
	global_load_dwordx2 v[16:17], v[10:11], off
	s_waitcnt vmcnt(0)
	v_fma_f64 v[8:9], s[2:3], v[16:17], v[8:9]
.LBB187_15:
	global_store_dwordx2 v[10:11], v[8:9], off
.LBB187_16:
	s_or_b32 exec_lo, exec_lo, s1
	v_add_nc_u32_e32 v8, 16, v0
	v_cmp_le_i32_e32 vcc_lo, v8, v13
	v_ashrrev_i32_e32 v9, 31, v8
	s_and_b32 s0, s0, vcc_lo
	s_and_saveexec_b32 s1, s0
	s_cbranch_execz .LBB187_20
; %bb.17:
	v_mul_f64 v[6:7], s[10:11], v[6:7]
	v_lshlrev_b64 v[10:11], 3, v[8:9]
	v_cmp_ne_u32_e32 vcc_lo, 1, v12
	v_add_co_u32 v10, s0, v14, v10
	v_add_co_ci_u32_e64 v11, null, v15, v11, s0
	s_cbranch_vccnz .LBB187_19
; %bb.18:
	global_load_dwordx2 v[14:15], v[10:11], off
	s_waitcnt vmcnt(0)
	v_fma_f64 v[6:7], s[2:3], v[14:15], v[6:7]
.LBB187_19:
	global_store_dwordx2 v[10:11], v[6:7], off
.LBB187_20:
	s_or_b32 exec_lo, exec_lo, s1
	v_add_nc_u32_e32 v10, 16, v13
	v_ashrrev_i32_e32 v11, 31, v10
	v_mul_lo_u32 v13, s41, v10
	v_mad_u64_u32 v[6:7], null, s40, v10, 0
	v_cmp_gt_i32_e64 s0, s9, v10
	v_mul_lo_u32 v11, s40, v11
	v_cmp_le_i32_e32 vcc_lo, v0, v10
	v_add3_u32 v7, v7, v11, v13
	v_lshlrev_b64 v[6:7], 3, v[6:7]
	v_add_co_u32 v6, s1, s4, v6
	v_add_co_ci_u32_e64 v7, null, s5, v7, s1
	s_and_b32 s1, s0, vcc_lo
	s_and_saveexec_b32 s4, s1
	s_cbranch_execz .LBB187_24
; %bb.21:
	v_mul_f64 v[4:5], s[10:11], v[4:5]
	v_lshlrev_b64 v[0:1], 3, v[0:1]
	v_cmp_ne_u32_e32 vcc_lo, 1, v12
	v_add_co_u32 v0, s1, v6, v0
	v_add_co_ci_u32_e64 v1, null, v7, v1, s1
	s_cbranch_vccnz .LBB187_23
; %bb.22:
	global_load_dwordx2 v[13:14], v[0:1], off
	s_waitcnt vmcnt(0)
	v_fma_f64 v[4:5], s[2:3], v[13:14], v[4:5]
.LBB187_23:
	global_store_dwordx2 v[0:1], v[4:5], off
.LBB187_24:
	s_or_b32 exec_lo, exec_lo, s4
	v_cmp_le_i32_e32 vcc_lo, v8, v10
	s_and_b32 s0, s0, vcc_lo
	s_and_saveexec_b32 s1, s0
	s_cbranch_execz .LBB187_28
; %bb.25:
	v_mul_f64 v[0:1], s[10:11], v[2:3]
	v_lshlrev_b64 v[2:3], 3, v[8:9]
	v_cmp_ne_u32_e32 vcc_lo, 1, v12
	v_add_co_u32 v2, s0, v6, v2
	v_add_co_ci_u32_e64 v3, null, v7, v3, s0
	s_cbranch_vccnz .LBB187_27
; %bb.26:
	global_load_dwordx2 v[4:5], v[2:3], off
	s_waitcnt vmcnt(0)
	v_fma_f64 v[0:1], s[2:3], v[4:5], v[0:1]
.LBB187_27:
	global_store_dwordx2 v[2:3], v[0:1], off
.LBB187_28:
	s_endpgm
	.section	.rodata,"a",@progbits
	.p2align	6, 0x0
	.amdhsa_kernel _ZL29rocblas_internal_gemmt_kernelIlLi16ELi32ELi8ELc67ELc84ELc85ELb0ELb0EdPKdS1_PdEviT_T9_T10_S3_lS5_S3_lS4_T11_S3_li
		.amdhsa_group_segment_fixed_size 4096
		.amdhsa_private_segment_fixed_size 0
		.amdhsa_kernarg_size 108
		.amdhsa_user_sgpr_count 6
		.amdhsa_user_sgpr_private_segment_buffer 1
		.amdhsa_user_sgpr_dispatch_ptr 0
		.amdhsa_user_sgpr_queue_ptr 0
		.amdhsa_user_sgpr_kernarg_segment_ptr 1
		.amdhsa_user_sgpr_dispatch_id 0
		.amdhsa_user_sgpr_flat_scratch_init 0
		.amdhsa_user_sgpr_private_segment_size 0
		.amdhsa_wavefront_size32 1
		.amdhsa_uses_dynamic_stack 0
		.amdhsa_system_sgpr_private_segment_wavefront_offset 0
		.amdhsa_system_sgpr_workgroup_id_x 1
		.amdhsa_system_sgpr_workgroup_id_y 1
		.amdhsa_system_sgpr_workgroup_id_z 1
		.amdhsa_system_sgpr_workgroup_info 0
		.amdhsa_system_vgpr_workitem_id 1
		.amdhsa_next_free_vgpr 46
		.amdhsa_next_free_sgpr 44
		.amdhsa_reserve_vcc 1
		.amdhsa_reserve_flat_scratch 0
		.amdhsa_float_round_mode_32 0
		.amdhsa_float_round_mode_16_64 0
		.amdhsa_float_denorm_mode_32 3
		.amdhsa_float_denorm_mode_16_64 3
		.amdhsa_dx10_clamp 1
		.amdhsa_ieee_mode 1
		.amdhsa_fp16_overflow 0
		.amdhsa_workgroup_processor_mode 1
		.amdhsa_memory_ordered 1
		.amdhsa_forward_progress 1
		.amdhsa_shared_vgpr_count 0
		.amdhsa_exception_fp_ieee_invalid_op 0
		.amdhsa_exception_fp_denorm_src 0
		.amdhsa_exception_fp_ieee_div_zero 0
		.amdhsa_exception_fp_ieee_overflow 0
		.amdhsa_exception_fp_ieee_underflow 0
		.amdhsa_exception_fp_ieee_inexact 0
		.amdhsa_exception_int_div_zero 0
	.end_amdhsa_kernel
	.section	.text._ZL29rocblas_internal_gemmt_kernelIlLi16ELi32ELi8ELc67ELc84ELc85ELb0ELb0EdPKdS1_PdEviT_T9_T10_S3_lS5_S3_lS4_T11_S3_li,"axG",@progbits,_ZL29rocblas_internal_gemmt_kernelIlLi16ELi32ELi8ELc67ELc84ELc85ELb0ELb0EdPKdS1_PdEviT_T9_T10_S3_lS5_S3_lS4_T11_S3_li,comdat
.Lfunc_end187:
	.size	_ZL29rocblas_internal_gemmt_kernelIlLi16ELi32ELi8ELc67ELc84ELc85ELb0ELb0EdPKdS1_PdEviT_T9_T10_S3_lS5_S3_lS4_T11_S3_li, .Lfunc_end187-_ZL29rocblas_internal_gemmt_kernelIlLi16ELi32ELi8ELc67ELc84ELc85ELb0ELb0EdPKdS1_PdEviT_T9_T10_S3_lS5_S3_lS4_T11_S3_li
                                        ; -- End function
	.set _ZL29rocblas_internal_gemmt_kernelIlLi16ELi32ELi8ELc67ELc84ELc85ELb0ELb0EdPKdS1_PdEviT_T9_T10_S3_lS5_S3_lS4_T11_S3_li.num_vgpr, 46
	.set _ZL29rocblas_internal_gemmt_kernelIlLi16ELi32ELi8ELc67ELc84ELc85ELb0ELb0EdPKdS1_PdEviT_T9_T10_S3_lS5_S3_lS4_T11_S3_li.num_agpr, 0
	.set _ZL29rocblas_internal_gemmt_kernelIlLi16ELi32ELi8ELc67ELc84ELc85ELb0ELb0EdPKdS1_PdEviT_T9_T10_S3_lS5_S3_lS4_T11_S3_li.numbered_sgpr, 44
	.set _ZL29rocblas_internal_gemmt_kernelIlLi16ELi32ELi8ELc67ELc84ELc85ELb0ELb0EdPKdS1_PdEviT_T9_T10_S3_lS5_S3_lS4_T11_S3_li.num_named_barrier, 0
	.set _ZL29rocblas_internal_gemmt_kernelIlLi16ELi32ELi8ELc67ELc84ELc85ELb0ELb0EdPKdS1_PdEviT_T9_T10_S3_lS5_S3_lS4_T11_S3_li.private_seg_size, 0
	.set _ZL29rocblas_internal_gemmt_kernelIlLi16ELi32ELi8ELc67ELc84ELc85ELb0ELb0EdPKdS1_PdEviT_T9_T10_S3_lS5_S3_lS4_T11_S3_li.uses_vcc, 1
	.set _ZL29rocblas_internal_gemmt_kernelIlLi16ELi32ELi8ELc67ELc84ELc85ELb0ELb0EdPKdS1_PdEviT_T9_T10_S3_lS5_S3_lS4_T11_S3_li.uses_flat_scratch, 0
	.set _ZL29rocblas_internal_gemmt_kernelIlLi16ELi32ELi8ELc67ELc84ELc85ELb0ELb0EdPKdS1_PdEviT_T9_T10_S3_lS5_S3_lS4_T11_S3_li.has_dyn_sized_stack, 0
	.set _ZL29rocblas_internal_gemmt_kernelIlLi16ELi32ELi8ELc67ELc84ELc85ELb0ELb0EdPKdS1_PdEviT_T9_T10_S3_lS5_S3_lS4_T11_S3_li.has_recursion, 0
	.set _ZL29rocblas_internal_gemmt_kernelIlLi16ELi32ELi8ELc67ELc84ELc85ELb0ELb0EdPKdS1_PdEviT_T9_T10_S3_lS5_S3_lS4_T11_S3_li.has_indirect_call, 0
	.section	.AMDGPU.csdata,"",@progbits
; Kernel info:
; codeLenInByte = 1676
; TotalNumSgprs: 46
; NumVgprs: 46
; ScratchSize: 0
; MemoryBound: 0
; FloatMode: 240
; IeeeMode: 1
; LDSByteSize: 4096 bytes/workgroup (compile time only)
; SGPRBlocks: 0
; VGPRBlocks: 5
; NumSGPRsForWavesPerEU: 46
; NumVGPRsForWavesPerEU: 46
; Occupancy: 16
; WaveLimiterHint : 0
; COMPUTE_PGM_RSRC2:SCRATCH_EN: 0
; COMPUTE_PGM_RSRC2:USER_SGPR: 6
; COMPUTE_PGM_RSRC2:TRAP_HANDLER: 0
; COMPUTE_PGM_RSRC2:TGID_X_EN: 1
; COMPUTE_PGM_RSRC2:TGID_Y_EN: 1
; COMPUTE_PGM_RSRC2:TGID_Z_EN: 1
; COMPUTE_PGM_RSRC2:TIDIG_COMP_CNT: 1
	.section	.text._ZL29rocblas_internal_gemmt_kernelIlLi16ELi32ELi8ELc67ELc67ELc85ELb0ELb0EdPKdS1_PdEviT_T9_T10_S3_lS5_S3_lS4_T11_S3_li,"axG",@progbits,_ZL29rocblas_internal_gemmt_kernelIlLi16ELi32ELi8ELc67ELc67ELc85ELb0ELb0EdPKdS1_PdEviT_T9_T10_S3_lS5_S3_lS4_T11_S3_li,comdat
	.globl	_ZL29rocblas_internal_gemmt_kernelIlLi16ELi32ELi8ELc67ELc67ELc85ELb0ELb0EdPKdS1_PdEviT_T9_T10_S3_lS5_S3_lS4_T11_S3_li ; -- Begin function _ZL29rocblas_internal_gemmt_kernelIlLi16ELi32ELi8ELc67ELc67ELc85ELb0ELb0EdPKdS1_PdEviT_T9_T10_S3_lS5_S3_lS4_T11_S3_li
	.p2align	8
	.type	_ZL29rocblas_internal_gemmt_kernelIlLi16ELi32ELi8ELc67ELc67ELc85ELb0ELb0EdPKdS1_PdEviT_T9_T10_S3_lS5_S3_lS4_T11_S3_li,@function
_ZL29rocblas_internal_gemmt_kernelIlLi16ELi32ELi8ELc67ELc67ELc85ELb0ELb0EdPKdS1_PdEviT_T9_T10_S3_lS5_S3_lS4_T11_S3_li: ; @_ZL29rocblas_internal_gemmt_kernelIlLi16ELi32ELi8ELc67ELc67ELc85ELb0ELb0EdPKdS1_PdEviT_T9_T10_S3_lS5_S3_lS4_T11_S3_li
; %bb.0:
	s_load_dwordx8 s[36:43], s[4:5], 0x48
	s_waitcnt lgkmcnt(0)
	s_load_dwordx2 s[2:3], s[36:37], 0x0
	s_load_dwordx16 s[12:27], s[4:5], 0x8
	s_waitcnt lgkmcnt(0)
	v_cmp_neq_f64_e64 s0, s[2:3], 1.0
	s_load_dwordx2 s[10:11], s[14:15], 0x0
	s_and_b32 vcc_lo, exec_lo, s0
	s_cbranch_vccnz .LBB188_2
; %bb.1:
	s_waitcnt lgkmcnt(0)
	v_cmp_neq_f64_e64 s0, s[10:11], 0
	s_cmp_lg_u64 s[12:13], 0
	s_cselect_b32 s1, -1, 0
	s_and_b32 s0, s1, s0
.LBB188_2:
	s_andn2_b32 vcc_lo, exec_lo, s0
	s_cbranch_vccnz .LBB188_28
; %bb.3:
	s_waitcnt lgkmcnt(0)
	v_cmp_eq_f64_e64 s0, s[10:11], 0
	s_load_dword s9, s[4:5], 0x0
	v_cmp_lt_i64_e64 s1, s[12:13], 1
	v_mov_b32_e32 v10, 0
	v_mov_b32_e32 v6, 0
	;; [unrolled: 1-line block ×8, first 2 shown]
	s_lshl_b32 s6, s6, 5
	s_lshl_b32 s7, s7, 5
	s_or_b32 s0, s0, s1
	s_and_b32 vcc_lo, exec_lo, s0
	s_cbranch_vccnz .LBB188_12
; %bb.4:
	v_lshl_add_u32 v5, v1, 4, v0
	s_mul_i32 s1, s27, s8
	s_mul_hi_u32 s4, s26, s8
	s_mul_i32 s0, s26, s8
	s_add_i32 s1, s4, s1
	v_and_b32_e32 v6, 31, v5
	s_lshl_b64 s[0:1], s[0:1], 3
	s_mul_i32 s4, s21, s8
	s_add_u32 s5, s22, s0
	s_addc_u32 s14, s23, s1
	v_or_b32_e32 v7, s6, v6
	s_mul_hi_u32 s1, s20, s8
	s_mul_i32 s0, s20, s8
	s_add_i32 s1, s1, s4
	v_lshrrev_b32_e32 v9, 3, v5
	v_mul_lo_u32 v8, s19, v7
	v_mad_u64_u32 v[2:3], null, s18, v7, 0
	s_lshl_b64 s[0:1], s[0:1], 3
	v_add_nc_u32_e32 v4, s7, v9
	s_add_u32 s4, s16, s0
	s_addc_u32 s1, s17, s1
	s_ashr_i32 s0, s6, 31
	v_and_b32_e32 v16, 7, v0
	s_mul_i32 s0, s18, s0
	v_lshrrev_b32_e32 v17, 5, v5
	v_add3_u32 v3, v3, s0, v8
	v_lshlrev_b32_e32 v6, 3, v6
	v_ashrrev_i32_e32 v5, 31, v4
	v_lshlrev_b32_e32 v8, 3, v16
	s_waitcnt lgkmcnt(0)
	v_cmp_gt_i32_e64 s0, s9, v7
	v_lshlrev_b64 v[2:3], 3, v[2:3]
	v_lshl_or_b32 v18, v17, 8, v6
	v_lshlrev_b64 v[5:6], 3, v[4:5]
	v_lshl_or_b32 v7, v9, 6, v8
	v_mov_b32_e32 v10, 0
	v_lshlrev_b32_e32 v24, 3, v0
	v_add_co_u32 v19, vcc_lo, s4, v2
	v_add_co_ci_u32_e64 v20, null, s1, v3, vcc_lo
	v_add_co_u32 v22, vcc_lo, s5, v5
	v_cmp_gt_i32_e64 s1, s9, v4
	v_add_nc_u32_e32 v21, 0x800, v7
	v_add_co_ci_u32_e64 v23, null, s14, v6, vcc_lo
	v_mov_b32_e32 v2, 0
	v_mov_b32_e32 v4, 0
	;; [unrolled: 1-line block ×3, first 2 shown]
	v_lshl_add_u32 v25, v1, 6, 0x800
	v_mov_b32_e32 v3, 0
	v_mov_b32_e32 v5, 0
	;; [unrolled: 1-line block ×5, first 2 shown]
	s_mov_b64 s[4:5], 0
	s_branch .LBB188_6
.LBB188_5:                              ;   in Loop: Header=BB188_6 Depth=1
	s_or_b32 exec_lo, exec_lo, s14
	s_waitcnt vmcnt(0)
	ds_write_b64 v21, v[14:15]
	s_waitcnt lgkmcnt(0)
	s_barrier
	buffer_gl0_inv
	ds_read_b128 v[12:15], v25
	ds_read2_b64 v[26:29], v24 offset1:16
	ds_read_b128 v[30:33], v25 offset:1024
	ds_read_b128 v[34:37], v25 offset:16
	ds_read2_b64 v[38:41], v24 offset0:32 offset1:48
	ds_read_b128 v[42:45], v25 offset:1040
	s_add_u32 s4, s4, 8
	s_addc_u32 s5, s5, 0
	v_cmp_gt_i64_e64 s14, s[12:13], s[4:5]
	s_and_b32 vcc_lo, exec_lo, s14
	s_waitcnt lgkmcnt(4)
	v_fma_f64 v[10:11], v[26:27], v[12:13], v[10:11]
	v_fma_f64 v[6:7], v[28:29], v[12:13], v[6:7]
	s_waitcnt lgkmcnt(3)
	v_fma_f64 v[12:13], v[26:27], v[30:31], v[4:5]
	v_fma_f64 v[26:27], v[28:29], v[30:31], v[2:3]
	ds_read2_b64 v[2:5], v24 offset0:64 offset1:80
	s_waitcnt lgkmcnt(2)
	v_fma_f64 v[28:29], v[38:39], v[14:15], v[10:11]
	v_fma_f64 v[6:7], v[40:41], v[14:15], v[6:7]
	;; [unrolled: 1-line block ×4, first 2 shown]
	ds_read2_b64 v[10:13], v24 offset0:96 offset1:112
	s_waitcnt lgkmcnt(1)
	v_fma_f64 v[30:31], v[2:3], v[34:35], v[28:29]
	v_fma_f64 v[6:7], v[4:5], v[34:35], v[6:7]
	;; [unrolled: 1-line block ×4, first 2 shown]
	ds_read_b128 v[2:5], v25 offset:32
	ds_read2_b64 v[26:29], v24 offset0:128 offset1:144
	s_waitcnt lgkmcnt(2)
	v_fma_f64 v[42:43], v[10:11], v[36:37], v[30:31]
	v_fma_f64 v[6:7], v[12:13], v[36:37], v[6:7]
	;; [unrolled: 1-line block ×4, first 2 shown]
	ds_read_b128 v[10:13], v25 offset:1056
	ds_read_b128 v[30:33], v25 offset:48
	ds_read2_b64 v[34:37], v24 offset0:160 offset1:176
	ds_read_b128 v[38:41], v25 offset:1072
	s_waitcnt lgkmcnt(4)
	v_fma_f64 v[42:43], v[26:27], v[2:3], v[42:43]
	v_fma_f64 v[2:3], v[28:29], v[2:3], v[6:7]
	s_waitcnt lgkmcnt(3)
	v_fma_f64 v[6:7], v[26:27], v[10:11], v[14:15]
	v_fma_f64 v[10:11], v[28:29], v[10:11], v[44:45]
	ds_read2_b64 v[26:29], v24 offset0:192 offset1:208
	s_waitcnt lgkmcnt(2)
	v_fma_f64 v[42:43], v[34:35], v[4:5], v[42:43]
	v_fma_f64 v[2:3], v[36:37], v[4:5], v[2:3]
	;; [unrolled: 1-line block ×4, first 2 shown]
	ds_read2_b64 v[12:15], v24 offset0:224 offset1:240
	s_waitcnt lgkmcnt(0)
	s_barrier
	buffer_gl0_inv
	v_fma_f64 v[10:11], v[26:27], v[30:31], v[42:43]
	v_fma_f64 v[2:3], v[28:29], v[30:31], v[2:3]
	;; [unrolled: 1-line block ×8, first 2 shown]
	s_cbranch_vccz .LBB188_12
.LBB188_6:                              ; =>This Inner Loop Header: Depth=1
	v_mov_b32_e32 v12, 0
	v_mov_b32_e32 v13, 0
	s_and_saveexec_b32 s14, s0
	s_cbranch_execz .LBB188_10
; %bb.7:                                ;   in Loop: Header=BB188_6 Depth=1
	v_mov_b32_e32 v12, 0
	v_add_nc_u32_e32 v8, s4, v17
	v_mov_b32_e32 v13, 0
	s_mov_b32 s15, exec_lo
	v_cmpx_gt_u64_e64 s[12:13], v[8:9]
	s_cbranch_execz .LBB188_9
; %bb.8:                                ;   in Loop: Header=BB188_6 Depth=1
	v_lshlrev_b64 v[12:13], 3, v[8:9]
	v_add_co_u32 v12, vcc_lo, v19, v12
	v_add_co_ci_u32_e64 v13, null, v20, v13, vcc_lo
	global_load_dwordx2 v[12:13], v[12:13], off
.LBB188_9:                              ;   in Loop: Header=BB188_6 Depth=1
	s_or_b32 exec_lo, exec_lo, s15
.LBB188_10:                             ;   in Loop: Header=BB188_6 Depth=1
	s_or_b32 exec_lo, exec_lo, s14
	v_add_nc_u32_e32 v8, s4, v16
	v_mov_b32_e32 v14, 0
	v_mov_b32_e32 v15, 0
	s_waitcnt vmcnt(0)
	ds_write_b64 v18, v[12:13]
	v_cmp_gt_u64_e32 vcc_lo, s[12:13], v[8:9]
	s_and_b32 s15, vcc_lo, s1
	s_and_saveexec_b32 s14, s15
	s_cbranch_execz .LBB188_5
; %bb.11:                               ;   in Loop: Header=BB188_6 Depth=1
	v_mad_u64_u32 v[12:13], null, s24, v8, 0
	v_mad_u64_u32 v[13:14], null, s25, v8, v[13:14]
	v_lshlrev_b64 v[12:13], 3, v[12:13]
	v_add_co_u32 v12, vcc_lo, v22, v12
	v_add_co_ci_u32_e64 v13, null, v23, v13, vcc_lo
	global_load_dwordx2 v[14:15], v[12:13], off
	s_branch .LBB188_5
.LBB188_12:
	v_add_nc_u32_e32 v13, s7, v1
	v_add_nc_u32_e32 v0, s6, v0
	v_cmp_neq_f64_e64 s6, s[2:3], 0
	s_mul_i32 s1, s43, s8
	s_mul_hi_u32 s4, s42, s8
	v_ashrrev_i32_e32 v1, 31, v13
	v_mul_lo_u32 v12, s41, v13
	v_mad_u64_u32 v[8:9], null, s40, v13, 0
	s_mul_i32 s0, s42, s8
	v_mul_lo_u32 v1, s40, v1
	s_add_i32 s1, s4, s1
	v_cmp_le_i32_e32 vcc_lo, v0, v13
	s_lshl_b64 s[4:5], s[0:1], 3
	s_waitcnt lgkmcnt(0)
	v_cmp_gt_i32_e64 s0, s9, v13
	s_add_u32 s4, s38, s4
	s_addc_u32 s5, s39, s5
	v_add3_u32 v9, v9, v1, v12
	v_ashrrev_i32_e32 v1, 31, v0
	s_and_b32 s7, s0, vcc_lo
	v_lshlrev_b64 v[8:9], 3, v[8:9]
	v_cndmask_b32_e64 v12, 0, 1, s6
	v_add_co_u32 v14, s1, s4, v8
	v_add_co_ci_u32_e64 v15, null, s5, v9, s1
	s_and_saveexec_b32 s1, s7
	s_cbranch_execz .LBB188_16
; %bb.13:
	v_mul_f64 v[8:9], s[10:11], v[10:11]
	v_lshlrev_b64 v[10:11], 3, v[0:1]
	v_add_co_u32 v10, vcc_lo, v14, v10
	v_add_co_ci_u32_e64 v11, null, v15, v11, vcc_lo
	s_andn2_b32 vcc_lo, exec_lo, s6
	s_cbranch_vccnz .LBB188_15
; %bb.14:
	global_load_dwordx2 v[16:17], v[10:11], off
	s_waitcnt vmcnt(0)
	v_fma_f64 v[8:9], s[2:3], v[16:17], v[8:9]
.LBB188_15:
	global_store_dwordx2 v[10:11], v[8:9], off
.LBB188_16:
	s_or_b32 exec_lo, exec_lo, s1
	v_add_nc_u32_e32 v8, 16, v0
	v_cmp_le_i32_e32 vcc_lo, v8, v13
	v_ashrrev_i32_e32 v9, 31, v8
	s_and_b32 s0, s0, vcc_lo
	s_and_saveexec_b32 s1, s0
	s_cbranch_execz .LBB188_20
; %bb.17:
	v_mul_f64 v[6:7], s[10:11], v[6:7]
	v_lshlrev_b64 v[10:11], 3, v[8:9]
	v_cmp_ne_u32_e32 vcc_lo, 1, v12
	v_add_co_u32 v10, s0, v14, v10
	v_add_co_ci_u32_e64 v11, null, v15, v11, s0
	s_cbranch_vccnz .LBB188_19
; %bb.18:
	global_load_dwordx2 v[14:15], v[10:11], off
	s_waitcnt vmcnt(0)
	v_fma_f64 v[6:7], s[2:3], v[14:15], v[6:7]
.LBB188_19:
	global_store_dwordx2 v[10:11], v[6:7], off
.LBB188_20:
	s_or_b32 exec_lo, exec_lo, s1
	v_add_nc_u32_e32 v10, 16, v13
	v_ashrrev_i32_e32 v11, 31, v10
	v_mul_lo_u32 v13, s41, v10
	v_mad_u64_u32 v[6:7], null, s40, v10, 0
	v_cmp_gt_i32_e64 s0, s9, v10
	v_mul_lo_u32 v11, s40, v11
	v_cmp_le_i32_e32 vcc_lo, v0, v10
	v_add3_u32 v7, v7, v11, v13
	v_lshlrev_b64 v[6:7], 3, v[6:7]
	v_add_co_u32 v6, s1, s4, v6
	v_add_co_ci_u32_e64 v7, null, s5, v7, s1
	s_and_b32 s1, s0, vcc_lo
	s_and_saveexec_b32 s4, s1
	s_cbranch_execz .LBB188_24
; %bb.21:
	v_mul_f64 v[4:5], s[10:11], v[4:5]
	v_lshlrev_b64 v[0:1], 3, v[0:1]
	v_cmp_ne_u32_e32 vcc_lo, 1, v12
	v_add_co_u32 v0, s1, v6, v0
	v_add_co_ci_u32_e64 v1, null, v7, v1, s1
	s_cbranch_vccnz .LBB188_23
; %bb.22:
	global_load_dwordx2 v[13:14], v[0:1], off
	s_waitcnt vmcnt(0)
	v_fma_f64 v[4:5], s[2:3], v[13:14], v[4:5]
.LBB188_23:
	global_store_dwordx2 v[0:1], v[4:5], off
.LBB188_24:
	s_or_b32 exec_lo, exec_lo, s4
	v_cmp_le_i32_e32 vcc_lo, v8, v10
	s_and_b32 s0, s0, vcc_lo
	s_and_saveexec_b32 s1, s0
	s_cbranch_execz .LBB188_28
; %bb.25:
	v_mul_f64 v[0:1], s[10:11], v[2:3]
	v_lshlrev_b64 v[2:3], 3, v[8:9]
	v_cmp_ne_u32_e32 vcc_lo, 1, v12
	v_add_co_u32 v2, s0, v6, v2
	v_add_co_ci_u32_e64 v3, null, v7, v3, s0
	s_cbranch_vccnz .LBB188_27
; %bb.26:
	global_load_dwordx2 v[4:5], v[2:3], off
	s_waitcnt vmcnt(0)
	v_fma_f64 v[0:1], s[2:3], v[4:5], v[0:1]
.LBB188_27:
	global_store_dwordx2 v[2:3], v[0:1], off
.LBB188_28:
	s_endpgm
	.section	.rodata,"a",@progbits
	.p2align	6, 0x0
	.amdhsa_kernel _ZL29rocblas_internal_gemmt_kernelIlLi16ELi32ELi8ELc67ELc67ELc85ELb0ELb0EdPKdS1_PdEviT_T9_T10_S3_lS5_S3_lS4_T11_S3_li
		.amdhsa_group_segment_fixed_size 4096
		.amdhsa_private_segment_fixed_size 0
		.amdhsa_kernarg_size 108
		.amdhsa_user_sgpr_count 6
		.amdhsa_user_sgpr_private_segment_buffer 1
		.amdhsa_user_sgpr_dispatch_ptr 0
		.amdhsa_user_sgpr_queue_ptr 0
		.amdhsa_user_sgpr_kernarg_segment_ptr 1
		.amdhsa_user_sgpr_dispatch_id 0
		.amdhsa_user_sgpr_flat_scratch_init 0
		.amdhsa_user_sgpr_private_segment_size 0
		.amdhsa_wavefront_size32 1
		.amdhsa_uses_dynamic_stack 0
		.amdhsa_system_sgpr_private_segment_wavefront_offset 0
		.amdhsa_system_sgpr_workgroup_id_x 1
		.amdhsa_system_sgpr_workgroup_id_y 1
		.amdhsa_system_sgpr_workgroup_id_z 1
		.amdhsa_system_sgpr_workgroup_info 0
		.amdhsa_system_vgpr_workitem_id 1
		.amdhsa_next_free_vgpr 46
		.amdhsa_next_free_sgpr 44
		.amdhsa_reserve_vcc 1
		.amdhsa_reserve_flat_scratch 0
		.amdhsa_float_round_mode_32 0
		.amdhsa_float_round_mode_16_64 0
		.amdhsa_float_denorm_mode_32 3
		.amdhsa_float_denorm_mode_16_64 3
		.amdhsa_dx10_clamp 1
		.amdhsa_ieee_mode 1
		.amdhsa_fp16_overflow 0
		.amdhsa_workgroup_processor_mode 1
		.amdhsa_memory_ordered 1
		.amdhsa_forward_progress 1
		.amdhsa_shared_vgpr_count 0
		.amdhsa_exception_fp_ieee_invalid_op 0
		.amdhsa_exception_fp_denorm_src 0
		.amdhsa_exception_fp_ieee_div_zero 0
		.amdhsa_exception_fp_ieee_overflow 0
		.amdhsa_exception_fp_ieee_underflow 0
		.amdhsa_exception_fp_ieee_inexact 0
		.amdhsa_exception_int_div_zero 0
	.end_amdhsa_kernel
	.section	.text._ZL29rocblas_internal_gemmt_kernelIlLi16ELi32ELi8ELc67ELc67ELc85ELb0ELb0EdPKdS1_PdEviT_T9_T10_S3_lS5_S3_lS4_T11_S3_li,"axG",@progbits,_ZL29rocblas_internal_gemmt_kernelIlLi16ELi32ELi8ELc67ELc67ELc85ELb0ELb0EdPKdS1_PdEviT_T9_T10_S3_lS5_S3_lS4_T11_S3_li,comdat
.Lfunc_end188:
	.size	_ZL29rocblas_internal_gemmt_kernelIlLi16ELi32ELi8ELc67ELc67ELc85ELb0ELb0EdPKdS1_PdEviT_T9_T10_S3_lS5_S3_lS4_T11_S3_li, .Lfunc_end188-_ZL29rocblas_internal_gemmt_kernelIlLi16ELi32ELi8ELc67ELc67ELc85ELb0ELb0EdPKdS1_PdEviT_T9_T10_S3_lS5_S3_lS4_T11_S3_li
                                        ; -- End function
	.set _ZL29rocblas_internal_gemmt_kernelIlLi16ELi32ELi8ELc67ELc67ELc85ELb0ELb0EdPKdS1_PdEviT_T9_T10_S3_lS5_S3_lS4_T11_S3_li.num_vgpr, 46
	.set _ZL29rocblas_internal_gemmt_kernelIlLi16ELi32ELi8ELc67ELc67ELc85ELb0ELb0EdPKdS1_PdEviT_T9_T10_S3_lS5_S3_lS4_T11_S3_li.num_agpr, 0
	.set _ZL29rocblas_internal_gemmt_kernelIlLi16ELi32ELi8ELc67ELc67ELc85ELb0ELb0EdPKdS1_PdEviT_T9_T10_S3_lS5_S3_lS4_T11_S3_li.numbered_sgpr, 44
	.set _ZL29rocblas_internal_gemmt_kernelIlLi16ELi32ELi8ELc67ELc67ELc85ELb0ELb0EdPKdS1_PdEviT_T9_T10_S3_lS5_S3_lS4_T11_S3_li.num_named_barrier, 0
	.set _ZL29rocblas_internal_gemmt_kernelIlLi16ELi32ELi8ELc67ELc67ELc85ELb0ELb0EdPKdS1_PdEviT_T9_T10_S3_lS5_S3_lS4_T11_S3_li.private_seg_size, 0
	.set _ZL29rocblas_internal_gemmt_kernelIlLi16ELi32ELi8ELc67ELc67ELc85ELb0ELb0EdPKdS1_PdEviT_T9_T10_S3_lS5_S3_lS4_T11_S3_li.uses_vcc, 1
	.set _ZL29rocblas_internal_gemmt_kernelIlLi16ELi32ELi8ELc67ELc67ELc85ELb0ELb0EdPKdS1_PdEviT_T9_T10_S3_lS5_S3_lS4_T11_S3_li.uses_flat_scratch, 0
	.set _ZL29rocblas_internal_gemmt_kernelIlLi16ELi32ELi8ELc67ELc67ELc85ELb0ELb0EdPKdS1_PdEviT_T9_T10_S3_lS5_S3_lS4_T11_S3_li.has_dyn_sized_stack, 0
	.set _ZL29rocblas_internal_gemmt_kernelIlLi16ELi32ELi8ELc67ELc67ELc85ELb0ELb0EdPKdS1_PdEviT_T9_T10_S3_lS5_S3_lS4_T11_S3_li.has_recursion, 0
	.set _ZL29rocblas_internal_gemmt_kernelIlLi16ELi32ELi8ELc67ELc67ELc85ELb0ELb0EdPKdS1_PdEviT_T9_T10_S3_lS5_S3_lS4_T11_S3_li.has_indirect_call, 0
	.section	.AMDGPU.csdata,"",@progbits
; Kernel info:
; codeLenInByte = 1676
; TotalNumSgprs: 46
; NumVgprs: 46
; ScratchSize: 0
; MemoryBound: 0
; FloatMode: 240
; IeeeMode: 1
; LDSByteSize: 4096 bytes/workgroup (compile time only)
; SGPRBlocks: 0
; VGPRBlocks: 5
; NumSGPRsForWavesPerEU: 46
; NumVGPRsForWavesPerEU: 46
; Occupancy: 16
; WaveLimiterHint : 0
; COMPUTE_PGM_RSRC2:SCRATCH_EN: 0
; COMPUTE_PGM_RSRC2:USER_SGPR: 6
; COMPUTE_PGM_RSRC2:TRAP_HANDLER: 0
; COMPUTE_PGM_RSRC2:TGID_X_EN: 1
; COMPUTE_PGM_RSRC2:TGID_Y_EN: 1
; COMPUTE_PGM_RSRC2:TGID_Z_EN: 1
; COMPUTE_PGM_RSRC2:TIDIG_COMP_CNT: 1
	.section	.text._ZL29rocblas_internal_gemmt_kernelIlLi16ELi32ELi8ELc78ELc78ELc76ELb0ELb0EdPKdS1_PdEviT_T9_T10_S3_lS5_S3_lS4_T11_S3_li,"axG",@progbits,_ZL29rocblas_internal_gemmt_kernelIlLi16ELi32ELi8ELc78ELc78ELc76ELb0ELb0EdPKdS1_PdEviT_T9_T10_S3_lS5_S3_lS4_T11_S3_li,comdat
	.globl	_ZL29rocblas_internal_gemmt_kernelIlLi16ELi32ELi8ELc78ELc78ELc76ELb0ELb0EdPKdS1_PdEviT_T9_T10_S3_lS5_S3_lS4_T11_S3_li ; -- Begin function _ZL29rocblas_internal_gemmt_kernelIlLi16ELi32ELi8ELc78ELc78ELc76ELb0ELb0EdPKdS1_PdEviT_T9_T10_S3_lS5_S3_lS4_T11_S3_li
	.p2align	8
	.type	_ZL29rocblas_internal_gemmt_kernelIlLi16ELi32ELi8ELc78ELc78ELc76ELb0ELb0EdPKdS1_PdEviT_T9_T10_S3_lS5_S3_lS4_T11_S3_li,@function
_ZL29rocblas_internal_gemmt_kernelIlLi16ELi32ELi8ELc78ELc78ELc76ELb0ELb0EdPKdS1_PdEviT_T9_T10_S3_lS5_S3_lS4_T11_S3_li: ; @_ZL29rocblas_internal_gemmt_kernelIlLi16ELi32ELi8ELc78ELc78ELc76ELb0ELb0EdPKdS1_PdEviT_T9_T10_S3_lS5_S3_lS4_T11_S3_li
; %bb.0:
	s_load_dwordx8 s[36:43], s[4:5], 0x48
	s_waitcnt lgkmcnt(0)
	s_load_dwordx2 s[10:11], s[36:37], 0x0
	s_load_dwordx16 s[12:27], s[4:5], 0x8
	s_waitcnt lgkmcnt(0)
	v_cmp_neq_f64_e64 s0, s[10:11], 1.0
	s_load_dwordx2 s[14:15], s[14:15], 0x0
	s_and_b32 vcc_lo, exec_lo, s0
	s_cbranch_vccnz .LBB189_2
; %bb.1:
	s_waitcnt lgkmcnt(0)
	v_cmp_neq_f64_e64 s0, s[14:15], 0
	s_cmp_lg_u64 s[12:13], 0
	s_cselect_b32 s1, -1, 0
	s_and_b32 s0, s1, s0
.LBB189_2:
	s_andn2_b32 vcc_lo, exec_lo, s0
	s_cbranch_vccnz .LBB189_28
; %bb.3:
	s_waitcnt lgkmcnt(0)
	v_cmp_eq_f64_e64 s0, s[14:15], 0
	s_load_dword s4, s[4:5], 0x0
	v_cmp_lt_i64_e64 s1, s[12:13], 1
	v_mov_b32_e32 v10, 0
	v_mov_b32_e32 v6, 0
	;; [unrolled: 1-line block ×8, first 2 shown]
	s_lshl_b32 s5, s6, 5
	s_lshl_b32 s6, s7, 5
	s_or_b32 s0, s0, s1
	s_and_b32 vcc_lo, exec_lo, s0
	s_cbranch_vccnz .LBB189_12
; %bb.4:
	v_lshl_add_u32 v3, v1, 4, v0
	s_mul_i32 s1, s27, s8
	s_mul_hi_u32 s2, s26, s8
	s_mul_i32 s0, s26, s8
	s_add_i32 s1, s2, s1
	v_lshrrev_b32_e32 v8, 3, v3
	v_and_b32_e32 v6, 31, v3
	s_lshl_b64 s[0:1], s[0:1], 3
	v_lshrrev_b32_e32 v17, 5, v3
	v_and_b32_e32 v16, 7, v0
	v_add_nc_u32_e32 v9, s6, v8
	v_or_b32_e32 v2, s5, v6
	s_mul_i32 s3, s21, s8
	s_mul_hi_u32 s7, s20, s8
	s_add_u32 s9, s22, s0
	v_ashrrev_i32_e32 v4, 31, v9
	v_mul_lo_u32 v7, s25, v9
	v_ashrrev_i32_e32 v3, 31, v2
	s_mul_i32 s2, s20, s8
	s_addc_u32 s20, s23, s1
	v_mul_lo_u32 v10, s24, v4
	v_mad_u64_u32 v[4:5], null, s24, v9, 0
	s_add_i32 s3, s7, s3
	v_lshlrev_b32_e32 v11, 3, v6
	s_lshl_b64 s[0:1], s[2:3], 3
	v_lshlrev_b32_e32 v12, 3, v16
	s_add_u32 s2, s16, s0
	s_waitcnt lgkmcnt(0)
	v_cmp_gt_i32_e64 s0, s4, v2
	v_add3_u32 v5, v5, v10, v7
	v_lshlrev_b64 v[6:7], 3, v[2:3]
	s_addc_u32 s1, s17, s1
	v_lshl_or_b32 v8, v8, 6, v12
	v_lshl_or_b32 v18, v17, 8, v11
	v_lshlrev_b64 v[2:3], 3, v[4:5]
	v_mov_b32_e32 v4, 0
	v_add_co_u32 v19, vcc_lo, s2, v6
	v_add_co_ci_u32_e64 v20, null, s1, v7, vcc_lo
	v_add_co_u32 v22, vcc_lo, s9, v2
	v_add_co_ci_u32_e64 v23, null, s20, v3, vcc_lo
	v_mov_b32_e32 v2, 0
	v_mov_b32_e32 v6, 0
	;; [unrolled: 1-line block ×3, first 2 shown]
	v_cmp_gt_i32_e64 s1, s4, v9
	v_add_nc_u32_e32 v21, 0x800, v8
	v_lshlrev_b32_e32 v24, 3, v0
	v_lshl_add_u32 v25, v1, 6, 0x800
	v_mov_b32_e32 v3, 0
	v_mov_b32_e32 v5, 0
	;; [unrolled: 1-line block ×5, first 2 shown]
	s_mov_b64 s[2:3], 0
	s_branch .LBB189_6
.LBB189_5:                              ;   in Loop: Header=BB189_6 Depth=1
	s_or_b32 exec_lo, exec_lo, s7
	s_waitcnt vmcnt(0)
	ds_write_b64 v21, v[14:15]
	s_waitcnt lgkmcnt(0)
	s_barrier
	buffer_gl0_inv
	ds_read_b128 v[12:15], v25
	ds_read2_b64 v[26:29], v24 offset1:16
	ds_read_b128 v[30:33], v25 offset:1024
	ds_read_b128 v[34:37], v25 offset:16
	ds_read2_b64 v[38:41], v24 offset0:32 offset1:48
	ds_read_b128 v[42:45], v25 offset:1040
	s_add_u32 s2, s2, 8
	s_addc_u32 s3, s3, 0
	v_cmp_gt_i64_e64 s7, s[12:13], s[2:3]
	s_and_b32 vcc_lo, exec_lo, s7
	s_waitcnt lgkmcnt(4)
	v_fma_f64 v[10:11], v[26:27], v[12:13], v[10:11]
	v_fma_f64 v[6:7], v[28:29], v[12:13], v[6:7]
	s_waitcnt lgkmcnt(3)
	v_fma_f64 v[12:13], v[26:27], v[30:31], v[4:5]
	v_fma_f64 v[26:27], v[28:29], v[30:31], v[2:3]
	ds_read2_b64 v[2:5], v24 offset0:64 offset1:80
	s_waitcnt lgkmcnt(2)
	v_fma_f64 v[28:29], v[38:39], v[14:15], v[10:11]
	v_fma_f64 v[6:7], v[40:41], v[14:15], v[6:7]
	;; [unrolled: 1-line block ×4, first 2 shown]
	ds_read2_b64 v[10:13], v24 offset0:96 offset1:112
	s_waitcnt lgkmcnt(1)
	v_fma_f64 v[30:31], v[2:3], v[34:35], v[28:29]
	v_fma_f64 v[6:7], v[4:5], v[34:35], v[6:7]
	;; [unrolled: 1-line block ×4, first 2 shown]
	ds_read_b128 v[2:5], v25 offset:32
	ds_read2_b64 v[26:29], v24 offset0:128 offset1:144
	s_waitcnt lgkmcnt(2)
	v_fma_f64 v[42:43], v[10:11], v[36:37], v[30:31]
	v_fma_f64 v[6:7], v[12:13], v[36:37], v[6:7]
	;; [unrolled: 1-line block ×4, first 2 shown]
	ds_read_b128 v[10:13], v25 offset:1056
	ds_read_b128 v[30:33], v25 offset:48
	ds_read2_b64 v[34:37], v24 offset0:160 offset1:176
	ds_read_b128 v[38:41], v25 offset:1072
	s_waitcnt lgkmcnt(4)
	v_fma_f64 v[42:43], v[26:27], v[2:3], v[42:43]
	v_fma_f64 v[2:3], v[28:29], v[2:3], v[6:7]
	s_waitcnt lgkmcnt(3)
	v_fma_f64 v[6:7], v[26:27], v[10:11], v[14:15]
	v_fma_f64 v[10:11], v[28:29], v[10:11], v[44:45]
	ds_read2_b64 v[26:29], v24 offset0:192 offset1:208
	s_waitcnt lgkmcnt(2)
	v_fma_f64 v[42:43], v[34:35], v[4:5], v[42:43]
	v_fma_f64 v[2:3], v[36:37], v[4:5], v[2:3]
	;; [unrolled: 1-line block ×4, first 2 shown]
	ds_read2_b64 v[12:15], v24 offset0:224 offset1:240
	s_waitcnt lgkmcnt(0)
	s_barrier
	buffer_gl0_inv
	v_fma_f64 v[10:11], v[26:27], v[30:31], v[42:43]
	v_fma_f64 v[2:3], v[28:29], v[30:31], v[2:3]
	;; [unrolled: 1-line block ×8, first 2 shown]
	s_cbranch_vccz .LBB189_12
.LBB189_6:                              ; =>This Inner Loop Header: Depth=1
	v_mov_b32_e32 v12, 0
	v_mov_b32_e32 v13, 0
	s_and_saveexec_b32 s7, s0
	s_cbranch_execz .LBB189_10
; %bb.7:                                ;   in Loop: Header=BB189_6 Depth=1
	v_mov_b32_e32 v12, 0
	v_add_nc_u32_e32 v8, s2, v17
	v_mov_b32_e32 v13, 0
	s_mov_b32 s9, exec_lo
	v_cmpx_gt_u64_e64 s[12:13], v[8:9]
	s_cbranch_execz .LBB189_9
; %bb.8:                                ;   in Loop: Header=BB189_6 Depth=1
	v_mad_u64_u32 v[12:13], null, s18, v8, 0
	v_mad_u64_u32 v[13:14], null, s19, v8, v[13:14]
	v_lshlrev_b64 v[12:13], 3, v[12:13]
	v_add_co_u32 v12, vcc_lo, v19, v12
	v_add_co_ci_u32_e64 v13, null, v20, v13, vcc_lo
	global_load_dwordx2 v[12:13], v[12:13], off
.LBB189_9:                              ;   in Loop: Header=BB189_6 Depth=1
	s_or_b32 exec_lo, exec_lo, s9
.LBB189_10:                             ;   in Loop: Header=BB189_6 Depth=1
	s_or_b32 exec_lo, exec_lo, s7
	v_add_nc_u32_e32 v8, s2, v16
	v_mov_b32_e32 v14, 0
	v_mov_b32_e32 v15, 0
	s_waitcnt vmcnt(0)
	ds_write_b64 v18, v[12:13]
	v_cmp_gt_u64_e32 vcc_lo, s[12:13], v[8:9]
	s_and_b32 s9, vcc_lo, s1
	s_and_saveexec_b32 s7, s9
	s_cbranch_execz .LBB189_5
; %bb.11:                               ;   in Loop: Header=BB189_6 Depth=1
	v_lshlrev_b64 v[12:13], 3, v[8:9]
	v_add_co_u32 v12, vcc_lo, v22, v12
	v_add_co_ci_u32_e64 v13, null, v23, v13, vcc_lo
	global_load_dwordx2 v[14:15], v[12:13], off
	s_branch .LBB189_5
.LBB189_12:
	v_add_nc_u32_e32 v13, s6, v1
	s_mul_i32 s1, s43, s8
	s_mul_hi_u32 s2, s42, s8
	s_mul_i32 s0, s42, s8
	s_add_i32 s1, s2, s1
	v_ashrrev_i32_e32 v1, 31, v13
	v_cmp_neq_f64_e64 s2, s[10:11], 0
	v_mul_lo_u32 v12, s41, v13
	v_mad_u64_u32 v[8:9], null, s40, v13, 0
	v_mul_lo_u32 v1, s40, v1
	v_add_nc_u32_e32 v0, s5, v0
	s_lshl_b64 s[6:7], s[0:1], 3
	s_add_u32 s3, s38, s6
	s_addc_u32 s5, s39, s7
	v_cmp_le_i32_e32 vcc_lo, v13, v0
	s_waitcnt lgkmcnt(0)
	v_cmp_gt_i32_e64 s0, s4, v0
	v_add3_u32 v9, v9, v1, v12
	v_ashrrev_i32_e32 v1, 31, v0
	s_and_b32 s6, vcc_lo, s0
	v_lshlrev_b64 v[8:9], 3, v[8:9]
	v_cndmask_b32_e64 v12, 0, 1, s2
	v_add_co_u32 v14, s1, s3, v8
	v_add_co_ci_u32_e64 v15, null, s5, v9, s1
	s_and_saveexec_b32 s1, s6
	s_cbranch_execz .LBB189_16
; %bb.13:
	v_mul_f64 v[8:9], s[14:15], v[10:11]
	v_lshlrev_b64 v[10:11], 3, v[0:1]
	v_add_co_u32 v10, vcc_lo, v14, v10
	v_add_co_ci_u32_e64 v11, null, v15, v11, vcc_lo
	s_andn2_b32 vcc_lo, exec_lo, s2
	s_cbranch_vccnz .LBB189_15
; %bb.14:
	global_load_dwordx2 v[16:17], v[10:11], off
	s_waitcnt vmcnt(0)
	v_fma_f64 v[8:9], s[10:11], v[16:17], v[8:9]
.LBB189_15:
	global_store_dwordx2 v[10:11], v[8:9], off
.LBB189_16:
	s_or_b32 exec_lo, exec_lo, s1
	v_add_nc_u32_e32 v8, 16, v0
	v_cmp_le_i32_e32 vcc_lo, v13, v8
	v_cmp_gt_i32_e64 s1, s4, v8
	v_ashrrev_i32_e32 v9, 31, v8
	s_and_b32 s2, vcc_lo, s1
	s_and_saveexec_b32 s4, s2
	s_cbranch_execz .LBB189_20
; %bb.17:
	v_mul_f64 v[6:7], s[14:15], v[6:7]
	v_lshlrev_b64 v[10:11], 3, v[8:9]
	v_cmp_ne_u32_e32 vcc_lo, 1, v12
	v_add_co_u32 v10, s2, v14, v10
	v_add_co_ci_u32_e64 v11, null, v15, v11, s2
	s_cbranch_vccnz .LBB189_19
; %bb.18:
	global_load_dwordx2 v[14:15], v[10:11], off
	s_waitcnt vmcnt(0)
	v_fma_f64 v[6:7], s[10:11], v[14:15], v[6:7]
.LBB189_19:
	global_store_dwordx2 v[10:11], v[6:7], off
.LBB189_20:
	s_or_b32 exec_lo, exec_lo, s4
	v_add_nc_u32_e32 v10, 16, v13
	v_ashrrev_i32_e32 v11, 31, v10
	v_mul_lo_u32 v13, s41, v10
	v_mad_u64_u32 v[6:7], null, s40, v10, 0
	v_cmp_le_i32_e32 vcc_lo, v10, v0
	v_mul_lo_u32 v11, s40, v11
	s_and_b32 s0, vcc_lo, s0
	v_add3_u32 v7, v7, v11, v13
	v_lshlrev_b64 v[6:7], 3, v[6:7]
	v_add_co_u32 v6, s2, s3, v6
	v_add_co_ci_u32_e64 v7, null, s5, v7, s2
	s_and_saveexec_b32 s2, s0
	s_cbranch_execz .LBB189_24
; %bb.21:
	v_mul_f64 v[4:5], s[14:15], v[4:5]
	v_lshlrev_b64 v[0:1], 3, v[0:1]
	v_cmp_ne_u32_e32 vcc_lo, 1, v12
	v_add_co_u32 v0, s0, v6, v0
	v_add_co_ci_u32_e64 v1, null, v7, v1, s0
	s_cbranch_vccnz .LBB189_23
; %bb.22:
	global_load_dwordx2 v[13:14], v[0:1], off
	s_waitcnt vmcnt(0)
	v_fma_f64 v[4:5], s[10:11], v[13:14], v[4:5]
.LBB189_23:
	global_store_dwordx2 v[0:1], v[4:5], off
.LBB189_24:
	s_or_b32 exec_lo, exec_lo, s2
	v_cmp_le_i32_e32 vcc_lo, v10, v8
	s_and_b32 s0, vcc_lo, s1
	s_and_saveexec_b32 s1, s0
	s_cbranch_execz .LBB189_28
; %bb.25:
	v_mul_f64 v[0:1], s[14:15], v[2:3]
	v_lshlrev_b64 v[2:3], 3, v[8:9]
	v_cmp_ne_u32_e32 vcc_lo, 1, v12
	v_add_co_u32 v2, s0, v6, v2
	v_add_co_ci_u32_e64 v3, null, v7, v3, s0
	s_cbranch_vccnz .LBB189_27
; %bb.26:
	global_load_dwordx2 v[4:5], v[2:3], off
	s_waitcnt vmcnt(0)
	v_fma_f64 v[0:1], s[10:11], v[4:5], v[0:1]
.LBB189_27:
	global_store_dwordx2 v[2:3], v[0:1], off
.LBB189_28:
	s_endpgm
	.section	.rodata,"a",@progbits
	.p2align	6, 0x0
	.amdhsa_kernel _ZL29rocblas_internal_gemmt_kernelIlLi16ELi32ELi8ELc78ELc78ELc76ELb0ELb0EdPKdS1_PdEviT_T9_T10_S3_lS5_S3_lS4_T11_S3_li
		.amdhsa_group_segment_fixed_size 4096
		.amdhsa_private_segment_fixed_size 0
		.amdhsa_kernarg_size 108
		.amdhsa_user_sgpr_count 6
		.amdhsa_user_sgpr_private_segment_buffer 1
		.amdhsa_user_sgpr_dispatch_ptr 0
		.amdhsa_user_sgpr_queue_ptr 0
		.amdhsa_user_sgpr_kernarg_segment_ptr 1
		.amdhsa_user_sgpr_dispatch_id 0
		.amdhsa_user_sgpr_flat_scratch_init 0
		.amdhsa_user_sgpr_private_segment_size 0
		.amdhsa_wavefront_size32 1
		.amdhsa_uses_dynamic_stack 0
		.amdhsa_system_sgpr_private_segment_wavefront_offset 0
		.amdhsa_system_sgpr_workgroup_id_x 1
		.amdhsa_system_sgpr_workgroup_id_y 1
		.amdhsa_system_sgpr_workgroup_id_z 1
		.amdhsa_system_sgpr_workgroup_info 0
		.amdhsa_system_vgpr_workitem_id 1
		.amdhsa_next_free_vgpr 46
		.amdhsa_next_free_sgpr 44
		.amdhsa_reserve_vcc 1
		.amdhsa_reserve_flat_scratch 0
		.amdhsa_float_round_mode_32 0
		.amdhsa_float_round_mode_16_64 0
		.amdhsa_float_denorm_mode_32 3
		.amdhsa_float_denorm_mode_16_64 3
		.amdhsa_dx10_clamp 1
		.amdhsa_ieee_mode 1
		.amdhsa_fp16_overflow 0
		.amdhsa_workgroup_processor_mode 1
		.amdhsa_memory_ordered 1
		.amdhsa_forward_progress 1
		.amdhsa_shared_vgpr_count 0
		.amdhsa_exception_fp_ieee_invalid_op 0
		.amdhsa_exception_fp_denorm_src 0
		.amdhsa_exception_fp_ieee_div_zero 0
		.amdhsa_exception_fp_ieee_overflow 0
		.amdhsa_exception_fp_ieee_underflow 0
		.amdhsa_exception_fp_ieee_inexact 0
		.amdhsa_exception_int_div_zero 0
	.end_amdhsa_kernel
	.section	.text._ZL29rocblas_internal_gemmt_kernelIlLi16ELi32ELi8ELc78ELc78ELc76ELb0ELb0EdPKdS1_PdEviT_T9_T10_S3_lS5_S3_lS4_T11_S3_li,"axG",@progbits,_ZL29rocblas_internal_gemmt_kernelIlLi16ELi32ELi8ELc78ELc78ELc76ELb0ELb0EdPKdS1_PdEviT_T9_T10_S3_lS5_S3_lS4_T11_S3_li,comdat
.Lfunc_end189:
	.size	_ZL29rocblas_internal_gemmt_kernelIlLi16ELi32ELi8ELc78ELc78ELc76ELb0ELb0EdPKdS1_PdEviT_T9_T10_S3_lS5_S3_lS4_T11_S3_li, .Lfunc_end189-_ZL29rocblas_internal_gemmt_kernelIlLi16ELi32ELi8ELc78ELc78ELc76ELb0ELb0EdPKdS1_PdEviT_T9_T10_S3_lS5_S3_lS4_T11_S3_li
                                        ; -- End function
	.set _ZL29rocblas_internal_gemmt_kernelIlLi16ELi32ELi8ELc78ELc78ELc76ELb0ELb0EdPKdS1_PdEviT_T9_T10_S3_lS5_S3_lS4_T11_S3_li.num_vgpr, 46
	.set _ZL29rocblas_internal_gemmt_kernelIlLi16ELi32ELi8ELc78ELc78ELc76ELb0ELb0EdPKdS1_PdEviT_T9_T10_S3_lS5_S3_lS4_T11_S3_li.num_agpr, 0
	.set _ZL29rocblas_internal_gemmt_kernelIlLi16ELi32ELi8ELc78ELc78ELc76ELb0ELb0EdPKdS1_PdEviT_T9_T10_S3_lS5_S3_lS4_T11_S3_li.numbered_sgpr, 44
	.set _ZL29rocblas_internal_gemmt_kernelIlLi16ELi32ELi8ELc78ELc78ELc76ELb0ELb0EdPKdS1_PdEviT_T9_T10_S3_lS5_S3_lS4_T11_S3_li.num_named_barrier, 0
	.set _ZL29rocblas_internal_gemmt_kernelIlLi16ELi32ELi8ELc78ELc78ELc76ELb0ELb0EdPKdS1_PdEviT_T9_T10_S3_lS5_S3_lS4_T11_S3_li.private_seg_size, 0
	.set _ZL29rocblas_internal_gemmt_kernelIlLi16ELi32ELi8ELc78ELc78ELc76ELb0ELb0EdPKdS1_PdEviT_T9_T10_S3_lS5_S3_lS4_T11_S3_li.uses_vcc, 1
	.set _ZL29rocblas_internal_gemmt_kernelIlLi16ELi32ELi8ELc78ELc78ELc76ELb0ELb0EdPKdS1_PdEviT_T9_T10_S3_lS5_S3_lS4_T11_S3_li.uses_flat_scratch, 0
	.set _ZL29rocblas_internal_gemmt_kernelIlLi16ELi32ELi8ELc78ELc78ELc76ELb0ELb0EdPKdS1_PdEviT_T9_T10_S3_lS5_S3_lS4_T11_S3_li.has_dyn_sized_stack, 0
	.set _ZL29rocblas_internal_gemmt_kernelIlLi16ELi32ELi8ELc78ELc78ELc76ELb0ELb0EdPKdS1_PdEviT_T9_T10_S3_lS5_S3_lS4_T11_S3_li.has_recursion, 0
	.set _ZL29rocblas_internal_gemmt_kernelIlLi16ELi32ELi8ELc78ELc78ELc76ELb0ELb0EdPKdS1_PdEviT_T9_T10_S3_lS5_S3_lS4_T11_S3_li.has_indirect_call, 0
	.section	.AMDGPU.csdata,"",@progbits
; Kernel info:
; codeLenInByte = 1680
; TotalNumSgprs: 46
; NumVgprs: 46
; ScratchSize: 0
; MemoryBound: 0
; FloatMode: 240
; IeeeMode: 1
; LDSByteSize: 4096 bytes/workgroup (compile time only)
; SGPRBlocks: 0
; VGPRBlocks: 5
; NumSGPRsForWavesPerEU: 46
; NumVGPRsForWavesPerEU: 46
; Occupancy: 16
; WaveLimiterHint : 0
; COMPUTE_PGM_RSRC2:SCRATCH_EN: 0
; COMPUTE_PGM_RSRC2:USER_SGPR: 6
; COMPUTE_PGM_RSRC2:TRAP_HANDLER: 0
; COMPUTE_PGM_RSRC2:TGID_X_EN: 1
; COMPUTE_PGM_RSRC2:TGID_Y_EN: 1
; COMPUTE_PGM_RSRC2:TGID_Z_EN: 1
; COMPUTE_PGM_RSRC2:TIDIG_COMP_CNT: 1
	.section	.text._ZL29rocblas_internal_gemmt_kernelIlLi16ELi32ELi8ELc78ELc84ELc76ELb0ELb0EdPKdS1_PdEviT_T9_T10_S3_lS5_S3_lS4_T11_S3_li,"axG",@progbits,_ZL29rocblas_internal_gemmt_kernelIlLi16ELi32ELi8ELc78ELc84ELc76ELb0ELb0EdPKdS1_PdEviT_T9_T10_S3_lS5_S3_lS4_T11_S3_li,comdat
	.globl	_ZL29rocblas_internal_gemmt_kernelIlLi16ELi32ELi8ELc78ELc84ELc76ELb0ELb0EdPKdS1_PdEviT_T9_T10_S3_lS5_S3_lS4_T11_S3_li ; -- Begin function _ZL29rocblas_internal_gemmt_kernelIlLi16ELi32ELi8ELc78ELc84ELc76ELb0ELb0EdPKdS1_PdEviT_T9_T10_S3_lS5_S3_lS4_T11_S3_li
	.p2align	8
	.type	_ZL29rocblas_internal_gemmt_kernelIlLi16ELi32ELi8ELc78ELc84ELc76ELb0ELb0EdPKdS1_PdEviT_T9_T10_S3_lS5_S3_lS4_T11_S3_li,@function
_ZL29rocblas_internal_gemmt_kernelIlLi16ELi32ELi8ELc78ELc84ELc76ELb0ELb0EdPKdS1_PdEviT_T9_T10_S3_lS5_S3_lS4_T11_S3_li: ; @_ZL29rocblas_internal_gemmt_kernelIlLi16ELi32ELi8ELc78ELc84ELc76ELb0ELb0EdPKdS1_PdEviT_T9_T10_S3_lS5_S3_lS4_T11_S3_li
; %bb.0:
	s_load_dwordx8 s[36:43], s[4:5], 0x48
	s_waitcnt lgkmcnt(0)
	s_load_dwordx2 s[10:11], s[36:37], 0x0
	s_load_dwordx16 s[12:27], s[4:5], 0x8
	s_waitcnt lgkmcnt(0)
	v_cmp_neq_f64_e64 s0, s[10:11], 1.0
	s_load_dwordx2 s[14:15], s[14:15], 0x0
	s_and_b32 vcc_lo, exec_lo, s0
	s_cbranch_vccnz .LBB190_2
; %bb.1:
	s_waitcnt lgkmcnt(0)
	v_cmp_neq_f64_e64 s0, s[14:15], 0
	s_cmp_lg_u64 s[12:13], 0
	s_cselect_b32 s1, -1, 0
	s_and_b32 s0, s1, s0
.LBB190_2:
	s_andn2_b32 vcc_lo, exec_lo, s0
	s_cbranch_vccnz .LBB190_28
; %bb.3:
	s_waitcnt lgkmcnt(0)
	v_cmp_eq_f64_e64 s0, s[14:15], 0
	s_load_dword s4, s[4:5], 0x0
	v_cmp_lt_i64_e64 s1, s[12:13], 1
	v_mov_b32_e32 v10, 0
	v_mov_b32_e32 v6, 0
	;; [unrolled: 1-line block ×8, first 2 shown]
	s_lshl_b32 s5, s6, 5
	s_lshl_b32 s6, s7, 5
	s_or_b32 s0, s0, s1
	s_and_b32 vcc_lo, exec_lo, s0
	s_cbranch_vccnz .LBB190_12
; %bb.4:
	v_lshl_add_u32 v3, v1, 4, v0
	s_mul_i32 s1, s27, s8
	s_mul_hi_u32 s2, s26, s8
	s_mul_i32 s0, s26, s8
	s_add_i32 s1, s2, s1
	v_and_b32_e32 v5, 31, v3
	v_lshrrev_b32_e32 v8, 3, v3
	s_lshl_b64 s[0:1], s[0:1], 3
	v_lshrrev_b32_e32 v17, 5, v3
	v_and_b32_e32 v16, 7, v0
	v_or_b32_e32 v2, s5, v5
	v_add_nc_u32_e32 v4, s6, v8
	s_add_u32 s2, s22, s0
	s_mul_i32 s0, s21, s8
	s_mul_hi_u32 s3, s20, s8
	v_ashrrev_i32_e32 v3, 31, v2
	v_lshlrev_b32_e32 v9, 3, v5
	v_ashrrev_i32_e32 v5, 31, v4
	s_addc_u32 s7, s23, s1
	s_add_i32 s1, s3, s0
	s_mul_i32 s0, s20, s8
	v_lshlrev_b64 v[6:7], 3, v[2:3]
	s_lshl_b64 s[0:1], s[0:1], 3
	v_lshlrev_b32_e32 v10, 3, v16
	s_add_u32 s3, s16, s0
	s_waitcnt lgkmcnt(0)
	v_cmp_gt_i32_e64 s0, s4, v2
	v_lshlrev_b64 v[2:3], 3, v[4:5]
	s_addc_u32 s1, s17, s1
	v_lshl_or_b32 v8, v8, 6, v10
	v_add_co_u32 v19, vcc_lo, s3, v6
	v_add_co_ci_u32_e64 v20, null, s1, v7, vcc_lo
	v_add_co_u32 v22, vcc_lo, s2, v2
	v_cmp_gt_i32_e64 s1, s4, v4
	v_add_co_ci_u32_e64 v23, null, s7, v3, vcc_lo
	v_mov_b32_e32 v2, 0
	v_mov_b32_e32 v4, 0
	;; [unrolled: 1-line block ×4, first 2 shown]
	v_lshl_or_b32 v18, v17, 8, v9
	v_add_nc_u32_e32 v21, 0x800, v8
	v_lshlrev_b32_e32 v24, 3, v0
	v_lshl_add_u32 v25, v1, 6, 0x800
	v_mov_b32_e32 v3, 0
	v_mov_b32_e32 v5, 0
	v_mov_b32_e32 v7, 0
	v_mov_b32_e32 v11, 0
	v_mov_b32_e32 v9, 0
	s_mov_b64 s[2:3], 0
	s_branch .LBB190_6
.LBB190_5:                              ;   in Loop: Header=BB190_6 Depth=1
	s_or_b32 exec_lo, exec_lo, s7
	s_waitcnt vmcnt(0)
	ds_write_b64 v21, v[14:15]
	s_waitcnt lgkmcnt(0)
	s_barrier
	buffer_gl0_inv
	ds_read_b128 v[12:15], v25
	ds_read2_b64 v[26:29], v24 offset1:16
	ds_read_b128 v[30:33], v25 offset:1024
	ds_read_b128 v[34:37], v25 offset:16
	ds_read2_b64 v[38:41], v24 offset0:32 offset1:48
	ds_read_b128 v[42:45], v25 offset:1040
	s_add_u32 s2, s2, 8
	s_addc_u32 s3, s3, 0
	v_cmp_gt_i64_e64 s7, s[12:13], s[2:3]
	s_and_b32 vcc_lo, exec_lo, s7
	s_waitcnt lgkmcnt(4)
	v_fma_f64 v[10:11], v[26:27], v[12:13], v[10:11]
	v_fma_f64 v[6:7], v[28:29], v[12:13], v[6:7]
	s_waitcnt lgkmcnt(3)
	v_fma_f64 v[12:13], v[26:27], v[30:31], v[4:5]
	v_fma_f64 v[26:27], v[28:29], v[30:31], v[2:3]
	ds_read2_b64 v[2:5], v24 offset0:64 offset1:80
	s_waitcnt lgkmcnt(2)
	v_fma_f64 v[28:29], v[38:39], v[14:15], v[10:11]
	v_fma_f64 v[6:7], v[40:41], v[14:15], v[6:7]
	;; [unrolled: 1-line block ×4, first 2 shown]
	ds_read2_b64 v[10:13], v24 offset0:96 offset1:112
	s_waitcnt lgkmcnt(1)
	v_fma_f64 v[30:31], v[2:3], v[34:35], v[28:29]
	v_fma_f64 v[6:7], v[4:5], v[34:35], v[6:7]
	;; [unrolled: 1-line block ×4, first 2 shown]
	ds_read_b128 v[2:5], v25 offset:32
	ds_read2_b64 v[26:29], v24 offset0:128 offset1:144
	s_waitcnt lgkmcnt(2)
	v_fma_f64 v[42:43], v[10:11], v[36:37], v[30:31]
	v_fma_f64 v[6:7], v[12:13], v[36:37], v[6:7]
	;; [unrolled: 1-line block ×4, first 2 shown]
	ds_read_b128 v[10:13], v25 offset:1056
	ds_read_b128 v[30:33], v25 offset:48
	ds_read2_b64 v[34:37], v24 offset0:160 offset1:176
	ds_read_b128 v[38:41], v25 offset:1072
	s_waitcnt lgkmcnt(4)
	v_fma_f64 v[42:43], v[26:27], v[2:3], v[42:43]
	v_fma_f64 v[2:3], v[28:29], v[2:3], v[6:7]
	s_waitcnt lgkmcnt(3)
	v_fma_f64 v[6:7], v[26:27], v[10:11], v[14:15]
	v_fma_f64 v[10:11], v[28:29], v[10:11], v[44:45]
	ds_read2_b64 v[26:29], v24 offset0:192 offset1:208
	s_waitcnt lgkmcnt(2)
	v_fma_f64 v[42:43], v[34:35], v[4:5], v[42:43]
	v_fma_f64 v[2:3], v[36:37], v[4:5], v[2:3]
	;; [unrolled: 1-line block ×4, first 2 shown]
	ds_read2_b64 v[12:15], v24 offset0:224 offset1:240
	s_waitcnt lgkmcnt(0)
	s_barrier
	buffer_gl0_inv
	v_fma_f64 v[10:11], v[26:27], v[30:31], v[42:43]
	v_fma_f64 v[2:3], v[28:29], v[30:31], v[2:3]
	;; [unrolled: 1-line block ×8, first 2 shown]
	s_cbranch_vccz .LBB190_12
.LBB190_6:                              ; =>This Inner Loop Header: Depth=1
	v_mov_b32_e32 v12, 0
	v_mov_b32_e32 v13, 0
	s_and_saveexec_b32 s7, s0
	s_cbranch_execz .LBB190_10
; %bb.7:                                ;   in Loop: Header=BB190_6 Depth=1
	v_mov_b32_e32 v12, 0
	v_add_nc_u32_e32 v8, s2, v17
	v_mov_b32_e32 v13, 0
	s_mov_b32 s9, exec_lo
	v_cmpx_gt_u64_e64 s[12:13], v[8:9]
	s_cbranch_execz .LBB190_9
; %bb.8:                                ;   in Loop: Header=BB190_6 Depth=1
	v_mad_u64_u32 v[12:13], null, s18, v8, 0
	v_mad_u64_u32 v[13:14], null, s19, v8, v[13:14]
	v_lshlrev_b64 v[12:13], 3, v[12:13]
	v_add_co_u32 v12, vcc_lo, v19, v12
	v_add_co_ci_u32_e64 v13, null, v20, v13, vcc_lo
	global_load_dwordx2 v[12:13], v[12:13], off
.LBB190_9:                              ;   in Loop: Header=BB190_6 Depth=1
	s_or_b32 exec_lo, exec_lo, s9
.LBB190_10:                             ;   in Loop: Header=BB190_6 Depth=1
	s_or_b32 exec_lo, exec_lo, s7
	v_add_nc_u32_e32 v8, s2, v16
	v_mov_b32_e32 v14, 0
	v_mov_b32_e32 v15, 0
	s_waitcnt vmcnt(0)
	ds_write_b64 v18, v[12:13]
	v_cmp_gt_u64_e32 vcc_lo, s[12:13], v[8:9]
	s_and_b32 s9, vcc_lo, s1
	s_and_saveexec_b32 s7, s9
	s_cbranch_execz .LBB190_5
; %bb.11:                               ;   in Loop: Header=BB190_6 Depth=1
	v_mad_u64_u32 v[12:13], null, s24, v8, 0
	v_mad_u64_u32 v[13:14], null, s25, v8, v[13:14]
	v_lshlrev_b64 v[12:13], 3, v[12:13]
	v_add_co_u32 v12, vcc_lo, v22, v12
	v_add_co_ci_u32_e64 v13, null, v23, v13, vcc_lo
	global_load_dwordx2 v[14:15], v[12:13], off
	s_branch .LBB190_5
.LBB190_12:
	v_add_nc_u32_e32 v13, s6, v1
	s_mul_i32 s1, s43, s8
	s_mul_hi_u32 s2, s42, s8
	s_mul_i32 s0, s42, s8
	s_add_i32 s1, s2, s1
	v_ashrrev_i32_e32 v1, 31, v13
	v_cmp_neq_f64_e64 s2, s[10:11], 0
	v_mul_lo_u32 v12, s41, v13
	v_mad_u64_u32 v[8:9], null, s40, v13, 0
	v_mul_lo_u32 v1, s40, v1
	v_add_nc_u32_e32 v0, s5, v0
	s_lshl_b64 s[6:7], s[0:1], 3
	s_add_u32 s3, s38, s6
	s_addc_u32 s5, s39, s7
	v_cmp_le_i32_e32 vcc_lo, v13, v0
	s_waitcnt lgkmcnt(0)
	v_cmp_gt_i32_e64 s0, s4, v0
	v_add3_u32 v9, v9, v1, v12
	v_ashrrev_i32_e32 v1, 31, v0
	s_and_b32 s6, vcc_lo, s0
	v_lshlrev_b64 v[8:9], 3, v[8:9]
	v_cndmask_b32_e64 v12, 0, 1, s2
	v_add_co_u32 v14, s1, s3, v8
	v_add_co_ci_u32_e64 v15, null, s5, v9, s1
	s_and_saveexec_b32 s1, s6
	s_cbranch_execz .LBB190_16
; %bb.13:
	v_mul_f64 v[8:9], s[14:15], v[10:11]
	v_lshlrev_b64 v[10:11], 3, v[0:1]
	v_add_co_u32 v10, vcc_lo, v14, v10
	v_add_co_ci_u32_e64 v11, null, v15, v11, vcc_lo
	s_andn2_b32 vcc_lo, exec_lo, s2
	s_cbranch_vccnz .LBB190_15
; %bb.14:
	global_load_dwordx2 v[16:17], v[10:11], off
	s_waitcnt vmcnt(0)
	v_fma_f64 v[8:9], s[10:11], v[16:17], v[8:9]
.LBB190_15:
	global_store_dwordx2 v[10:11], v[8:9], off
.LBB190_16:
	s_or_b32 exec_lo, exec_lo, s1
	v_add_nc_u32_e32 v8, 16, v0
	v_cmp_le_i32_e32 vcc_lo, v13, v8
	v_cmp_gt_i32_e64 s1, s4, v8
	v_ashrrev_i32_e32 v9, 31, v8
	s_and_b32 s2, vcc_lo, s1
	s_and_saveexec_b32 s4, s2
	s_cbranch_execz .LBB190_20
; %bb.17:
	v_mul_f64 v[6:7], s[14:15], v[6:7]
	v_lshlrev_b64 v[10:11], 3, v[8:9]
	v_cmp_ne_u32_e32 vcc_lo, 1, v12
	v_add_co_u32 v10, s2, v14, v10
	v_add_co_ci_u32_e64 v11, null, v15, v11, s2
	s_cbranch_vccnz .LBB190_19
; %bb.18:
	global_load_dwordx2 v[14:15], v[10:11], off
	s_waitcnt vmcnt(0)
	v_fma_f64 v[6:7], s[10:11], v[14:15], v[6:7]
.LBB190_19:
	global_store_dwordx2 v[10:11], v[6:7], off
.LBB190_20:
	s_or_b32 exec_lo, exec_lo, s4
	v_add_nc_u32_e32 v10, 16, v13
	v_ashrrev_i32_e32 v11, 31, v10
	v_mul_lo_u32 v13, s41, v10
	v_mad_u64_u32 v[6:7], null, s40, v10, 0
	v_cmp_le_i32_e32 vcc_lo, v10, v0
	v_mul_lo_u32 v11, s40, v11
	s_and_b32 s0, vcc_lo, s0
	v_add3_u32 v7, v7, v11, v13
	v_lshlrev_b64 v[6:7], 3, v[6:7]
	v_add_co_u32 v6, s2, s3, v6
	v_add_co_ci_u32_e64 v7, null, s5, v7, s2
	s_and_saveexec_b32 s2, s0
	s_cbranch_execz .LBB190_24
; %bb.21:
	v_mul_f64 v[4:5], s[14:15], v[4:5]
	v_lshlrev_b64 v[0:1], 3, v[0:1]
	v_cmp_ne_u32_e32 vcc_lo, 1, v12
	v_add_co_u32 v0, s0, v6, v0
	v_add_co_ci_u32_e64 v1, null, v7, v1, s0
	s_cbranch_vccnz .LBB190_23
; %bb.22:
	global_load_dwordx2 v[13:14], v[0:1], off
	s_waitcnt vmcnt(0)
	v_fma_f64 v[4:5], s[10:11], v[13:14], v[4:5]
.LBB190_23:
	global_store_dwordx2 v[0:1], v[4:5], off
.LBB190_24:
	s_or_b32 exec_lo, exec_lo, s2
	v_cmp_le_i32_e32 vcc_lo, v10, v8
	s_and_b32 s0, vcc_lo, s1
	s_and_saveexec_b32 s1, s0
	s_cbranch_execz .LBB190_28
; %bb.25:
	v_mul_f64 v[0:1], s[14:15], v[2:3]
	v_lshlrev_b64 v[2:3], 3, v[8:9]
	v_cmp_ne_u32_e32 vcc_lo, 1, v12
	v_add_co_u32 v2, s0, v6, v2
	v_add_co_ci_u32_e64 v3, null, v7, v3, s0
	s_cbranch_vccnz .LBB190_27
; %bb.26:
	global_load_dwordx2 v[4:5], v[2:3], off
	s_waitcnt vmcnt(0)
	v_fma_f64 v[0:1], s[10:11], v[4:5], v[0:1]
.LBB190_27:
	global_store_dwordx2 v[2:3], v[0:1], off
.LBB190_28:
	s_endpgm
	.section	.rodata,"a",@progbits
	.p2align	6, 0x0
	.amdhsa_kernel _ZL29rocblas_internal_gemmt_kernelIlLi16ELi32ELi8ELc78ELc84ELc76ELb0ELb0EdPKdS1_PdEviT_T9_T10_S3_lS5_S3_lS4_T11_S3_li
		.amdhsa_group_segment_fixed_size 4096
		.amdhsa_private_segment_fixed_size 0
		.amdhsa_kernarg_size 108
		.amdhsa_user_sgpr_count 6
		.amdhsa_user_sgpr_private_segment_buffer 1
		.amdhsa_user_sgpr_dispatch_ptr 0
		.amdhsa_user_sgpr_queue_ptr 0
		.amdhsa_user_sgpr_kernarg_segment_ptr 1
		.amdhsa_user_sgpr_dispatch_id 0
		.amdhsa_user_sgpr_flat_scratch_init 0
		.amdhsa_user_sgpr_private_segment_size 0
		.amdhsa_wavefront_size32 1
		.amdhsa_uses_dynamic_stack 0
		.amdhsa_system_sgpr_private_segment_wavefront_offset 0
		.amdhsa_system_sgpr_workgroup_id_x 1
		.amdhsa_system_sgpr_workgroup_id_y 1
		.amdhsa_system_sgpr_workgroup_id_z 1
		.amdhsa_system_sgpr_workgroup_info 0
		.amdhsa_system_vgpr_workitem_id 1
		.amdhsa_next_free_vgpr 46
		.amdhsa_next_free_sgpr 44
		.amdhsa_reserve_vcc 1
		.amdhsa_reserve_flat_scratch 0
		.amdhsa_float_round_mode_32 0
		.amdhsa_float_round_mode_16_64 0
		.amdhsa_float_denorm_mode_32 3
		.amdhsa_float_denorm_mode_16_64 3
		.amdhsa_dx10_clamp 1
		.amdhsa_ieee_mode 1
		.amdhsa_fp16_overflow 0
		.amdhsa_workgroup_processor_mode 1
		.amdhsa_memory_ordered 1
		.amdhsa_forward_progress 1
		.amdhsa_shared_vgpr_count 0
		.amdhsa_exception_fp_ieee_invalid_op 0
		.amdhsa_exception_fp_denorm_src 0
		.amdhsa_exception_fp_ieee_div_zero 0
		.amdhsa_exception_fp_ieee_overflow 0
		.amdhsa_exception_fp_ieee_underflow 0
		.amdhsa_exception_fp_ieee_inexact 0
		.amdhsa_exception_int_div_zero 0
	.end_amdhsa_kernel
	.section	.text._ZL29rocblas_internal_gemmt_kernelIlLi16ELi32ELi8ELc78ELc84ELc76ELb0ELb0EdPKdS1_PdEviT_T9_T10_S3_lS5_S3_lS4_T11_S3_li,"axG",@progbits,_ZL29rocblas_internal_gemmt_kernelIlLi16ELi32ELi8ELc78ELc84ELc76ELb0ELb0EdPKdS1_PdEviT_T9_T10_S3_lS5_S3_lS4_T11_S3_li,comdat
.Lfunc_end190:
	.size	_ZL29rocblas_internal_gemmt_kernelIlLi16ELi32ELi8ELc78ELc84ELc76ELb0ELb0EdPKdS1_PdEviT_T9_T10_S3_lS5_S3_lS4_T11_S3_li, .Lfunc_end190-_ZL29rocblas_internal_gemmt_kernelIlLi16ELi32ELi8ELc78ELc84ELc76ELb0ELb0EdPKdS1_PdEviT_T9_T10_S3_lS5_S3_lS4_T11_S3_li
                                        ; -- End function
	.set _ZL29rocblas_internal_gemmt_kernelIlLi16ELi32ELi8ELc78ELc84ELc76ELb0ELb0EdPKdS1_PdEviT_T9_T10_S3_lS5_S3_lS4_T11_S3_li.num_vgpr, 46
	.set _ZL29rocblas_internal_gemmt_kernelIlLi16ELi32ELi8ELc78ELc84ELc76ELb0ELb0EdPKdS1_PdEviT_T9_T10_S3_lS5_S3_lS4_T11_S3_li.num_agpr, 0
	.set _ZL29rocblas_internal_gemmt_kernelIlLi16ELi32ELi8ELc78ELc84ELc76ELb0ELb0EdPKdS1_PdEviT_T9_T10_S3_lS5_S3_lS4_T11_S3_li.numbered_sgpr, 44
	.set _ZL29rocblas_internal_gemmt_kernelIlLi16ELi32ELi8ELc78ELc84ELc76ELb0ELb0EdPKdS1_PdEviT_T9_T10_S3_lS5_S3_lS4_T11_S3_li.num_named_barrier, 0
	.set _ZL29rocblas_internal_gemmt_kernelIlLi16ELi32ELi8ELc78ELc84ELc76ELb0ELb0EdPKdS1_PdEviT_T9_T10_S3_lS5_S3_lS4_T11_S3_li.private_seg_size, 0
	.set _ZL29rocblas_internal_gemmt_kernelIlLi16ELi32ELi8ELc78ELc84ELc76ELb0ELb0EdPKdS1_PdEviT_T9_T10_S3_lS5_S3_lS4_T11_S3_li.uses_vcc, 1
	.set _ZL29rocblas_internal_gemmt_kernelIlLi16ELi32ELi8ELc78ELc84ELc76ELb0ELb0EdPKdS1_PdEviT_T9_T10_S3_lS5_S3_lS4_T11_S3_li.uses_flat_scratch, 0
	.set _ZL29rocblas_internal_gemmt_kernelIlLi16ELi32ELi8ELc78ELc84ELc76ELb0ELb0EdPKdS1_PdEviT_T9_T10_S3_lS5_S3_lS4_T11_S3_li.has_dyn_sized_stack, 0
	.set _ZL29rocblas_internal_gemmt_kernelIlLi16ELi32ELi8ELc78ELc84ELc76ELb0ELb0EdPKdS1_PdEviT_T9_T10_S3_lS5_S3_lS4_T11_S3_li.has_recursion, 0
	.set _ZL29rocblas_internal_gemmt_kernelIlLi16ELi32ELi8ELc78ELc84ELc76ELb0ELb0EdPKdS1_PdEviT_T9_T10_S3_lS5_S3_lS4_T11_S3_li.has_indirect_call, 0
	.section	.AMDGPU.csdata,"",@progbits
; Kernel info:
; codeLenInByte = 1664
; TotalNumSgprs: 46
; NumVgprs: 46
; ScratchSize: 0
; MemoryBound: 0
; FloatMode: 240
; IeeeMode: 1
; LDSByteSize: 4096 bytes/workgroup (compile time only)
; SGPRBlocks: 0
; VGPRBlocks: 5
; NumSGPRsForWavesPerEU: 46
; NumVGPRsForWavesPerEU: 46
; Occupancy: 16
; WaveLimiterHint : 0
; COMPUTE_PGM_RSRC2:SCRATCH_EN: 0
; COMPUTE_PGM_RSRC2:USER_SGPR: 6
; COMPUTE_PGM_RSRC2:TRAP_HANDLER: 0
; COMPUTE_PGM_RSRC2:TGID_X_EN: 1
; COMPUTE_PGM_RSRC2:TGID_Y_EN: 1
; COMPUTE_PGM_RSRC2:TGID_Z_EN: 1
; COMPUTE_PGM_RSRC2:TIDIG_COMP_CNT: 1
	.section	.text._ZL29rocblas_internal_gemmt_kernelIlLi16ELi32ELi8ELc78ELc67ELc76ELb0ELb0EdPKdS1_PdEviT_T9_T10_S3_lS5_S3_lS4_T11_S3_li,"axG",@progbits,_ZL29rocblas_internal_gemmt_kernelIlLi16ELi32ELi8ELc78ELc67ELc76ELb0ELb0EdPKdS1_PdEviT_T9_T10_S3_lS5_S3_lS4_T11_S3_li,comdat
	.globl	_ZL29rocblas_internal_gemmt_kernelIlLi16ELi32ELi8ELc78ELc67ELc76ELb0ELb0EdPKdS1_PdEviT_T9_T10_S3_lS5_S3_lS4_T11_S3_li ; -- Begin function _ZL29rocblas_internal_gemmt_kernelIlLi16ELi32ELi8ELc78ELc67ELc76ELb0ELb0EdPKdS1_PdEviT_T9_T10_S3_lS5_S3_lS4_T11_S3_li
	.p2align	8
	.type	_ZL29rocblas_internal_gemmt_kernelIlLi16ELi32ELi8ELc78ELc67ELc76ELb0ELb0EdPKdS1_PdEviT_T9_T10_S3_lS5_S3_lS4_T11_S3_li,@function
_ZL29rocblas_internal_gemmt_kernelIlLi16ELi32ELi8ELc78ELc67ELc76ELb0ELb0EdPKdS1_PdEviT_T9_T10_S3_lS5_S3_lS4_T11_S3_li: ; @_ZL29rocblas_internal_gemmt_kernelIlLi16ELi32ELi8ELc78ELc67ELc76ELb0ELb0EdPKdS1_PdEviT_T9_T10_S3_lS5_S3_lS4_T11_S3_li
; %bb.0:
	s_load_dwordx8 s[36:43], s[4:5], 0x48
	s_waitcnt lgkmcnt(0)
	s_load_dwordx2 s[10:11], s[36:37], 0x0
	s_load_dwordx16 s[12:27], s[4:5], 0x8
	s_waitcnt lgkmcnt(0)
	v_cmp_neq_f64_e64 s0, s[10:11], 1.0
	s_load_dwordx2 s[14:15], s[14:15], 0x0
	s_and_b32 vcc_lo, exec_lo, s0
	s_cbranch_vccnz .LBB191_2
; %bb.1:
	s_waitcnt lgkmcnt(0)
	v_cmp_neq_f64_e64 s0, s[14:15], 0
	s_cmp_lg_u64 s[12:13], 0
	s_cselect_b32 s1, -1, 0
	s_and_b32 s0, s1, s0
.LBB191_2:
	s_andn2_b32 vcc_lo, exec_lo, s0
	s_cbranch_vccnz .LBB191_28
; %bb.3:
	s_waitcnt lgkmcnt(0)
	v_cmp_eq_f64_e64 s0, s[14:15], 0
	s_load_dword s4, s[4:5], 0x0
	v_cmp_lt_i64_e64 s1, s[12:13], 1
	v_mov_b32_e32 v10, 0
	v_mov_b32_e32 v6, 0
	;; [unrolled: 1-line block ×8, first 2 shown]
	s_lshl_b32 s5, s6, 5
	s_lshl_b32 s6, s7, 5
	s_or_b32 s0, s0, s1
	s_and_b32 vcc_lo, exec_lo, s0
	s_cbranch_vccnz .LBB191_12
; %bb.4:
	v_lshl_add_u32 v3, v1, 4, v0
	s_mul_i32 s1, s27, s8
	s_mul_hi_u32 s2, s26, s8
	s_mul_i32 s0, s26, s8
	s_add_i32 s1, s2, s1
	v_and_b32_e32 v5, 31, v3
	v_lshrrev_b32_e32 v8, 3, v3
	s_lshl_b64 s[0:1], s[0:1], 3
	v_lshrrev_b32_e32 v17, 5, v3
	v_and_b32_e32 v16, 7, v0
	v_or_b32_e32 v2, s5, v5
	v_add_nc_u32_e32 v4, s6, v8
	s_add_u32 s2, s22, s0
	s_mul_i32 s0, s21, s8
	s_mul_hi_u32 s3, s20, s8
	v_ashrrev_i32_e32 v3, 31, v2
	v_lshlrev_b32_e32 v9, 3, v5
	v_ashrrev_i32_e32 v5, 31, v4
	s_addc_u32 s7, s23, s1
	s_add_i32 s1, s3, s0
	s_mul_i32 s0, s20, s8
	v_lshlrev_b64 v[6:7], 3, v[2:3]
	s_lshl_b64 s[0:1], s[0:1], 3
	v_lshlrev_b32_e32 v10, 3, v16
	s_add_u32 s3, s16, s0
	s_waitcnt lgkmcnt(0)
	v_cmp_gt_i32_e64 s0, s4, v2
	v_lshlrev_b64 v[2:3], 3, v[4:5]
	s_addc_u32 s1, s17, s1
	v_lshl_or_b32 v8, v8, 6, v10
	v_add_co_u32 v19, vcc_lo, s3, v6
	v_add_co_ci_u32_e64 v20, null, s1, v7, vcc_lo
	v_add_co_u32 v22, vcc_lo, s2, v2
	v_cmp_gt_i32_e64 s1, s4, v4
	v_add_co_ci_u32_e64 v23, null, s7, v3, vcc_lo
	v_mov_b32_e32 v2, 0
	v_mov_b32_e32 v4, 0
	;; [unrolled: 1-line block ×4, first 2 shown]
	v_lshl_or_b32 v18, v17, 8, v9
	v_add_nc_u32_e32 v21, 0x800, v8
	v_lshlrev_b32_e32 v24, 3, v0
	v_lshl_add_u32 v25, v1, 6, 0x800
	v_mov_b32_e32 v3, 0
	v_mov_b32_e32 v5, 0
	;; [unrolled: 1-line block ×5, first 2 shown]
	s_mov_b64 s[2:3], 0
	s_branch .LBB191_6
.LBB191_5:                              ;   in Loop: Header=BB191_6 Depth=1
	s_or_b32 exec_lo, exec_lo, s7
	s_waitcnt vmcnt(0)
	ds_write_b64 v21, v[14:15]
	s_waitcnt lgkmcnt(0)
	s_barrier
	buffer_gl0_inv
	ds_read_b128 v[12:15], v25
	ds_read2_b64 v[26:29], v24 offset1:16
	ds_read_b128 v[30:33], v25 offset:1024
	ds_read_b128 v[34:37], v25 offset:16
	ds_read2_b64 v[38:41], v24 offset0:32 offset1:48
	ds_read_b128 v[42:45], v25 offset:1040
	s_add_u32 s2, s2, 8
	s_addc_u32 s3, s3, 0
	v_cmp_gt_i64_e64 s7, s[12:13], s[2:3]
	s_and_b32 vcc_lo, exec_lo, s7
	s_waitcnt lgkmcnt(4)
	v_fma_f64 v[10:11], v[26:27], v[12:13], v[10:11]
	v_fma_f64 v[6:7], v[28:29], v[12:13], v[6:7]
	s_waitcnt lgkmcnt(3)
	v_fma_f64 v[12:13], v[26:27], v[30:31], v[4:5]
	v_fma_f64 v[26:27], v[28:29], v[30:31], v[2:3]
	ds_read2_b64 v[2:5], v24 offset0:64 offset1:80
	s_waitcnt lgkmcnt(2)
	v_fma_f64 v[28:29], v[38:39], v[14:15], v[10:11]
	v_fma_f64 v[6:7], v[40:41], v[14:15], v[6:7]
	;; [unrolled: 1-line block ×4, first 2 shown]
	ds_read2_b64 v[10:13], v24 offset0:96 offset1:112
	s_waitcnt lgkmcnt(1)
	v_fma_f64 v[30:31], v[2:3], v[34:35], v[28:29]
	v_fma_f64 v[6:7], v[4:5], v[34:35], v[6:7]
	;; [unrolled: 1-line block ×4, first 2 shown]
	ds_read_b128 v[2:5], v25 offset:32
	ds_read2_b64 v[26:29], v24 offset0:128 offset1:144
	s_waitcnt lgkmcnt(2)
	v_fma_f64 v[42:43], v[10:11], v[36:37], v[30:31]
	v_fma_f64 v[6:7], v[12:13], v[36:37], v[6:7]
	;; [unrolled: 1-line block ×4, first 2 shown]
	ds_read_b128 v[10:13], v25 offset:1056
	ds_read_b128 v[30:33], v25 offset:48
	ds_read2_b64 v[34:37], v24 offset0:160 offset1:176
	ds_read_b128 v[38:41], v25 offset:1072
	s_waitcnt lgkmcnt(4)
	v_fma_f64 v[42:43], v[26:27], v[2:3], v[42:43]
	v_fma_f64 v[2:3], v[28:29], v[2:3], v[6:7]
	s_waitcnt lgkmcnt(3)
	v_fma_f64 v[6:7], v[26:27], v[10:11], v[14:15]
	v_fma_f64 v[10:11], v[28:29], v[10:11], v[44:45]
	ds_read2_b64 v[26:29], v24 offset0:192 offset1:208
	s_waitcnt lgkmcnt(2)
	v_fma_f64 v[42:43], v[34:35], v[4:5], v[42:43]
	v_fma_f64 v[2:3], v[36:37], v[4:5], v[2:3]
	;; [unrolled: 1-line block ×4, first 2 shown]
	ds_read2_b64 v[12:15], v24 offset0:224 offset1:240
	s_waitcnt lgkmcnt(0)
	s_barrier
	buffer_gl0_inv
	v_fma_f64 v[10:11], v[26:27], v[30:31], v[42:43]
	v_fma_f64 v[2:3], v[28:29], v[30:31], v[2:3]
	;; [unrolled: 1-line block ×8, first 2 shown]
	s_cbranch_vccz .LBB191_12
.LBB191_6:                              ; =>This Inner Loop Header: Depth=1
	v_mov_b32_e32 v12, 0
	v_mov_b32_e32 v13, 0
	s_and_saveexec_b32 s7, s0
	s_cbranch_execz .LBB191_10
; %bb.7:                                ;   in Loop: Header=BB191_6 Depth=1
	v_mov_b32_e32 v12, 0
	v_add_nc_u32_e32 v8, s2, v17
	v_mov_b32_e32 v13, 0
	s_mov_b32 s9, exec_lo
	v_cmpx_gt_u64_e64 s[12:13], v[8:9]
	s_cbranch_execz .LBB191_9
; %bb.8:                                ;   in Loop: Header=BB191_6 Depth=1
	v_mad_u64_u32 v[12:13], null, s18, v8, 0
	v_mad_u64_u32 v[13:14], null, s19, v8, v[13:14]
	v_lshlrev_b64 v[12:13], 3, v[12:13]
	v_add_co_u32 v12, vcc_lo, v19, v12
	v_add_co_ci_u32_e64 v13, null, v20, v13, vcc_lo
	global_load_dwordx2 v[12:13], v[12:13], off
.LBB191_9:                              ;   in Loop: Header=BB191_6 Depth=1
	s_or_b32 exec_lo, exec_lo, s9
.LBB191_10:                             ;   in Loop: Header=BB191_6 Depth=1
	s_or_b32 exec_lo, exec_lo, s7
	v_add_nc_u32_e32 v8, s2, v16
	v_mov_b32_e32 v14, 0
	v_mov_b32_e32 v15, 0
	s_waitcnt vmcnt(0)
	ds_write_b64 v18, v[12:13]
	v_cmp_gt_u64_e32 vcc_lo, s[12:13], v[8:9]
	s_and_b32 s9, vcc_lo, s1
	s_and_saveexec_b32 s7, s9
	s_cbranch_execz .LBB191_5
; %bb.11:                               ;   in Loop: Header=BB191_6 Depth=1
	v_mad_u64_u32 v[12:13], null, s24, v8, 0
	v_mad_u64_u32 v[13:14], null, s25, v8, v[13:14]
	v_lshlrev_b64 v[12:13], 3, v[12:13]
	v_add_co_u32 v12, vcc_lo, v22, v12
	v_add_co_ci_u32_e64 v13, null, v23, v13, vcc_lo
	global_load_dwordx2 v[14:15], v[12:13], off
	s_branch .LBB191_5
.LBB191_12:
	v_add_nc_u32_e32 v13, s6, v1
	s_mul_i32 s1, s43, s8
	s_mul_hi_u32 s2, s42, s8
	s_mul_i32 s0, s42, s8
	s_add_i32 s1, s2, s1
	v_ashrrev_i32_e32 v1, 31, v13
	v_cmp_neq_f64_e64 s2, s[10:11], 0
	v_mul_lo_u32 v12, s41, v13
	v_mad_u64_u32 v[8:9], null, s40, v13, 0
	v_mul_lo_u32 v1, s40, v1
	v_add_nc_u32_e32 v0, s5, v0
	s_lshl_b64 s[6:7], s[0:1], 3
	s_add_u32 s3, s38, s6
	s_addc_u32 s5, s39, s7
	v_cmp_le_i32_e32 vcc_lo, v13, v0
	s_waitcnt lgkmcnt(0)
	v_cmp_gt_i32_e64 s0, s4, v0
	v_add3_u32 v9, v9, v1, v12
	v_ashrrev_i32_e32 v1, 31, v0
	s_and_b32 s6, vcc_lo, s0
	v_lshlrev_b64 v[8:9], 3, v[8:9]
	v_cndmask_b32_e64 v12, 0, 1, s2
	v_add_co_u32 v14, s1, s3, v8
	v_add_co_ci_u32_e64 v15, null, s5, v9, s1
	s_and_saveexec_b32 s1, s6
	s_cbranch_execz .LBB191_16
; %bb.13:
	v_mul_f64 v[8:9], s[14:15], v[10:11]
	v_lshlrev_b64 v[10:11], 3, v[0:1]
	v_add_co_u32 v10, vcc_lo, v14, v10
	v_add_co_ci_u32_e64 v11, null, v15, v11, vcc_lo
	s_andn2_b32 vcc_lo, exec_lo, s2
	s_cbranch_vccnz .LBB191_15
; %bb.14:
	global_load_dwordx2 v[16:17], v[10:11], off
	s_waitcnt vmcnt(0)
	v_fma_f64 v[8:9], s[10:11], v[16:17], v[8:9]
.LBB191_15:
	global_store_dwordx2 v[10:11], v[8:9], off
.LBB191_16:
	s_or_b32 exec_lo, exec_lo, s1
	v_add_nc_u32_e32 v8, 16, v0
	v_cmp_le_i32_e32 vcc_lo, v13, v8
	v_cmp_gt_i32_e64 s1, s4, v8
	v_ashrrev_i32_e32 v9, 31, v8
	s_and_b32 s2, vcc_lo, s1
	s_and_saveexec_b32 s4, s2
	s_cbranch_execz .LBB191_20
; %bb.17:
	v_mul_f64 v[6:7], s[14:15], v[6:7]
	v_lshlrev_b64 v[10:11], 3, v[8:9]
	v_cmp_ne_u32_e32 vcc_lo, 1, v12
	v_add_co_u32 v10, s2, v14, v10
	v_add_co_ci_u32_e64 v11, null, v15, v11, s2
	s_cbranch_vccnz .LBB191_19
; %bb.18:
	global_load_dwordx2 v[14:15], v[10:11], off
	s_waitcnt vmcnt(0)
	v_fma_f64 v[6:7], s[10:11], v[14:15], v[6:7]
.LBB191_19:
	global_store_dwordx2 v[10:11], v[6:7], off
.LBB191_20:
	s_or_b32 exec_lo, exec_lo, s4
	v_add_nc_u32_e32 v10, 16, v13
	v_ashrrev_i32_e32 v11, 31, v10
	v_mul_lo_u32 v13, s41, v10
	v_mad_u64_u32 v[6:7], null, s40, v10, 0
	v_cmp_le_i32_e32 vcc_lo, v10, v0
	v_mul_lo_u32 v11, s40, v11
	s_and_b32 s0, vcc_lo, s0
	v_add3_u32 v7, v7, v11, v13
	v_lshlrev_b64 v[6:7], 3, v[6:7]
	v_add_co_u32 v6, s2, s3, v6
	v_add_co_ci_u32_e64 v7, null, s5, v7, s2
	s_and_saveexec_b32 s2, s0
	s_cbranch_execz .LBB191_24
; %bb.21:
	v_mul_f64 v[4:5], s[14:15], v[4:5]
	v_lshlrev_b64 v[0:1], 3, v[0:1]
	v_cmp_ne_u32_e32 vcc_lo, 1, v12
	v_add_co_u32 v0, s0, v6, v0
	v_add_co_ci_u32_e64 v1, null, v7, v1, s0
	s_cbranch_vccnz .LBB191_23
; %bb.22:
	global_load_dwordx2 v[13:14], v[0:1], off
	s_waitcnt vmcnt(0)
	v_fma_f64 v[4:5], s[10:11], v[13:14], v[4:5]
.LBB191_23:
	global_store_dwordx2 v[0:1], v[4:5], off
.LBB191_24:
	s_or_b32 exec_lo, exec_lo, s2
	v_cmp_le_i32_e32 vcc_lo, v10, v8
	s_and_b32 s0, vcc_lo, s1
	s_and_saveexec_b32 s1, s0
	s_cbranch_execz .LBB191_28
; %bb.25:
	v_mul_f64 v[0:1], s[14:15], v[2:3]
	v_lshlrev_b64 v[2:3], 3, v[8:9]
	v_cmp_ne_u32_e32 vcc_lo, 1, v12
	v_add_co_u32 v2, s0, v6, v2
	v_add_co_ci_u32_e64 v3, null, v7, v3, s0
	s_cbranch_vccnz .LBB191_27
; %bb.26:
	global_load_dwordx2 v[4:5], v[2:3], off
	s_waitcnt vmcnt(0)
	v_fma_f64 v[0:1], s[10:11], v[4:5], v[0:1]
.LBB191_27:
	global_store_dwordx2 v[2:3], v[0:1], off
.LBB191_28:
	s_endpgm
	.section	.rodata,"a",@progbits
	.p2align	6, 0x0
	.amdhsa_kernel _ZL29rocblas_internal_gemmt_kernelIlLi16ELi32ELi8ELc78ELc67ELc76ELb0ELb0EdPKdS1_PdEviT_T9_T10_S3_lS5_S3_lS4_T11_S3_li
		.amdhsa_group_segment_fixed_size 4096
		.amdhsa_private_segment_fixed_size 0
		.amdhsa_kernarg_size 108
		.amdhsa_user_sgpr_count 6
		.amdhsa_user_sgpr_private_segment_buffer 1
		.amdhsa_user_sgpr_dispatch_ptr 0
		.amdhsa_user_sgpr_queue_ptr 0
		.amdhsa_user_sgpr_kernarg_segment_ptr 1
		.amdhsa_user_sgpr_dispatch_id 0
		.amdhsa_user_sgpr_flat_scratch_init 0
		.amdhsa_user_sgpr_private_segment_size 0
		.amdhsa_wavefront_size32 1
		.amdhsa_uses_dynamic_stack 0
		.amdhsa_system_sgpr_private_segment_wavefront_offset 0
		.amdhsa_system_sgpr_workgroup_id_x 1
		.amdhsa_system_sgpr_workgroup_id_y 1
		.amdhsa_system_sgpr_workgroup_id_z 1
		.amdhsa_system_sgpr_workgroup_info 0
		.amdhsa_system_vgpr_workitem_id 1
		.amdhsa_next_free_vgpr 46
		.amdhsa_next_free_sgpr 44
		.amdhsa_reserve_vcc 1
		.amdhsa_reserve_flat_scratch 0
		.amdhsa_float_round_mode_32 0
		.amdhsa_float_round_mode_16_64 0
		.amdhsa_float_denorm_mode_32 3
		.amdhsa_float_denorm_mode_16_64 3
		.amdhsa_dx10_clamp 1
		.amdhsa_ieee_mode 1
		.amdhsa_fp16_overflow 0
		.amdhsa_workgroup_processor_mode 1
		.amdhsa_memory_ordered 1
		.amdhsa_forward_progress 1
		.amdhsa_shared_vgpr_count 0
		.amdhsa_exception_fp_ieee_invalid_op 0
		.amdhsa_exception_fp_denorm_src 0
		.amdhsa_exception_fp_ieee_div_zero 0
		.amdhsa_exception_fp_ieee_overflow 0
		.amdhsa_exception_fp_ieee_underflow 0
		.amdhsa_exception_fp_ieee_inexact 0
		.amdhsa_exception_int_div_zero 0
	.end_amdhsa_kernel
	.section	.text._ZL29rocblas_internal_gemmt_kernelIlLi16ELi32ELi8ELc78ELc67ELc76ELb0ELb0EdPKdS1_PdEviT_T9_T10_S3_lS5_S3_lS4_T11_S3_li,"axG",@progbits,_ZL29rocblas_internal_gemmt_kernelIlLi16ELi32ELi8ELc78ELc67ELc76ELb0ELb0EdPKdS1_PdEviT_T9_T10_S3_lS5_S3_lS4_T11_S3_li,comdat
.Lfunc_end191:
	.size	_ZL29rocblas_internal_gemmt_kernelIlLi16ELi32ELi8ELc78ELc67ELc76ELb0ELb0EdPKdS1_PdEviT_T9_T10_S3_lS5_S3_lS4_T11_S3_li, .Lfunc_end191-_ZL29rocblas_internal_gemmt_kernelIlLi16ELi32ELi8ELc78ELc67ELc76ELb0ELb0EdPKdS1_PdEviT_T9_T10_S3_lS5_S3_lS4_T11_S3_li
                                        ; -- End function
	.set _ZL29rocblas_internal_gemmt_kernelIlLi16ELi32ELi8ELc78ELc67ELc76ELb0ELb0EdPKdS1_PdEviT_T9_T10_S3_lS5_S3_lS4_T11_S3_li.num_vgpr, 46
	.set _ZL29rocblas_internal_gemmt_kernelIlLi16ELi32ELi8ELc78ELc67ELc76ELb0ELb0EdPKdS1_PdEviT_T9_T10_S3_lS5_S3_lS4_T11_S3_li.num_agpr, 0
	.set _ZL29rocblas_internal_gemmt_kernelIlLi16ELi32ELi8ELc78ELc67ELc76ELb0ELb0EdPKdS1_PdEviT_T9_T10_S3_lS5_S3_lS4_T11_S3_li.numbered_sgpr, 44
	.set _ZL29rocblas_internal_gemmt_kernelIlLi16ELi32ELi8ELc78ELc67ELc76ELb0ELb0EdPKdS1_PdEviT_T9_T10_S3_lS5_S3_lS4_T11_S3_li.num_named_barrier, 0
	.set _ZL29rocblas_internal_gemmt_kernelIlLi16ELi32ELi8ELc78ELc67ELc76ELb0ELb0EdPKdS1_PdEviT_T9_T10_S3_lS5_S3_lS4_T11_S3_li.private_seg_size, 0
	.set _ZL29rocblas_internal_gemmt_kernelIlLi16ELi32ELi8ELc78ELc67ELc76ELb0ELb0EdPKdS1_PdEviT_T9_T10_S3_lS5_S3_lS4_T11_S3_li.uses_vcc, 1
	.set _ZL29rocblas_internal_gemmt_kernelIlLi16ELi32ELi8ELc78ELc67ELc76ELb0ELb0EdPKdS1_PdEviT_T9_T10_S3_lS5_S3_lS4_T11_S3_li.uses_flat_scratch, 0
	.set _ZL29rocblas_internal_gemmt_kernelIlLi16ELi32ELi8ELc78ELc67ELc76ELb0ELb0EdPKdS1_PdEviT_T9_T10_S3_lS5_S3_lS4_T11_S3_li.has_dyn_sized_stack, 0
	.set _ZL29rocblas_internal_gemmt_kernelIlLi16ELi32ELi8ELc78ELc67ELc76ELb0ELb0EdPKdS1_PdEviT_T9_T10_S3_lS5_S3_lS4_T11_S3_li.has_recursion, 0
	.set _ZL29rocblas_internal_gemmt_kernelIlLi16ELi32ELi8ELc78ELc67ELc76ELb0ELb0EdPKdS1_PdEviT_T9_T10_S3_lS5_S3_lS4_T11_S3_li.has_indirect_call, 0
	.section	.AMDGPU.csdata,"",@progbits
; Kernel info:
; codeLenInByte = 1664
; TotalNumSgprs: 46
; NumVgprs: 46
; ScratchSize: 0
; MemoryBound: 0
; FloatMode: 240
; IeeeMode: 1
; LDSByteSize: 4096 bytes/workgroup (compile time only)
; SGPRBlocks: 0
; VGPRBlocks: 5
; NumSGPRsForWavesPerEU: 46
; NumVGPRsForWavesPerEU: 46
; Occupancy: 16
; WaveLimiterHint : 0
; COMPUTE_PGM_RSRC2:SCRATCH_EN: 0
; COMPUTE_PGM_RSRC2:USER_SGPR: 6
; COMPUTE_PGM_RSRC2:TRAP_HANDLER: 0
; COMPUTE_PGM_RSRC2:TGID_X_EN: 1
; COMPUTE_PGM_RSRC2:TGID_Y_EN: 1
; COMPUTE_PGM_RSRC2:TGID_Z_EN: 1
; COMPUTE_PGM_RSRC2:TIDIG_COMP_CNT: 1
	.section	.text._ZL29rocblas_internal_gemmt_kernelIlLi16ELi32ELi8ELc84ELc78ELc76ELb0ELb0EdPKdS1_PdEviT_T9_T10_S3_lS5_S3_lS4_T11_S3_li,"axG",@progbits,_ZL29rocblas_internal_gemmt_kernelIlLi16ELi32ELi8ELc84ELc78ELc76ELb0ELb0EdPKdS1_PdEviT_T9_T10_S3_lS5_S3_lS4_T11_S3_li,comdat
	.globl	_ZL29rocblas_internal_gemmt_kernelIlLi16ELi32ELi8ELc84ELc78ELc76ELb0ELb0EdPKdS1_PdEviT_T9_T10_S3_lS5_S3_lS4_T11_S3_li ; -- Begin function _ZL29rocblas_internal_gemmt_kernelIlLi16ELi32ELi8ELc84ELc78ELc76ELb0ELb0EdPKdS1_PdEviT_T9_T10_S3_lS5_S3_lS4_T11_S3_li
	.p2align	8
	.type	_ZL29rocblas_internal_gemmt_kernelIlLi16ELi32ELi8ELc84ELc78ELc76ELb0ELb0EdPKdS1_PdEviT_T9_T10_S3_lS5_S3_lS4_T11_S3_li,@function
_ZL29rocblas_internal_gemmt_kernelIlLi16ELi32ELi8ELc84ELc78ELc76ELb0ELb0EdPKdS1_PdEviT_T9_T10_S3_lS5_S3_lS4_T11_S3_li: ; @_ZL29rocblas_internal_gemmt_kernelIlLi16ELi32ELi8ELc84ELc78ELc76ELb0ELb0EdPKdS1_PdEviT_T9_T10_S3_lS5_S3_lS4_T11_S3_li
; %bb.0:
	s_load_dwordx8 s[36:43], s[4:5], 0x48
	s_waitcnt lgkmcnt(0)
	s_load_dwordx2 s[10:11], s[36:37], 0x0
	s_load_dwordx16 s[12:27], s[4:5], 0x8
	s_waitcnt lgkmcnt(0)
	v_cmp_neq_f64_e64 s0, s[10:11], 1.0
	s_load_dwordx2 s[14:15], s[14:15], 0x0
	s_and_b32 vcc_lo, exec_lo, s0
	s_cbranch_vccnz .LBB192_2
; %bb.1:
	s_waitcnt lgkmcnt(0)
	v_cmp_neq_f64_e64 s0, s[14:15], 0
	s_cmp_lg_u64 s[12:13], 0
	s_cselect_b32 s1, -1, 0
	s_and_b32 s0, s1, s0
.LBB192_2:
	s_andn2_b32 vcc_lo, exec_lo, s0
	s_cbranch_vccnz .LBB192_28
; %bb.3:
	s_waitcnt lgkmcnt(0)
	v_cmp_eq_f64_e64 s0, s[14:15], 0
	s_load_dword s4, s[4:5], 0x0
	v_cmp_lt_i64_e64 s1, s[12:13], 1
	v_mov_b32_e32 v10, 0
	v_mov_b32_e32 v6, 0
	;; [unrolled: 1-line block ×8, first 2 shown]
	s_lshl_b32 s5, s6, 5
	s_lshl_b32 s6, s7, 5
	s_or_b32 s0, s0, s1
	s_and_b32 vcc_lo, exec_lo, s0
	s_cbranch_vccnz .LBB192_12
; %bb.4:
	v_lshl_add_u32 v6, v1, 4, v0
	s_mul_i32 s1, s27, s8
	s_mul_hi_u32 s2, s26, s8
	s_mul_i32 s0, s26, s8
	s_add_i32 s1, s2, s1
	v_lshrrev_b32_e32 v7, 3, v6
	v_and_b32_e32 v8, 31, v6
	s_lshl_b64 s[0:1], s[0:1], 3
	s_mul_hi_u32 s3, s20, s8
	s_add_u32 s2, s22, s0
	v_add_nc_u32_e32 v9, s6, v7
	v_or_b32_e32 v10, s5, v8
	s_mul_i32 s0, s21, s8
	s_addc_u32 s7, s23, s1
	s_add_i32 s1, s3, s0
	v_ashrrev_i32_e32 v4, 31, v9
	s_mul_i32 s0, s20, s8
	v_mul_lo_u32 v11, s19, v10
	v_mad_u64_u32 v[2:3], null, s18, v10, 0
	s_lshl_b64 s[0:1], s[0:1], 3
	v_mul_lo_u32 v12, s24, v4
	v_mul_lo_u32 v13, s25, v9
	v_mad_u64_u32 v[4:5], null, s24, v9, 0
	s_add_u32 s3, s16, s0
	s_addc_u32 s1, s17, s1
	s_ashr_i32 s0, s5, 31
	v_and_b32_e32 v16, 7, v0
	s_mul_i32 s0, s18, s0
	v_lshrrev_b32_e32 v17, 5, v6
	v_add3_u32 v3, v3, s0, v11
	v_add3_u32 v5, v5, v12, v13
	v_lshlrev_b32_e32 v6, 3, v8
	v_lshlrev_b32_e32 v8, 3, v16
	s_waitcnt lgkmcnt(0)
	v_cmp_gt_i32_e64 s0, s4, v10
	v_lshlrev_b64 v[2:3], 3, v[2:3]
	v_lshlrev_b64 v[4:5], 3, v[4:5]
	v_lshl_or_b32 v18, v17, 8, v6
	v_lshl_or_b32 v6, v7, 6, v8
	v_mov_b32_e32 v10, 0
	v_lshlrev_b32_e32 v24, 3, v0
	v_add_co_u32 v19, vcc_lo, s3, v2
	v_add_co_ci_u32_e64 v20, null, s1, v3, vcc_lo
	v_add_co_u32 v22, vcc_lo, s2, v4
	v_add_nc_u32_e32 v21, 0x800, v6
	v_add_co_ci_u32_e64 v23, null, s7, v5, vcc_lo
	v_mov_b32_e32 v2, 0
	v_mov_b32_e32 v4, 0
	v_mov_b32_e32 v6, 0
	v_cmp_gt_i32_e64 s1, s4, v9
	v_lshl_add_u32 v25, v1, 6, 0x800
	v_mov_b32_e32 v3, 0
	v_mov_b32_e32 v5, 0
	;; [unrolled: 1-line block ×5, first 2 shown]
	s_mov_b64 s[2:3], 0
	s_branch .LBB192_6
.LBB192_5:                              ;   in Loop: Header=BB192_6 Depth=1
	s_or_b32 exec_lo, exec_lo, s7
	s_waitcnt vmcnt(0)
	ds_write_b64 v21, v[14:15]
	s_waitcnt lgkmcnt(0)
	s_barrier
	buffer_gl0_inv
	ds_read_b128 v[12:15], v25
	ds_read2_b64 v[26:29], v24 offset1:16
	ds_read_b128 v[30:33], v25 offset:1024
	ds_read_b128 v[34:37], v25 offset:16
	ds_read2_b64 v[38:41], v24 offset0:32 offset1:48
	ds_read_b128 v[42:45], v25 offset:1040
	s_add_u32 s2, s2, 8
	s_addc_u32 s3, s3, 0
	v_cmp_gt_i64_e64 s7, s[12:13], s[2:3]
	s_and_b32 vcc_lo, exec_lo, s7
	s_waitcnt lgkmcnt(4)
	v_fma_f64 v[10:11], v[26:27], v[12:13], v[10:11]
	v_fma_f64 v[6:7], v[28:29], v[12:13], v[6:7]
	s_waitcnt lgkmcnt(3)
	v_fma_f64 v[12:13], v[26:27], v[30:31], v[4:5]
	v_fma_f64 v[26:27], v[28:29], v[30:31], v[2:3]
	ds_read2_b64 v[2:5], v24 offset0:64 offset1:80
	s_waitcnt lgkmcnt(2)
	v_fma_f64 v[28:29], v[38:39], v[14:15], v[10:11]
	v_fma_f64 v[6:7], v[40:41], v[14:15], v[6:7]
	;; [unrolled: 1-line block ×4, first 2 shown]
	ds_read2_b64 v[10:13], v24 offset0:96 offset1:112
	s_waitcnt lgkmcnt(1)
	v_fma_f64 v[30:31], v[2:3], v[34:35], v[28:29]
	v_fma_f64 v[6:7], v[4:5], v[34:35], v[6:7]
	;; [unrolled: 1-line block ×4, first 2 shown]
	ds_read_b128 v[2:5], v25 offset:32
	ds_read2_b64 v[26:29], v24 offset0:128 offset1:144
	s_waitcnt lgkmcnt(2)
	v_fma_f64 v[42:43], v[10:11], v[36:37], v[30:31]
	v_fma_f64 v[6:7], v[12:13], v[36:37], v[6:7]
	;; [unrolled: 1-line block ×4, first 2 shown]
	ds_read_b128 v[10:13], v25 offset:1056
	ds_read_b128 v[30:33], v25 offset:48
	ds_read2_b64 v[34:37], v24 offset0:160 offset1:176
	ds_read_b128 v[38:41], v25 offset:1072
	s_waitcnt lgkmcnt(4)
	v_fma_f64 v[42:43], v[26:27], v[2:3], v[42:43]
	v_fma_f64 v[2:3], v[28:29], v[2:3], v[6:7]
	s_waitcnt lgkmcnt(3)
	v_fma_f64 v[6:7], v[26:27], v[10:11], v[14:15]
	v_fma_f64 v[10:11], v[28:29], v[10:11], v[44:45]
	ds_read2_b64 v[26:29], v24 offset0:192 offset1:208
	s_waitcnt lgkmcnt(2)
	v_fma_f64 v[42:43], v[34:35], v[4:5], v[42:43]
	v_fma_f64 v[2:3], v[36:37], v[4:5], v[2:3]
	;; [unrolled: 1-line block ×4, first 2 shown]
	ds_read2_b64 v[12:15], v24 offset0:224 offset1:240
	s_waitcnt lgkmcnt(0)
	s_barrier
	buffer_gl0_inv
	v_fma_f64 v[10:11], v[26:27], v[30:31], v[42:43]
	v_fma_f64 v[2:3], v[28:29], v[30:31], v[2:3]
	;; [unrolled: 1-line block ×8, first 2 shown]
	s_cbranch_vccz .LBB192_12
.LBB192_6:                              ; =>This Inner Loop Header: Depth=1
	v_mov_b32_e32 v12, 0
	v_mov_b32_e32 v13, 0
	s_and_saveexec_b32 s7, s0
	s_cbranch_execz .LBB192_10
; %bb.7:                                ;   in Loop: Header=BB192_6 Depth=1
	v_mov_b32_e32 v12, 0
	v_add_nc_u32_e32 v8, s2, v17
	v_mov_b32_e32 v13, 0
	s_mov_b32 s9, exec_lo
	v_cmpx_gt_u64_e64 s[12:13], v[8:9]
	s_cbranch_execz .LBB192_9
; %bb.8:                                ;   in Loop: Header=BB192_6 Depth=1
	v_lshlrev_b64 v[12:13], 3, v[8:9]
	v_add_co_u32 v12, vcc_lo, v19, v12
	v_add_co_ci_u32_e64 v13, null, v20, v13, vcc_lo
	global_load_dwordx2 v[12:13], v[12:13], off
.LBB192_9:                              ;   in Loop: Header=BB192_6 Depth=1
	s_or_b32 exec_lo, exec_lo, s9
.LBB192_10:                             ;   in Loop: Header=BB192_6 Depth=1
	s_or_b32 exec_lo, exec_lo, s7
	v_add_nc_u32_e32 v8, s2, v16
	v_mov_b32_e32 v14, 0
	v_mov_b32_e32 v15, 0
	s_waitcnt vmcnt(0)
	ds_write_b64 v18, v[12:13]
	v_cmp_gt_u64_e32 vcc_lo, s[12:13], v[8:9]
	s_and_b32 s9, vcc_lo, s1
	s_and_saveexec_b32 s7, s9
	s_cbranch_execz .LBB192_5
; %bb.11:                               ;   in Loop: Header=BB192_6 Depth=1
	v_lshlrev_b64 v[12:13], 3, v[8:9]
	v_add_co_u32 v12, vcc_lo, v22, v12
	v_add_co_ci_u32_e64 v13, null, v23, v13, vcc_lo
	global_load_dwordx2 v[14:15], v[12:13], off
	s_branch .LBB192_5
.LBB192_12:
	v_add_nc_u32_e32 v13, s6, v1
	s_mul_i32 s1, s43, s8
	s_mul_hi_u32 s2, s42, s8
	s_mul_i32 s0, s42, s8
	s_add_i32 s1, s2, s1
	v_ashrrev_i32_e32 v1, 31, v13
	v_cmp_neq_f64_e64 s2, s[10:11], 0
	v_mul_lo_u32 v12, s41, v13
	v_mad_u64_u32 v[8:9], null, s40, v13, 0
	v_mul_lo_u32 v1, s40, v1
	v_add_nc_u32_e32 v0, s5, v0
	s_lshl_b64 s[6:7], s[0:1], 3
	s_add_u32 s3, s38, s6
	s_addc_u32 s5, s39, s7
	v_cmp_le_i32_e32 vcc_lo, v13, v0
	s_waitcnt lgkmcnt(0)
	v_cmp_gt_i32_e64 s0, s4, v0
	v_add3_u32 v9, v9, v1, v12
	v_ashrrev_i32_e32 v1, 31, v0
	s_and_b32 s6, vcc_lo, s0
	v_lshlrev_b64 v[8:9], 3, v[8:9]
	v_cndmask_b32_e64 v12, 0, 1, s2
	v_add_co_u32 v14, s1, s3, v8
	v_add_co_ci_u32_e64 v15, null, s5, v9, s1
	s_and_saveexec_b32 s1, s6
	s_cbranch_execz .LBB192_16
; %bb.13:
	v_mul_f64 v[8:9], s[14:15], v[10:11]
	v_lshlrev_b64 v[10:11], 3, v[0:1]
	v_add_co_u32 v10, vcc_lo, v14, v10
	v_add_co_ci_u32_e64 v11, null, v15, v11, vcc_lo
	s_andn2_b32 vcc_lo, exec_lo, s2
	s_cbranch_vccnz .LBB192_15
; %bb.14:
	global_load_dwordx2 v[16:17], v[10:11], off
	s_waitcnt vmcnt(0)
	v_fma_f64 v[8:9], s[10:11], v[16:17], v[8:9]
.LBB192_15:
	global_store_dwordx2 v[10:11], v[8:9], off
.LBB192_16:
	s_or_b32 exec_lo, exec_lo, s1
	v_add_nc_u32_e32 v8, 16, v0
	v_cmp_le_i32_e32 vcc_lo, v13, v8
	v_cmp_gt_i32_e64 s1, s4, v8
	v_ashrrev_i32_e32 v9, 31, v8
	s_and_b32 s2, vcc_lo, s1
	s_and_saveexec_b32 s4, s2
	s_cbranch_execz .LBB192_20
; %bb.17:
	v_mul_f64 v[6:7], s[14:15], v[6:7]
	v_lshlrev_b64 v[10:11], 3, v[8:9]
	v_cmp_ne_u32_e32 vcc_lo, 1, v12
	v_add_co_u32 v10, s2, v14, v10
	v_add_co_ci_u32_e64 v11, null, v15, v11, s2
	s_cbranch_vccnz .LBB192_19
; %bb.18:
	global_load_dwordx2 v[14:15], v[10:11], off
	s_waitcnt vmcnt(0)
	v_fma_f64 v[6:7], s[10:11], v[14:15], v[6:7]
.LBB192_19:
	global_store_dwordx2 v[10:11], v[6:7], off
.LBB192_20:
	s_or_b32 exec_lo, exec_lo, s4
	v_add_nc_u32_e32 v10, 16, v13
	v_ashrrev_i32_e32 v11, 31, v10
	v_mul_lo_u32 v13, s41, v10
	v_mad_u64_u32 v[6:7], null, s40, v10, 0
	v_cmp_le_i32_e32 vcc_lo, v10, v0
	v_mul_lo_u32 v11, s40, v11
	s_and_b32 s0, vcc_lo, s0
	v_add3_u32 v7, v7, v11, v13
	v_lshlrev_b64 v[6:7], 3, v[6:7]
	v_add_co_u32 v6, s2, s3, v6
	v_add_co_ci_u32_e64 v7, null, s5, v7, s2
	s_and_saveexec_b32 s2, s0
	s_cbranch_execz .LBB192_24
; %bb.21:
	v_mul_f64 v[4:5], s[14:15], v[4:5]
	v_lshlrev_b64 v[0:1], 3, v[0:1]
	v_cmp_ne_u32_e32 vcc_lo, 1, v12
	v_add_co_u32 v0, s0, v6, v0
	v_add_co_ci_u32_e64 v1, null, v7, v1, s0
	s_cbranch_vccnz .LBB192_23
; %bb.22:
	global_load_dwordx2 v[13:14], v[0:1], off
	s_waitcnt vmcnt(0)
	v_fma_f64 v[4:5], s[10:11], v[13:14], v[4:5]
.LBB192_23:
	global_store_dwordx2 v[0:1], v[4:5], off
.LBB192_24:
	s_or_b32 exec_lo, exec_lo, s2
	v_cmp_le_i32_e32 vcc_lo, v10, v8
	s_and_b32 s0, vcc_lo, s1
	s_and_saveexec_b32 s1, s0
	s_cbranch_execz .LBB192_28
; %bb.25:
	v_mul_f64 v[0:1], s[14:15], v[2:3]
	v_lshlrev_b64 v[2:3], 3, v[8:9]
	v_cmp_ne_u32_e32 vcc_lo, 1, v12
	v_add_co_u32 v2, s0, v6, v2
	v_add_co_ci_u32_e64 v3, null, v7, v3, s0
	s_cbranch_vccnz .LBB192_27
; %bb.26:
	global_load_dwordx2 v[4:5], v[2:3], off
	s_waitcnt vmcnt(0)
	v_fma_f64 v[0:1], s[10:11], v[4:5], v[0:1]
.LBB192_27:
	global_store_dwordx2 v[2:3], v[0:1], off
.LBB192_28:
	s_endpgm
	.section	.rodata,"a",@progbits
	.p2align	6, 0x0
	.amdhsa_kernel _ZL29rocblas_internal_gemmt_kernelIlLi16ELi32ELi8ELc84ELc78ELc76ELb0ELb0EdPKdS1_PdEviT_T9_T10_S3_lS5_S3_lS4_T11_S3_li
		.amdhsa_group_segment_fixed_size 4096
		.amdhsa_private_segment_fixed_size 0
		.amdhsa_kernarg_size 108
		.amdhsa_user_sgpr_count 6
		.amdhsa_user_sgpr_private_segment_buffer 1
		.amdhsa_user_sgpr_dispatch_ptr 0
		.amdhsa_user_sgpr_queue_ptr 0
		.amdhsa_user_sgpr_kernarg_segment_ptr 1
		.amdhsa_user_sgpr_dispatch_id 0
		.amdhsa_user_sgpr_flat_scratch_init 0
		.amdhsa_user_sgpr_private_segment_size 0
		.amdhsa_wavefront_size32 1
		.amdhsa_uses_dynamic_stack 0
		.amdhsa_system_sgpr_private_segment_wavefront_offset 0
		.amdhsa_system_sgpr_workgroup_id_x 1
		.amdhsa_system_sgpr_workgroup_id_y 1
		.amdhsa_system_sgpr_workgroup_id_z 1
		.amdhsa_system_sgpr_workgroup_info 0
		.amdhsa_system_vgpr_workitem_id 1
		.amdhsa_next_free_vgpr 46
		.amdhsa_next_free_sgpr 44
		.amdhsa_reserve_vcc 1
		.amdhsa_reserve_flat_scratch 0
		.amdhsa_float_round_mode_32 0
		.amdhsa_float_round_mode_16_64 0
		.amdhsa_float_denorm_mode_32 3
		.amdhsa_float_denorm_mode_16_64 3
		.amdhsa_dx10_clamp 1
		.amdhsa_ieee_mode 1
		.amdhsa_fp16_overflow 0
		.amdhsa_workgroup_processor_mode 1
		.amdhsa_memory_ordered 1
		.amdhsa_forward_progress 1
		.amdhsa_shared_vgpr_count 0
		.amdhsa_exception_fp_ieee_invalid_op 0
		.amdhsa_exception_fp_denorm_src 0
		.amdhsa_exception_fp_ieee_div_zero 0
		.amdhsa_exception_fp_ieee_overflow 0
		.amdhsa_exception_fp_ieee_underflow 0
		.amdhsa_exception_fp_ieee_inexact 0
		.amdhsa_exception_int_div_zero 0
	.end_amdhsa_kernel
	.section	.text._ZL29rocblas_internal_gemmt_kernelIlLi16ELi32ELi8ELc84ELc78ELc76ELb0ELb0EdPKdS1_PdEviT_T9_T10_S3_lS5_S3_lS4_T11_S3_li,"axG",@progbits,_ZL29rocblas_internal_gemmt_kernelIlLi16ELi32ELi8ELc84ELc78ELc76ELb0ELb0EdPKdS1_PdEviT_T9_T10_S3_lS5_S3_lS4_T11_S3_li,comdat
.Lfunc_end192:
	.size	_ZL29rocblas_internal_gemmt_kernelIlLi16ELi32ELi8ELc84ELc78ELc76ELb0ELb0EdPKdS1_PdEviT_T9_T10_S3_lS5_S3_lS4_T11_S3_li, .Lfunc_end192-_ZL29rocblas_internal_gemmt_kernelIlLi16ELi32ELi8ELc84ELc78ELc76ELb0ELb0EdPKdS1_PdEviT_T9_T10_S3_lS5_S3_lS4_T11_S3_li
                                        ; -- End function
	.set _ZL29rocblas_internal_gemmt_kernelIlLi16ELi32ELi8ELc84ELc78ELc76ELb0ELb0EdPKdS1_PdEviT_T9_T10_S3_lS5_S3_lS4_T11_S3_li.num_vgpr, 46
	.set _ZL29rocblas_internal_gemmt_kernelIlLi16ELi32ELi8ELc84ELc78ELc76ELb0ELb0EdPKdS1_PdEviT_T9_T10_S3_lS5_S3_lS4_T11_S3_li.num_agpr, 0
	.set _ZL29rocblas_internal_gemmt_kernelIlLi16ELi32ELi8ELc84ELc78ELc76ELb0ELb0EdPKdS1_PdEviT_T9_T10_S3_lS5_S3_lS4_T11_S3_li.numbered_sgpr, 44
	.set _ZL29rocblas_internal_gemmt_kernelIlLi16ELi32ELi8ELc84ELc78ELc76ELb0ELb0EdPKdS1_PdEviT_T9_T10_S3_lS5_S3_lS4_T11_S3_li.num_named_barrier, 0
	.set _ZL29rocblas_internal_gemmt_kernelIlLi16ELi32ELi8ELc84ELc78ELc76ELb0ELb0EdPKdS1_PdEviT_T9_T10_S3_lS5_S3_lS4_T11_S3_li.private_seg_size, 0
	.set _ZL29rocblas_internal_gemmt_kernelIlLi16ELi32ELi8ELc84ELc78ELc76ELb0ELb0EdPKdS1_PdEviT_T9_T10_S3_lS5_S3_lS4_T11_S3_li.uses_vcc, 1
	.set _ZL29rocblas_internal_gemmt_kernelIlLi16ELi32ELi8ELc84ELc78ELc76ELb0ELb0EdPKdS1_PdEviT_T9_T10_S3_lS5_S3_lS4_T11_S3_li.uses_flat_scratch, 0
	.set _ZL29rocblas_internal_gemmt_kernelIlLi16ELi32ELi8ELc84ELc78ELc76ELb0ELb0EdPKdS1_PdEviT_T9_T10_S3_lS5_S3_lS4_T11_S3_li.has_dyn_sized_stack, 0
	.set _ZL29rocblas_internal_gemmt_kernelIlLi16ELi32ELi8ELc84ELc78ELc76ELb0ELb0EdPKdS1_PdEviT_T9_T10_S3_lS5_S3_lS4_T11_S3_li.has_recursion, 0
	.set _ZL29rocblas_internal_gemmt_kernelIlLi16ELi32ELi8ELc84ELc78ELc76ELb0ELb0EdPKdS1_PdEviT_T9_T10_S3_lS5_S3_lS4_T11_S3_li.has_indirect_call, 0
	.section	.AMDGPU.csdata,"",@progbits
; Kernel info:
; codeLenInByte = 1692
; TotalNumSgprs: 46
; NumVgprs: 46
; ScratchSize: 0
; MemoryBound: 0
; FloatMode: 240
; IeeeMode: 1
; LDSByteSize: 4096 bytes/workgroup (compile time only)
; SGPRBlocks: 0
; VGPRBlocks: 5
; NumSGPRsForWavesPerEU: 46
; NumVGPRsForWavesPerEU: 46
; Occupancy: 16
; WaveLimiterHint : 0
; COMPUTE_PGM_RSRC2:SCRATCH_EN: 0
; COMPUTE_PGM_RSRC2:USER_SGPR: 6
; COMPUTE_PGM_RSRC2:TRAP_HANDLER: 0
; COMPUTE_PGM_RSRC2:TGID_X_EN: 1
; COMPUTE_PGM_RSRC2:TGID_Y_EN: 1
; COMPUTE_PGM_RSRC2:TGID_Z_EN: 1
; COMPUTE_PGM_RSRC2:TIDIG_COMP_CNT: 1
	.section	.text._ZL29rocblas_internal_gemmt_kernelIlLi16ELi32ELi8ELc84ELc84ELc76ELb0ELb0EdPKdS1_PdEviT_T9_T10_S3_lS5_S3_lS4_T11_S3_li,"axG",@progbits,_ZL29rocblas_internal_gemmt_kernelIlLi16ELi32ELi8ELc84ELc84ELc76ELb0ELb0EdPKdS1_PdEviT_T9_T10_S3_lS5_S3_lS4_T11_S3_li,comdat
	.globl	_ZL29rocblas_internal_gemmt_kernelIlLi16ELi32ELi8ELc84ELc84ELc76ELb0ELb0EdPKdS1_PdEviT_T9_T10_S3_lS5_S3_lS4_T11_S3_li ; -- Begin function _ZL29rocblas_internal_gemmt_kernelIlLi16ELi32ELi8ELc84ELc84ELc76ELb0ELb0EdPKdS1_PdEviT_T9_T10_S3_lS5_S3_lS4_T11_S3_li
	.p2align	8
	.type	_ZL29rocblas_internal_gemmt_kernelIlLi16ELi32ELi8ELc84ELc84ELc76ELb0ELb0EdPKdS1_PdEviT_T9_T10_S3_lS5_S3_lS4_T11_S3_li,@function
_ZL29rocblas_internal_gemmt_kernelIlLi16ELi32ELi8ELc84ELc84ELc76ELb0ELb0EdPKdS1_PdEviT_T9_T10_S3_lS5_S3_lS4_T11_S3_li: ; @_ZL29rocblas_internal_gemmt_kernelIlLi16ELi32ELi8ELc84ELc84ELc76ELb0ELb0EdPKdS1_PdEviT_T9_T10_S3_lS5_S3_lS4_T11_S3_li
; %bb.0:
	s_load_dwordx8 s[36:43], s[4:5], 0x48
	s_waitcnt lgkmcnt(0)
	s_load_dwordx2 s[10:11], s[36:37], 0x0
	s_load_dwordx16 s[12:27], s[4:5], 0x8
	s_waitcnt lgkmcnt(0)
	v_cmp_neq_f64_e64 s0, s[10:11], 1.0
	s_load_dwordx2 s[14:15], s[14:15], 0x0
	s_and_b32 vcc_lo, exec_lo, s0
	s_cbranch_vccnz .LBB193_2
; %bb.1:
	s_waitcnt lgkmcnt(0)
	v_cmp_neq_f64_e64 s0, s[14:15], 0
	s_cmp_lg_u64 s[12:13], 0
	s_cselect_b32 s1, -1, 0
	s_and_b32 s0, s1, s0
.LBB193_2:
	s_andn2_b32 vcc_lo, exec_lo, s0
	s_cbranch_vccnz .LBB193_28
; %bb.3:
	s_waitcnt lgkmcnt(0)
	v_cmp_eq_f64_e64 s0, s[14:15], 0
	s_load_dword s4, s[4:5], 0x0
	v_cmp_lt_i64_e64 s1, s[12:13], 1
	v_mov_b32_e32 v10, 0
	v_mov_b32_e32 v6, 0
	;; [unrolled: 1-line block ×8, first 2 shown]
	s_lshl_b32 s5, s6, 5
	s_lshl_b32 s6, s7, 5
	s_or_b32 s0, s0, s1
	s_and_b32 vcc_lo, exec_lo, s0
	s_cbranch_vccnz .LBB193_12
; %bb.4:
	v_lshl_add_u32 v5, v1, 4, v0
	s_mul_i32 s1, s27, s8
	s_mul_hi_u32 s2, s26, s8
	s_mul_i32 s0, s26, s8
	s_add_i32 s1, s2, s1
	v_and_b32_e32 v6, 31, v5
	s_lshl_b64 s[0:1], s[0:1], 3
	s_mul_i32 s2, s21, s8
	s_add_u32 s3, s22, s0
	s_addc_u32 s7, s23, s1
	v_or_b32_e32 v7, s5, v6
	s_mul_hi_u32 s1, s20, s8
	s_mul_i32 s0, s20, s8
	s_add_i32 s1, s1, s2
	v_lshrrev_b32_e32 v9, 3, v5
	v_mul_lo_u32 v8, s19, v7
	v_mad_u64_u32 v[2:3], null, s18, v7, 0
	s_lshl_b64 s[0:1], s[0:1], 3
	v_add_nc_u32_e32 v4, s6, v9
	s_add_u32 s2, s16, s0
	s_addc_u32 s1, s17, s1
	s_ashr_i32 s0, s5, 31
	v_and_b32_e32 v16, 7, v0
	s_mul_i32 s0, s18, s0
	v_lshrrev_b32_e32 v17, 5, v5
	v_add3_u32 v3, v3, s0, v8
	v_lshlrev_b32_e32 v6, 3, v6
	v_ashrrev_i32_e32 v5, 31, v4
	v_lshlrev_b32_e32 v8, 3, v16
	s_waitcnt lgkmcnt(0)
	v_cmp_gt_i32_e64 s0, s4, v7
	v_lshlrev_b64 v[2:3], 3, v[2:3]
	v_lshl_or_b32 v18, v17, 8, v6
	v_lshlrev_b64 v[5:6], 3, v[4:5]
	v_lshl_or_b32 v7, v9, 6, v8
	v_mov_b32_e32 v10, 0
	v_lshlrev_b32_e32 v24, 3, v0
	v_add_co_u32 v19, vcc_lo, s2, v2
	v_add_co_ci_u32_e64 v20, null, s1, v3, vcc_lo
	v_add_co_u32 v22, vcc_lo, s3, v5
	v_cmp_gt_i32_e64 s1, s4, v4
	v_add_nc_u32_e32 v21, 0x800, v7
	v_add_co_ci_u32_e64 v23, null, s7, v6, vcc_lo
	v_mov_b32_e32 v2, 0
	v_mov_b32_e32 v4, 0
	v_mov_b32_e32 v6, 0
	v_lshl_add_u32 v25, v1, 6, 0x800
	v_mov_b32_e32 v3, 0
	v_mov_b32_e32 v5, 0
	;; [unrolled: 1-line block ×5, first 2 shown]
	s_mov_b64 s[2:3], 0
	s_branch .LBB193_6
.LBB193_5:                              ;   in Loop: Header=BB193_6 Depth=1
	s_or_b32 exec_lo, exec_lo, s7
	s_waitcnt vmcnt(0)
	ds_write_b64 v21, v[14:15]
	s_waitcnt lgkmcnt(0)
	s_barrier
	buffer_gl0_inv
	ds_read_b128 v[12:15], v25
	ds_read2_b64 v[26:29], v24 offset1:16
	ds_read_b128 v[30:33], v25 offset:1024
	ds_read_b128 v[34:37], v25 offset:16
	ds_read2_b64 v[38:41], v24 offset0:32 offset1:48
	ds_read_b128 v[42:45], v25 offset:1040
	s_add_u32 s2, s2, 8
	s_addc_u32 s3, s3, 0
	v_cmp_gt_i64_e64 s7, s[12:13], s[2:3]
	s_and_b32 vcc_lo, exec_lo, s7
	s_waitcnt lgkmcnt(4)
	v_fma_f64 v[10:11], v[26:27], v[12:13], v[10:11]
	v_fma_f64 v[6:7], v[28:29], v[12:13], v[6:7]
	s_waitcnt lgkmcnt(3)
	v_fma_f64 v[12:13], v[26:27], v[30:31], v[4:5]
	v_fma_f64 v[26:27], v[28:29], v[30:31], v[2:3]
	ds_read2_b64 v[2:5], v24 offset0:64 offset1:80
	s_waitcnt lgkmcnt(2)
	v_fma_f64 v[28:29], v[38:39], v[14:15], v[10:11]
	v_fma_f64 v[6:7], v[40:41], v[14:15], v[6:7]
	;; [unrolled: 1-line block ×4, first 2 shown]
	ds_read2_b64 v[10:13], v24 offset0:96 offset1:112
	s_waitcnt lgkmcnt(1)
	v_fma_f64 v[30:31], v[2:3], v[34:35], v[28:29]
	v_fma_f64 v[6:7], v[4:5], v[34:35], v[6:7]
	;; [unrolled: 1-line block ×4, first 2 shown]
	ds_read_b128 v[2:5], v25 offset:32
	ds_read2_b64 v[26:29], v24 offset0:128 offset1:144
	s_waitcnt lgkmcnt(2)
	v_fma_f64 v[42:43], v[10:11], v[36:37], v[30:31]
	v_fma_f64 v[6:7], v[12:13], v[36:37], v[6:7]
	;; [unrolled: 1-line block ×4, first 2 shown]
	ds_read_b128 v[10:13], v25 offset:1056
	ds_read_b128 v[30:33], v25 offset:48
	ds_read2_b64 v[34:37], v24 offset0:160 offset1:176
	ds_read_b128 v[38:41], v25 offset:1072
	s_waitcnt lgkmcnt(4)
	v_fma_f64 v[42:43], v[26:27], v[2:3], v[42:43]
	v_fma_f64 v[2:3], v[28:29], v[2:3], v[6:7]
	s_waitcnt lgkmcnt(3)
	v_fma_f64 v[6:7], v[26:27], v[10:11], v[14:15]
	v_fma_f64 v[10:11], v[28:29], v[10:11], v[44:45]
	ds_read2_b64 v[26:29], v24 offset0:192 offset1:208
	s_waitcnt lgkmcnt(2)
	v_fma_f64 v[42:43], v[34:35], v[4:5], v[42:43]
	v_fma_f64 v[2:3], v[36:37], v[4:5], v[2:3]
	;; [unrolled: 1-line block ×4, first 2 shown]
	ds_read2_b64 v[12:15], v24 offset0:224 offset1:240
	s_waitcnt lgkmcnt(0)
	s_barrier
	buffer_gl0_inv
	v_fma_f64 v[10:11], v[26:27], v[30:31], v[42:43]
	v_fma_f64 v[2:3], v[28:29], v[30:31], v[2:3]
	;; [unrolled: 1-line block ×8, first 2 shown]
	s_cbranch_vccz .LBB193_12
.LBB193_6:                              ; =>This Inner Loop Header: Depth=1
	v_mov_b32_e32 v12, 0
	v_mov_b32_e32 v13, 0
	s_and_saveexec_b32 s7, s0
	s_cbranch_execz .LBB193_10
; %bb.7:                                ;   in Loop: Header=BB193_6 Depth=1
	v_mov_b32_e32 v12, 0
	v_add_nc_u32_e32 v8, s2, v17
	v_mov_b32_e32 v13, 0
	s_mov_b32 s9, exec_lo
	v_cmpx_gt_u64_e64 s[12:13], v[8:9]
	s_cbranch_execz .LBB193_9
; %bb.8:                                ;   in Loop: Header=BB193_6 Depth=1
	v_lshlrev_b64 v[12:13], 3, v[8:9]
	v_add_co_u32 v12, vcc_lo, v19, v12
	v_add_co_ci_u32_e64 v13, null, v20, v13, vcc_lo
	global_load_dwordx2 v[12:13], v[12:13], off
.LBB193_9:                              ;   in Loop: Header=BB193_6 Depth=1
	s_or_b32 exec_lo, exec_lo, s9
.LBB193_10:                             ;   in Loop: Header=BB193_6 Depth=1
	s_or_b32 exec_lo, exec_lo, s7
	v_add_nc_u32_e32 v8, s2, v16
	v_mov_b32_e32 v14, 0
	v_mov_b32_e32 v15, 0
	s_waitcnt vmcnt(0)
	ds_write_b64 v18, v[12:13]
	v_cmp_gt_u64_e32 vcc_lo, s[12:13], v[8:9]
	s_and_b32 s9, vcc_lo, s1
	s_and_saveexec_b32 s7, s9
	s_cbranch_execz .LBB193_5
; %bb.11:                               ;   in Loop: Header=BB193_6 Depth=1
	v_mad_u64_u32 v[12:13], null, s24, v8, 0
	v_mad_u64_u32 v[13:14], null, s25, v8, v[13:14]
	v_lshlrev_b64 v[12:13], 3, v[12:13]
	v_add_co_u32 v12, vcc_lo, v22, v12
	v_add_co_ci_u32_e64 v13, null, v23, v13, vcc_lo
	global_load_dwordx2 v[14:15], v[12:13], off
	s_branch .LBB193_5
.LBB193_12:
	v_add_nc_u32_e32 v13, s6, v1
	s_mul_i32 s1, s43, s8
	s_mul_hi_u32 s2, s42, s8
	s_mul_i32 s0, s42, s8
	s_add_i32 s1, s2, s1
	v_ashrrev_i32_e32 v1, 31, v13
	v_cmp_neq_f64_e64 s2, s[10:11], 0
	v_mul_lo_u32 v12, s41, v13
	v_mad_u64_u32 v[8:9], null, s40, v13, 0
	v_mul_lo_u32 v1, s40, v1
	v_add_nc_u32_e32 v0, s5, v0
	s_lshl_b64 s[6:7], s[0:1], 3
	s_add_u32 s3, s38, s6
	s_addc_u32 s5, s39, s7
	v_cmp_le_i32_e32 vcc_lo, v13, v0
	s_waitcnt lgkmcnt(0)
	v_cmp_gt_i32_e64 s0, s4, v0
	v_add3_u32 v9, v9, v1, v12
	v_ashrrev_i32_e32 v1, 31, v0
	s_and_b32 s6, vcc_lo, s0
	v_lshlrev_b64 v[8:9], 3, v[8:9]
	v_cndmask_b32_e64 v12, 0, 1, s2
	v_add_co_u32 v14, s1, s3, v8
	v_add_co_ci_u32_e64 v15, null, s5, v9, s1
	s_and_saveexec_b32 s1, s6
	s_cbranch_execz .LBB193_16
; %bb.13:
	v_mul_f64 v[8:9], s[14:15], v[10:11]
	v_lshlrev_b64 v[10:11], 3, v[0:1]
	v_add_co_u32 v10, vcc_lo, v14, v10
	v_add_co_ci_u32_e64 v11, null, v15, v11, vcc_lo
	s_andn2_b32 vcc_lo, exec_lo, s2
	s_cbranch_vccnz .LBB193_15
; %bb.14:
	global_load_dwordx2 v[16:17], v[10:11], off
	s_waitcnt vmcnt(0)
	v_fma_f64 v[8:9], s[10:11], v[16:17], v[8:9]
.LBB193_15:
	global_store_dwordx2 v[10:11], v[8:9], off
.LBB193_16:
	s_or_b32 exec_lo, exec_lo, s1
	v_add_nc_u32_e32 v8, 16, v0
	v_cmp_le_i32_e32 vcc_lo, v13, v8
	v_cmp_gt_i32_e64 s1, s4, v8
	v_ashrrev_i32_e32 v9, 31, v8
	s_and_b32 s2, vcc_lo, s1
	s_and_saveexec_b32 s4, s2
	s_cbranch_execz .LBB193_20
; %bb.17:
	v_mul_f64 v[6:7], s[14:15], v[6:7]
	v_lshlrev_b64 v[10:11], 3, v[8:9]
	v_cmp_ne_u32_e32 vcc_lo, 1, v12
	v_add_co_u32 v10, s2, v14, v10
	v_add_co_ci_u32_e64 v11, null, v15, v11, s2
	s_cbranch_vccnz .LBB193_19
; %bb.18:
	global_load_dwordx2 v[14:15], v[10:11], off
	s_waitcnt vmcnt(0)
	v_fma_f64 v[6:7], s[10:11], v[14:15], v[6:7]
.LBB193_19:
	global_store_dwordx2 v[10:11], v[6:7], off
.LBB193_20:
	s_or_b32 exec_lo, exec_lo, s4
	v_add_nc_u32_e32 v10, 16, v13
	v_ashrrev_i32_e32 v11, 31, v10
	v_mul_lo_u32 v13, s41, v10
	v_mad_u64_u32 v[6:7], null, s40, v10, 0
	v_cmp_le_i32_e32 vcc_lo, v10, v0
	v_mul_lo_u32 v11, s40, v11
	s_and_b32 s0, vcc_lo, s0
	v_add3_u32 v7, v7, v11, v13
	v_lshlrev_b64 v[6:7], 3, v[6:7]
	v_add_co_u32 v6, s2, s3, v6
	v_add_co_ci_u32_e64 v7, null, s5, v7, s2
	s_and_saveexec_b32 s2, s0
	s_cbranch_execz .LBB193_24
; %bb.21:
	v_mul_f64 v[4:5], s[14:15], v[4:5]
	v_lshlrev_b64 v[0:1], 3, v[0:1]
	v_cmp_ne_u32_e32 vcc_lo, 1, v12
	v_add_co_u32 v0, s0, v6, v0
	v_add_co_ci_u32_e64 v1, null, v7, v1, s0
	s_cbranch_vccnz .LBB193_23
; %bb.22:
	global_load_dwordx2 v[13:14], v[0:1], off
	s_waitcnt vmcnt(0)
	v_fma_f64 v[4:5], s[10:11], v[13:14], v[4:5]
.LBB193_23:
	global_store_dwordx2 v[0:1], v[4:5], off
.LBB193_24:
	s_or_b32 exec_lo, exec_lo, s2
	v_cmp_le_i32_e32 vcc_lo, v10, v8
	s_and_b32 s0, vcc_lo, s1
	s_and_saveexec_b32 s1, s0
	s_cbranch_execz .LBB193_28
; %bb.25:
	v_mul_f64 v[0:1], s[14:15], v[2:3]
	v_lshlrev_b64 v[2:3], 3, v[8:9]
	v_cmp_ne_u32_e32 vcc_lo, 1, v12
	v_add_co_u32 v2, s0, v6, v2
	v_add_co_ci_u32_e64 v3, null, v7, v3, s0
	s_cbranch_vccnz .LBB193_27
; %bb.26:
	global_load_dwordx2 v[4:5], v[2:3], off
	s_waitcnt vmcnt(0)
	v_fma_f64 v[0:1], s[10:11], v[4:5], v[0:1]
.LBB193_27:
	global_store_dwordx2 v[2:3], v[0:1], off
.LBB193_28:
	s_endpgm
	.section	.rodata,"a",@progbits
	.p2align	6, 0x0
	.amdhsa_kernel _ZL29rocblas_internal_gemmt_kernelIlLi16ELi32ELi8ELc84ELc84ELc76ELb0ELb0EdPKdS1_PdEviT_T9_T10_S3_lS5_S3_lS4_T11_S3_li
		.amdhsa_group_segment_fixed_size 4096
		.amdhsa_private_segment_fixed_size 0
		.amdhsa_kernarg_size 108
		.amdhsa_user_sgpr_count 6
		.amdhsa_user_sgpr_private_segment_buffer 1
		.amdhsa_user_sgpr_dispatch_ptr 0
		.amdhsa_user_sgpr_queue_ptr 0
		.amdhsa_user_sgpr_kernarg_segment_ptr 1
		.amdhsa_user_sgpr_dispatch_id 0
		.amdhsa_user_sgpr_flat_scratch_init 0
		.amdhsa_user_sgpr_private_segment_size 0
		.amdhsa_wavefront_size32 1
		.amdhsa_uses_dynamic_stack 0
		.amdhsa_system_sgpr_private_segment_wavefront_offset 0
		.amdhsa_system_sgpr_workgroup_id_x 1
		.amdhsa_system_sgpr_workgroup_id_y 1
		.amdhsa_system_sgpr_workgroup_id_z 1
		.amdhsa_system_sgpr_workgroup_info 0
		.amdhsa_system_vgpr_workitem_id 1
		.amdhsa_next_free_vgpr 46
		.amdhsa_next_free_sgpr 44
		.amdhsa_reserve_vcc 1
		.amdhsa_reserve_flat_scratch 0
		.amdhsa_float_round_mode_32 0
		.amdhsa_float_round_mode_16_64 0
		.amdhsa_float_denorm_mode_32 3
		.amdhsa_float_denorm_mode_16_64 3
		.amdhsa_dx10_clamp 1
		.amdhsa_ieee_mode 1
		.amdhsa_fp16_overflow 0
		.amdhsa_workgroup_processor_mode 1
		.amdhsa_memory_ordered 1
		.amdhsa_forward_progress 1
		.amdhsa_shared_vgpr_count 0
		.amdhsa_exception_fp_ieee_invalid_op 0
		.amdhsa_exception_fp_denorm_src 0
		.amdhsa_exception_fp_ieee_div_zero 0
		.amdhsa_exception_fp_ieee_overflow 0
		.amdhsa_exception_fp_ieee_underflow 0
		.amdhsa_exception_fp_ieee_inexact 0
		.amdhsa_exception_int_div_zero 0
	.end_amdhsa_kernel
	.section	.text._ZL29rocblas_internal_gemmt_kernelIlLi16ELi32ELi8ELc84ELc84ELc76ELb0ELb0EdPKdS1_PdEviT_T9_T10_S3_lS5_S3_lS4_T11_S3_li,"axG",@progbits,_ZL29rocblas_internal_gemmt_kernelIlLi16ELi32ELi8ELc84ELc84ELc76ELb0ELb0EdPKdS1_PdEviT_T9_T10_S3_lS5_S3_lS4_T11_S3_li,comdat
.Lfunc_end193:
	.size	_ZL29rocblas_internal_gemmt_kernelIlLi16ELi32ELi8ELc84ELc84ELc76ELb0ELb0EdPKdS1_PdEviT_T9_T10_S3_lS5_S3_lS4_T11_S3_li, .Lfunc_end193-_ZL29rocblas_internal_gemmt_kernelIlLi16ELi32ELi8ELc84ELc84ELc76ELb0ELb0EdPKdS1_PdEviT_T9_T10_S3_lS5_S3_lS4_T11_S3_li
                                        ; -- End function
	.set _ZL29rocblas_internal_gemmt_kernelIlLi16ELi32ELi8ELc84ELc84ELc76ELb0ELb0EdPKdS1_PdEviT_T9_T10_S3_lS5_S3_lS4_T11_S3_li.num_vgpr, 46
	.set _ZL29rocblas_internal_gemmt_kernelIlLi16ELi32ELi8ELc84ELc84ELc76ELb0ELb0EdPKdS1_PdEviT_T9_T10_S3_lS5_S3_lS4_T11_S3_li.num_agpr, 0
	.set _ZL29rocblas_internal_gemmt_kernelIlLi16ELi32ELi8ELc84ELc84ELc76ELb0ELb0EdPKdS1_PdEviT_T9_T10_S3_lS5_S3_lS4_T11_S3_li.numbered_sgpr, 44
	.set _ZL29rocblas_internal_gemmt_kernelIlLi16ELi32ELi8ELc84ELc84ELc76ELb0ELb0EdPKdS1_PdEviT_T9_T10_S3_lS5_S3_lS4_T11_S3_li.num_named_barrier, 0
	.set _ZL29rocblas_internal_gemmt_kernelIlLi16ELi32ELi8ELc84ELc84ELc76ELb0ELb0EdPKdS1_PdEviT_T9_T10_S3_lS5_S3_lS4_T11_S3_li.private_seg_size, 0
	.set _ZL29rocblas_internal_gemmt_kernelIlLi16ELi32ELi8ELc84ELc84ELc76ELb0ELb0EdPKdS1_PdEviT_T9_T10_S3_lS5_S3_lS4_T11_S3_li.uses_vcc, 1
	.set _ZL29rocblas_internal_gemmt_kernelIlLi16ELi32ELi8ELc84ELc84ELc76ELb0ELb0EdPKdS1_PdEviT_T9_T10_S3_lS5_S3_lS4_T11_S3_li.uses_flat_scratch, 0
	.set _ZL29rocblas_internal_gemmt_kernelIlLi16ELi32ELi8ELc84ELc84ELc76ELb0ELb0EdPKdS1_PdEviT_T9_T10_S3_lS5_S3_lS4_T11_S3_li.has_dyn_sized_stack, 0
	.set _ZL29rocblas_internal_gemmt_kernelIlLi16ELi32ELi8ELc84ELc84ELc76ELb0ELb0EdPKdS1_PdEviT_T9_T10_S3_lS5_S3_lS4_T11_S3_li.has_recursion, 0
	.set _ZL29rocblas_internal_gemmt_kernelIlLi16ELi32ELi8ELc84ELc84ELc76ELb0ELb0EdPKdS1_PdEviT_T9_T10_S3_lS5_S3_lS4_T11_S3_li.has_indirect_call, 0
	.section	.AMDGPU.csdata,"",@progbits
; Kernel info:
; codeLenInByte = 1676
; TotalNumSgprs: 46
; NumVgprs: 46
; ScratchSize: 0
; MemoryBound: 0
; FloatMode: 240
; IeeeMode: 1
; LDSByteSize: 4096 bytes/workgroup (compile time only)
; SGPRBlocks: 0
; VGPRBlocks: 5
; NumSGPRsForWavesPerEU: 46
; NumVGPRsForWavesPerEU: 46
; Occupancy: 16
; WaveLimiterHint : 0
; COMPUTE_PGM_RSRC2:SCRATCH_EN: 0
; COMPUTE_PGM_RSRC2:USER_SGPR: 6
; COMPUTE_PGM_RSRC2:TRAP_HANDLER: 0
; COMPUTE_PGM_RSRC2:TGID_X_EN: 1
; COMPUTE_PGM_RSRC2:TGID_Y_EN: 1
; COMPUTE_PGM_RSRC2:TGID_Z_EN: 1
; COMPUTE_PGM_RSRC2:TIDIG_COMP_CNT: 1
	.section	.text._ZL29rocblas_internal_gemmt_kernelIlLi16ELi32ELi8ELc84ELc67ELc76ELb0ELb0EdPKdS1_PdEviT_T9_T10_S3_lS5_S3_lS4_T11_S3_li,"axG",@progbits,_ZL29rocblas_internal_gemmt_kernelIlLi16ELi32ELi8ELc84ELc67ELc76ELb0ELb0EdPKdS1_PdEviT_T9_T10_S3_lS5_S3_lS4_T11_S3_li,comdat
	.globl	_ZL29rocblas_internal_gemmt_kernelIlLi16ELi32ELi8ELc84ELc67ELc76ELb0ELb0EdPKdS1_PdEviT_T9_T10_S3_lS5_S3_lS4_T11_S3_li ; -- Begin function _ZL29rocblas_internal_gemmt_kernelIlLi16ELi32ELi8ELc84ELc67ELc76ELb0ELb0EdPKdS1_PdEviT_T9_T10_S3_lS5_S3_lS4_T11_S3_li
	.p2align	8
	.type	_ZL29rocblas_internal_gemmt_kernelIlLi16ELi32ELi8ELc84ELc67ELc76ELb0ELb0EdPKdS1_PdEviT_T9_T10_S3_lS5_S3_lS4_T11_S3_li,@function
_ZL29rocblas_internal_gemmt_kernelIlLi16ELi32ELi8ELc84ELc67ELc76ELb0ELb0EdPKdS1_PdEviT_T9_T10_S3_lS5_S3_lS4_T11_S3_li: ; @_ZL29rocblas_internal_gemmt_kernelIlLi16ELi32ELi8ELc84ELc67ELc76ELb0ELb0EdPKdS1_PdEviT_T9_T10_S3_lS5_S3_lS4_T11_S3_li
; %bb.0:
	s_load_dwordx8 s[36:43], s[4:5], 0x48
	s_waitcnt lgkmcnt(0)
	s_load_dwordx2 s[10:11], s[36:37], 0x0
	s_load_dwordx16 s[12:27], s[4:5], 0x8
	s_waitcnt lgkmcnt(0)
	v_cmp_neq_f64_e64 s0, s[10:11], 1.0
	s_load_dwordx2 s[14:15], s[14:15], 0x0
	s_and_b32 vcc_lo, exec_lo, s0
	s_cbranch_vccnz .LBB194_2
; %bb.1:
	s_waitcnt lgkmcnt(0)
	v_cmp_neq_f64_e64 s0, s[14:15], 0
	s_cmp_lg_u64 s[12:13], 0
	s_cselect_b32 s1, -1, 0
	s_and_b32 s0, s1, s0
.LBB194_2:
	s_andn2_b32 vcc_lo, exec_lo, s0
	s_cbranch_vccnz .LBB194_28
; %bb.3:
	s_waitcnt lgkmcnt(0)
	v_cmp_eq_f64_e64 s0, s[14:15], 0
	s_load_dword s4, s[4:5], 0x0
	v_cmp_lt_i64_e64 s1, s[12:13], 1
	v_mov_b32_e32 v10, 0
	v_mov_b32_e32 v6, 0
	;; [unrolled: 1-line block ×8, first 2 shown]
	s_lshl_b32 s5, s6, 5
	s_lshl_b32 s6, s7, 5
	s_or_b32 s0, s0, s1
	s_and_b32 vcc_lo, exec_lo, s0
	s_cbranch_vccnz .LBB194_12
; %bb.4:
	v_lshl_add_u32 v5, v1, 4, v0
	s_mul_i32 s1, s27, s8
	s_mul_hi_u32 s2, s26, s8
	s_mul_i32 s0, s26, s8
	s_add_i32 s1, s2, s1
	v_and_b32_e32 v6, 31, v5
	s_lshl_b64 s[0:1], s[0:1], 3
	s_mul_i32 s2, s21, s8
	s_add_u32 s3, s22, s0
	s_addc_u32 s7, s23, s1
	v_or_b32_e32 v7, s5, v6
	s_mul_hi_u32 s1, s20, s8
	s_mul_i32 s0, s20, s8
	s_add_i32 s1, s1, s2
	v_lshrrev_b32_e32 v9, 3, v5
	v_mul_lo_u32 v8, s19, v7
	v_mad_u64_u32 v[2:3], null, s18, v7, 0
	s_lshl_b64 s[0:1], s[0:1], 3
	v_add_nc_u32_e32 v4, s6, v9
	s_add_u32 s2, s16, s0
	s_addc_u32 s1, s17, s1
	s_ashr_i32 s0, s5, 31
	v_and_b32_e32 v16, 7, v0
	s_mul_i32 s0, s18, s0
	v_lshrrev_b32_e32 v17, 5, v5
	v_add3_u32 v3, v3, s0, v8
	v_lshlrev_b32_e32 v6, 3, v6
	v_ashrrev_i32_e32 v5, 31, v4
	v_lshlrev_b32_e32 v8, 3, v16
	s_waitcnt lgkmcnt(0)
	v_cmp_gt_i32_e64 s0, s4, v7
	v_lshlrev_b64 v[2:3], 3, v[2:3]
	v_lshl_or_b32 v18, v17, 8, v6
	v_lshlrev_b64 v[5:6], 3, v[4:5]
	v_lshl_or_b32 v7, v9, 6, v8
	v_mov_b32_e32 v10, 0
	v_lshlrev_b32_e32 v24, 3, v0
	v_add_co_u32 v19, vcc_lo, s2, v2
	v_add_co_ci_u32_e64 v20, null, s1, v3, vcc_lo
	v_add_co_u32 v22, vcc_lo, s3, v5
	v_cmp_gt_i32_e64 s1, s4, v4
	v_add_nc_u32_e32 v21, 0x800, v7
	v_add_co_ci_u32_e64 v23, null, s7, v6, vcc_lo
	v_mov_b32_e32 v2, 0
	v_mov_b32_e32 v4, 0
	;; [unrolled: 1-line block ×3, first 2 shown]
	v_lshl_add_u32 v25, v1, 6, 0x800
	v_mov_b32_e32 v3, 0
	v_mov_b32_e32 v5, 0
	;; [unrolled: 1-line block ×5, first 2 shown]
	s_mov_b64 s[2:3], 0
	s_branch .LBB194_6
.LBB194_5:                              ;   in Loop: Header=BB194_6 Depth=1
	s_or_b32 exec_lo, exec_lo, s7
	s_waitcnt vmcnt(0)
	ds_write_b64 v21, v[14:15]
	s_waitcnt lgkmcnt(0)
	s_barrier
	buffer_gl0_inv
	ds_read_b128 v[12:15], v25
	ds_read2_b64 v[26:29], v24 offset1:16
	ds_read_b128 v[30:33], v25 offset:1024
	ds_read_b128 v[34:37], v25 offset:16
	ds_read2_b64 v[38:41], v24 offset0:32 offset1:48
	ds_read_b128 v[42:45], v25 offset:1040
	s_add_u32 s2, s2, 8
	s_addc_u32 s3, s3, 0
	v_cmp_gt_i64_e64 s7, s[12:13], s[2:3]
	s_and_b32 vcc_lo, exec_lo, s7
	s_waitcnt lgkmcnt(4)
	v_fma_f64 v[10:11], v[26:27], v[12:13], v[10:11]
	v_fma_f64 v[6:7], v[28:29], v[12:13], v[6:7]
	s_waitcnt lgkmcnt(3)
	v_fma_f64 v[12:13], v[26:27], v[30:31], v[4:5]
	v_fma_f64 v[26:27], v[28:29], v[30:31], v[2:3]
	ds_read2_b64 v[2:5], v24 offset0:64 offset1:80
	s_waitcnt lgkmcnt(2)
	v_fma_f64 v[28:29], v[38:39], v[14:15], v[10:11]
	v_fma_f64 v[6:7], v[40:41], v[14:15], v[6:7]
	;; [unrolled: 1-line block ×4, first 2 shown]
	ds_read2_b64 v[10:13], v24 offset0:96 offset1:112
	s_waitcnt lgkmcnt(1)
	v_fma_f64 v[30:31], v[2:3], v[34:35], v[28:29]
	v_fma_f64 v[6:7], v[4:5], v[34:35], v[6:7]
	;; [unrolled: 1-line block ×4, first 2 shown]
	ds_read_b128 v[2:5], v25 offset:32
	ds_read2_b64 v[26:29], v24 offset0:128 offset1:144
	s_waitcnt lgkmcnt(2)
	v_fma_f64 v[42:43], v[10:11], v[36:37], v[30:31]
	v_fma_f64 v[6:7], v[12:13], v[36:37], v[6:7]
	;; [unrolled: 1-line block ×4, first 2 shown]
	ds_read_b128 v[10:13], v25 offset:1056
	ds_read_b128 v[30:33], v25 offset:48
	ds_read2_b64 v[34:37], v24 offset0:160 offset1:176
	ds_read_b128 v[38:41], v25 offset:1072
	s_waitcnt lgkmcnt(4)
	v_fma_f64 v[42:43], v[26:27], v[2:3], v[42:43]
	v_fma_f64 v[2:3], v[28:29], v[2:3], v[6:7]
	s_waitcnt lgkmcnt(3)
	v_fma_f64 v[6:7], v[26:27], v[10:11], v[14:15]
	v_fma_f64 v[10:11], v[28:29], v[10:11], v[44:45]
	ds_read2_b64 v[26:29], v24 offset0:192 offset1:208
	s_waitcnt lgkmcnt(2)
	v_fma_f64 v[42:43], v[34:35], v[4:5], v[42:43]
	v_fma_f64 v[2:3], v[36:37], v[4:5], v[2:3]
	;; [unrolled: 1-line block ×4, first 2 shown]
	ds_read2_b64 v[12:15], v24 offset0:224 offset1:240
	s_waitcnt lgkmcnt(0)
	s_barrier
	buffer_gl0_inv
	v_fma_f64 v[10:11], v[26:27], v[30:31], v[42:43]
	v_fma_f64 v[2:3], v[28:29], v[30:31], v[2:3]
	;; [unrolled: 1-line block ×8, first 2 shown]
	s_cbranch_vccz .LBB194_12
.LBB194_6:                              ; =>This Inner Loop Header: Depth=1
	v_mov_b32_e32 v12, 0
	v_mov_b32_e32 v13, 0
	s_and_saveexec_b32 s7, s0
	s_cbranch_execz .LBB194_10
; %bb.7:                                ;   in Loop: Header=BB194_6 Depth=1
	v_mov_b32_e32 v12, 0
	v_add_nc_u32_e32 v8, s2, v17
	v_mov_b32_e32 v13, 0
	s_mov_b32 s9, exec_lo
	v_cmpx_gt_u64_e64 s[12:13], v[8:9]
	s_cbranch_execz .LBB194_9
; %bb.8:                                ;   in Loop: Header=BB194_6 Depth=1
	v_lshlrev_b64 v[12:13], 3, v[8:9]
	v_add_co_u32 v12, vcc_lo, v19, v12
	v_add_co_ci_u32_e64 v13, null, v20, v13, vcc_lo
	global_load_dwordx2 v[12:13], v[12:13], off
.LBB194_9:                              ;   in Loop: Header=BB194_6 Depth=1
	s_or_b32 exec_lo, exec_lo, s9
.LBB194_10:                             ;   in Loop: Header=BB194_6 Depth=1
	s_or_b32 exec_lo, exec_lo, s7
	v_add_nc_u32_e32 v8, s2, v16
	v_mov_b32_e32 v14, 0
	v_mov_b32_e32 v15, 0
	s_waitcnt vmcnt(0)
	ds_write_b64 v18, v[12:13]
	v_cmp_gt_u64_e32 vcc_lo, s[12:13], v[8:9]
	s_and_b32 s9, vcc_lo, s1
	s_and_saveexec_b32 s7, s9
	s_cbranch_execz .LBB194_5
; %bb.11:                               ;   in Loop: Header=BB194_6 Depth=1
	v_mad_u64_u32 v[12:13], null, s24, v8, 0
	v_mad_u64_u32 v[13:14], null, s25, v8, v[13:14]
	v_lshlrev_b64 v[12:13], 3, v[12:13]
	v_add_co_u32 v12, vcc_lo, v22, v12
	v_add_co_ci_u32_e64 v13, null, v23, v13, vcc_lo
	global_load_dwordx2 v[14:15], v[12:13], off
	s_branch .LBB194_5
.LBB194_12:
	v_add_nc_u32_e32 v13, s6, v1
	s_mul_i32 s1, s43, s8
	s_mul_hi_u32 s2, s42, s8
	s_mul_i32 s0, s42, s8
	s_add_i32 s1, s2, s1
	v_ashrrev_i32_e32 v1, 31, v13
	v_cmp_neq_f64_e64 s2, s[10:11], 0
	v_mul_lo_u32 v12, s41, v13
	v_mad_u64_u32 v[8:9], null, s40, v13, 0
	v_mul_lo_u32 v1, s40, v1
	v_add_nc_u32_e32 v0, s5, v0
	s_lshl_b64 s[6:7], s[0:1], 3
	s_add_u32 s3, s38, s6
	s_addc_u32 s5, s39, s7
	v_cmp_le_i32_e32 vcc_lo, v13, v0
	s_waitcnt lgkmcnt(0)
	v_cmp_gt_i32_e64 s0, s4, v0
	v_add3_u32 v9, v9, v1, v12
	v_ashrrev_i32_e32 v1, 31, v0
	s_and_b32 s6, vcc_lo, s0
	v_lshlrev_b64 v[8:9], 3, v[8:9]
	v_cndmask_b32_e64 v12, 0, 1, s2
	v_add_co_u32 v14, s1, s3, v8
	v_add_co_ci_u32_e64 v15, null, s5, v9, s1
	s_and_saveexec_b32 s1, s6
	s_cbranch_execz .LBB194_16
; %bb.13:
	v_mul_f64 v[8:9], s[14:15], v[10:11]
	v_lshlrev_b64 v[10:11], 3, v[0:1]
	v_add_co_u32 v10, vcc_lo, v14, v10
	v_add_co_ci_u32_e64 v11, null, v15, v11, vcc_lo
	s_andn2_b32 vcc_lo, exec_lo, s2
	s_cbranch_vccnz .LBB194_15
; %bb.14:
	global_load_dwordx2 v[16:17], v[10:11], off
	s_waitcnt vmcnt(0)
	v_fma_f64 v[8:9], s[10:11], v[16:17], v[8:9]
.LBB194_15:
	global_store_dwordx2 v[10:11], v[8:9], off
.LBB194_16:
	s_or_b32 exec_lo, exec_lo, s1
	v_add_nc_u32_e32 v8, 16, v0
	v_cmp_le_i32_e32 vcc_lo, v13, v8
	v_cmp_gt_i32_e64 s1, s4, v8
	v_ashrrev_i32_e32 v9, 31, v8
	s_and_b32 s2, vcc_lo, s1
	s_and_saveexec_b32 s4, s2
	s_cbranch_execz .LBB194_20
; %bb.17:
	v_mul_f64 v[6:7], s[14:15], v[6:7]
	v_lshlrev_b64 v[10:11], 3, v[8:9]
	v_cmp_ne_u32_e32 vcc_lo, 1, v12
	v_add_co_u32 v10, s2, v14, v10
	v_add_co_ci_u32_e64 v11, null, v15, v11, s2
	s_cbranch_vccnz .LBB194_19
; %bb.18:
	global_load_dwordx2 v[14:15], v[10:11], off
	s_waitcnt vmcnt(0)
	v_fma_f64 v[6:7], s[10:11], v[14:15], v[6:7]
.LBB194_19:
	global_store_dwordx2 v[10:11], v[6:7], off
.LBB194_20:
	s_or_b32 exec_lo, exec_lo, s4
	v_add_nc_u32_e32 v10, 16, v13
	v_ashrrev_i32_e32 v11, 31, v10
	v_mul_lo_u32 v13, s41, v10
	v_mad_u64_u32 v[6:7], null, s40, v10, 0
	v_cmp_le_i32_e32 vcc_lo, v10, v0
	v_mul_lo_u32 v11, s40, v11
	s_and_b32 s0, vcc_lo, s0
	v_add3_u32 v7, v7, v11, v13
	v_lshlrev_b64 v[6:7], 3, v[6:7]
	v_add_co_u32 v6, s2, s3, v6
	v_add_co_ci_u32_e64 v7, null, s5, v7, s2
	s_and_saveexec_b32 s2, s0
	s_cbranch_execz .LBB194_24
; %bb.21:
	v_mul_f64 v[4:5], s[14:15], v[4:5]
	v_lshlrev_b64 v[0:1], 3, v[0:1]
	v_cmp_ne_u32_e32 vcc_lo, 1, v12
	v_add_co_u32 v0, s0, v6, v0
	v_add_co_ci_u32_e64 v1, null, v7, v1, s0
	s_cbranch_vccnz .LBB194_23
; %bb.22:
	global_load_dwordx2 v[13:14], v[0:1], off
	s_waitcnt vmcnt(0)
	v_fma_f64 v[4:5], s[10:11], v[13:14], v[4:5]
.LBB194_23:
	global_store_dwordx2 v[0:1], v[4:5], off
.LBB194_24:
	s_or_b32 exec_lo, exec_lo, s2
	v_cmp_le_i32_e32 vcc_lo, v10, v8
	s_and_b32 s0, vcc_lo, s1
	s_and_saveexec_b32 s1, s0
	s_cbranch_execz .LBB194_28
; %bb.25:
	v_mul_f64 v[0:1], s[14:15], v[2:3]
	v_lshlrev_b64 v[2:3], 3, v[8:9]
	v_cmp_ne_u32_e32 vcc_lo, 1, v12
	v_add_co_u32 v2, s0, v6, v2
	v_add_co_ci_u32_e64 v3, null, v7, v3, s0
	s_cbranch_vccnz .LBB194_27
; %bb.26:
	global_load_dwordx2 v[4:5], v[2:3], off
	s_waitcnt vmcnt(0)
	v_fma_f64 v[0:1], s[10:11], v[4:5], v[0:1]
.LBB194_27:
	global_store_dwordx2 v[2:3], v[0:1], off
.LBB194_28:
	s_endpgm
	.section	.rodata,"a",@progbits
	.p2align	6, 0x0
	.amdhsa_kernel _ZL29rocblas_internal_gemmt_kernelIlLi16ELi32ELi8ELc84ELc67ELc76ELb0ELb0EdPKdS1_PdEviT_T9_T10_S3_lS5_S3_lS4_T11_S3_li
		.amdhsa_group_segment_fixed_size 4096
		.amdhsa_private_segment_fixed_size 0
		.amdhsa_kernarg_size 108
		.amdhsa_user_sgpr_count 6
		.amdhsa_user_sgpr_private_segment_buffer 1
		.amdhsa_user_sgpr_dispatch_ptr 0
		.amdhsa_user_sgpr_queue_ptr 0
		.amdhsa_user_sgpr_kernarg_segment_ptr 1
		.amdhsa_user_sgpr_dispatch_id 0
		.amdhsa_user_sgpr_flat_scratch_init 0
		.amdhsa_user_sgpr_private_segment_size 0
		.amdhsa_wavefront_size32 1
		.amdhsa_uses_dynamic_stack 0
		.amdhsa_system_sgpr_private_segment_wavefront_offset 0
		.amdhsa_system_sgpr_workgroup_id_x 1
		.amdhsa_system_sgpr_workgroup_id_y 1
		.amdhsa_system_sgpr_workgroup_id_z 1
		.amdhsa_system_sgpr_workgroup_info 0
		.amdhsa_system_vgpr_workitem_id 1
		.amdhsa_next_free_vgpr 46
		.amdhsa_next_free_sgpr 44
		.amdhsa_reserve_vcc 1
		.amdhsa_reserve_flat_scratch 0
		.amdhsa_float_round_mode_32 0
		.amdhsa_float_round_mode_16_64 0
		.amdhsa_float_denorm_mode_32 3
		.amdhsa_float_denorm_mode_16_64 3
		.amdhsa_dx10_clamp 1
		.amdhsa_ieee_mode 1
		.amdhsa_fp16_overflow 0
		.amdhsa_workgroup_processor_mode 1
		.amdhsa_memory_ordered 1
		.amdhsa_forward_progress 1
		.amdhsa_shared_vgpr_count 0
		.amdhsa_exception_fp_ieee_invalid_op 0
		.amdhsa_exception_fp_denorm_src 0
		.amdhsa_exception_fp_ieee_div_zero 0
		.amdhsa_exception_fp_ieee_overflow 0
		.amdhsa_exception_fp_ieee_underflow 0
		.amdhsa_exception_fp_ieee_inexact 0
		.amdhsa_exception_int_div_zero 0
	.end_amdhsa_kernel
	.section	.text._ZL29rocblas_internal_gemmt_kernelIlLi16ELi32ELi8ELc84ELc67ELc76ELb0ELb0EdPKdS1_PdEviT_T9_T10_S3_lS5_S3_lS4_T11_S3_li,"axG",@progbits,_ZL29rocblas_internal_gemmt_kernelIlLi16ELi32ELi8ELc84ELc67ELc76ELb0ELb0EdPKdS1_PdEviT_T9_T10_S3_lS5_S3_lS4_T11_S3_li,comdat
.Lfunc_end194:
	.size	_ZL29rocblas_internal_gemmt_kernelIlLi16ELi32ELi8ELc84ELc67ELc76ELb0ELb0EdPKdS1_PdEviT_T9_T10_S3_lS5_S3_lS4_T11_S3_li, .Lfunc_end194-_ZL29rocblas_internal_gemmt_kernelIlLi16ELi32ELi8ELc84ELc67ELc76ELb0ELb0EdPKdS1_PdEviT_T9_T10_S3_lS5_S3_lS4_T11_S3_li
                                        ; -- End function
	.set _ZL29rocblas_internal_gemmt_kernelIlLi16ELi32ELi8ELc84ELc67ELc76ELb0ELb0EdPKdS1_PdEviT_T9_T10_S3_lS5_S3_lS4_T11_S3_li.num_vgpr, 46
	.set _ZL29rocblas_internal_gemmt_kernelIlLi16ELi32ELi8ELc84ELc67ELc76ELb0ELb0EdPKdS1_PdEviT_T9_T10_S3_lS5_S3_lS4_T11_S3_li.num_agpr, 0
	.set _ZL29rocblas_internal_gemmt_kernelIlLi16ELi32ELi8ELc84ELc67ELc76ELb0ELb0EdPKdS1_PdEviT_T9_T10_S3_lS5_S3_lS4_T11_S3_li.numbered_sgpr, 44
	.set _ZL29rocblas_internal_gemmt_kernelIlLi16ELi32ELi8ELc84ELc67ELc76ELb0ELb0EdPKdS1_PdEviT_T9_T10_S3_lS5_S3_lS4_T11_S3_li.num_named_barrier, 0
	.set _ZL29rocblas_internal_gemmt_kernelIlLi16ELi32ELi8ELc84ELc67ELc76ELb0ELb0EdPKdS1_PdEviT_T9_T10_S3_lS5_S3_lS4_T11_S3_li.private_seg_size, 0
	.set _ZL29rocblas_internal_gemmt_kernelIlLi16ELi32ELi8ELc84ELc67ELc76ELb0ELb0EdPKdS1_PdEviT_T9_T10_S3_lS5_S3_lS4_T11_S3_li.uses_vcc, 1
	.set _ZL29rocblas_internal_gemmt_kernelIlLi16ELi32ELi8ELc84ELc67ELc76ELb0ELb0EdPKdS1_PdEviT_T9_T10_S3_lS5_S3_lS4_T11_S3_li.uses_flat_scratch, 0
	.set _ZL29rocblas_internal_gemmt_kernelIlLi16ELi32ELi8ELc84ELc67ELc76ELb0ELb0EdPKdS1_PdEviT_T9_T10_S3_lS5_S3_lS4_T11_S3_li.has_dyn_sized_stack, 0
	.set _ZL29rocblas_internal_gemmt_kernelIlLi16ELi32ELi8ELc84ELc67ELc76ELb0ELb0EdPKdS1_PdEviT_T9_T10_S3_lS5_S3_lS4_T11_S3_li.has_recursion, 0
	.set _ZL29rocblas_internal_gemmt_kernelIlLi16ELi32ELi8ELc84ELc67ELc76ELb0ELb0EdPKdS1_PdEviT_T9_T10_S3_lS5_S3_lS4_T11_S3_li.has_indirect_call, 0
	.section	.AMDGPU.csdata,"",@progbits
; Kernel info:
; codeLenInByte = 1676
; TotalNumSgprs: 46
; NumVgprs: 46
; ScratchSize: 0
; MemoryBound: 0
; FloatMode: 240
; IeeeMode: 1
; LDSByteSize: 4096 bytes/workgroup (compile time only)
; SGPRBlocks: 0
; VGPRBlocks: 5
; NumSGPRsForWavesPerEU: 46
; NumVGPRsForWavesPerEU: 46
; Occupancy: 16
; WaveLimiterHint : 0
; COMPUTE_PGM_RSRC2:SCRATCH_EN: 0
; COMPUTE_PGM_RSRC2:USER_SGPR: 6
; COMPUTE_PGM_RSRC2:TRAP_HANDLER: 0
; COMPUTE_PGM_RSRC2:TGID_X_EN: 1
; COMPUTE_PGM_RSRC2:TGID_Y_EN: 1
; COMPUTE_PGM_RSRC2:TGID_Z_EN: 1
; COMPUTE_PGM_RSRC2:TIDIG_COMP_CNT: 1
	.section	.text._ZL29rocblas_internal_gemmt_kernelIlLi16ELi32ELi8ELc67ELc78ELc76ELb0ELb0EdPKdS1_PdEviT_T9_T10_S3_lS5_S3_lS4_T11_S3_li,"axG",@progbits,_ZL29rocblas_internal_gemmt_kernelIlLi16ELi32ELi8ELc67ELc78ELc76ELb0ELb0EdPKdS1_PdEviT_T9_T10_S3_lS5_S3_lS4_T11_S3_li,comdat
	.globl	_ZL29rocblas_internal_gemmt_kernelIlLi16ELi32ELi8ELc67ELc78ELc76ELb0ELb0EdPKdS1_PdEviT_T9_T10_S3_lS5_S3_lS4_T11_S3_li ; -- Begin function _ZL29rocblas_internal_gemmt_kernelIlLi16ELi32ELi8ELc67ELc78ELc76ELb0ELb0EdPKdS1_PdEviT_T9_T10_S3_lS5_S3_lS4_T11_S3_li
	.p2align	8
	.type	_ZL29rocblas_internal_gemmt_kernelIlLi16ELi32ELi8ELc67ELc78ELc76ELb0ELb0EdPKdS1_PdEviT_T9_T10_S3_lS5_S3_lS4_T11_S3_li,@function
_ZL29rocblas_internal_gemmt_kernelIlLi16ELi32ELi8ELc67ELc78ELc76ELb0ELb0EdPKdS1_PdEviT_T9_T10_S3_lS5_S3_lS4_T11_S3_li: ; @_ZL29rocblas_internal_gemmt_kernelIlLi16ELi32ELi8ELc67ELc78ELc76ELb0ELb0EdPKdS1_PdEviT_T9_T10_S3_lS5_S3_lS4_T11_S3_li
; %bb.0:
	s_load_dwordx8 s[36:43], s[4:5], 0x48
	s_waitcnt lgkmcnt(0)
	s_load_dwordx2 s[10:11], s[36:37], 0x0
	s_load_dwordx16 s[12:27], s[4:5], 0x8
	s_waitcnt lgkmcnt(0)
	v_cmp_neq_f64_e64 s0, s[10:11], 1.0
	s_load_dwordx2 s[14:15], s[14:15], 0x0
	s_and_b32 vcc_lo, exec_lo, s0
	s_cbranch_vccnz .LBB195_2
; %bb.1:
	s_waitcnt lgkmcnt(0)
	v_cmp_neq_f64_e64 s0, s[14:15], 0
	s_cmp_lg_u64 s[12:13], 0
	s_cselect_b32 s1, -1, 0
	s_and_b32 s0, s1, s0
.LBB195_2:
	s_andn2_b32 vcc_lo, exec_lo, s0
	s_cbranch_vccnz .LBB195_28
; %bb.3:
	s_waitcnt lgkmcnt(0)
	v_cmp_eq_f64_e64 s0, s[14:15], 0
	s_load_dword s4, s[4:5], 0x0
	v_cmp_lt_i64_e64 s1, s[12:13], 1
	v_mov_b32_e32 v10, 0
	v_mov_b32_e32 v6, 0
	;; [unrolled: 1-line block ×8, first 2 shown]
	s_lshl_b32 s5, s6, 5
	s_lshl_b32 s6, s7, 5
	s_or_b32 s0, s0, s1
	s_and_b32 vcc_lo, exec_lo, s0
	s_cbranch_vccnz .LBB195_12
; %bb.4:
	v_lshl_add_u32 v6, v1, 4, v0
	s_mul_i32 s1, s27, s8
	s_mul_hi_u32 s2, s26, s8
	s_mul_i32 s0, s26, s8
	s_add_i32 s1, s2, s1
	v_lshrrev_b32_e32 v7, 3, v6
	v_and_b32_e32 v8, 31, v6
	s_lshl_b64 s[0:1], s[0:1], 3
	s_mul_hi_u32 s3, s20, s8
	s_add_u32 s2, s22, s0
	v_add_nc_u32_e32 v9, s6, v7
	v_or_b32_e32 v10, s5, v8
	s_mul_i32 s0, s21, s8
	s_addc_u32 s7, s23, s1
	s_add_i32 s1, s3, s0
	v_ashrrev_i32_e32 v4, 31, v9
	s_mul_i32 s0, s20, s8
	v_mul_lo_u32 v11, s19, v10
	v_mad_u64_u32 v[2:3], null, s18, v10, 0
	s_lshl_b64 s[0:1], s[0:1], 3
	v_mul_lo_u32 v12, s24, v4
	v_mul_lo_u32 v13, s25, v9
	v_mad_u64_u32 v[4:5], null, s24, v9, 0
	s_add_u32 s3, s16, s0
	s_addc_u32 s1, s17, s1
	s_ashr_i32 s0, s5, 31
	v_and_b32_e32 v16, 7, v0
	s_mul_i32 s0, s18, s0
	v_lshrrev_b32_e32 v17, 5, v6
	v_add3_u32 v3, v3, s0, v11
	v_add3_u32 v5, v5, v12, v13
	v_lshlrev_b32_e32 v6, 3, v8
	v_lshlrev_b32_e32 v8, 3, v16
	s_waitcnt lgkmcnt(0)
	v_cmp_gt_i32_e64 s0, s4, v10
	v_lshlrev_b64 v[2:3], 3, v[2:3]
	v_lshlrev_b64 v[4:5], 3, v[4:5]
	v_lshl_or_b32 v18, v17, 8, v6
	v_lshl_or_b32 v6, v7, 6, v8
	v_mov_b32_e32 v10, 0
	v_lshlrev_b32_e32 v24, 3, v0
	v_add_co_u32 v19, vcc_lo, s3, v2
	v_add_co_ci_u32_e64 v20, null, s1, v3, vcc_lo
	v_add_co_u32 v22, vcc_lo, s2, v4
	v_add_nc_u32_e32 v21, 0x800, v6
	v_add_co_ci_u32_e64 v23, null, s7, v5, vcc_lo
	v_mov_b32_e32 v2, 0
	v_mov_b32_e32 v4, 0
	v_mov_b32_e32 v6, 0
	v_cmp_gt_i32_e64 s1, s4, v9
	v_lshl_add_u32 v25, v1, 6, 0x800
	v_mov_b32_e32 v3, 0
	v_mov_b32_e32 v5, 0
	;; [unrolled: 1-line block ×5, first 2 shown]
	s_mov_b64 s[2:3], 0
	s_branch .LBB195_6
.LBB195_5:                              ;   in Loop: Header=BB195_6 Depth=1
	s_or_b32 exec_lo, exec_lo, s7
	s_waitcnt vmcnt(0)
	ds_write_b64 v21, v[14:15]
	s_waitcnt lgkmcnt(0)
	s_barrier
	buffer_gl0_inv
	ds_read_b128 v[12:15], v25
	ds_read2_b64 v[26:29], v24 offset1:16
	ds_read_b128 v[30:33], v25 offset:1024
	ds_read_b128 v[34:37], v25 offset:16
	ds_read2_b64 v[38:41], v24 offset0:32 offset1:48
	ds_read_b128 v[42:45], v25 offset:1040
	s_add_u32 s2, s2, 8
	s_addc_u32 s3, s3, 0
	v_cmp_gt_i64_e64 s7, s[12:13], s[2:3]
	s_and_b32 vcc_lo, exec_lo, s7
	s_waitcnt lgkmcnt(4)
	v_fma_f64 v[10:11], v[26:27], v[12:13], v[10:11]
	v_fma_f64 v[6:7], v[28:29], v[12:13], v[6:7]
	s_waitcnt lgkmcnt(3)
	v_fma_f64 v[12:13], v[26:27], v[30:31], v[4:5]
	v_fma_f64 v[26:27], v[28:29], v[30:31], v[2:3]
	ds_read2_b64 v[2:5], v24 offset0:64 offset1:80
	s_waitcnt lgkmcnt(2)
	v_fma_f64 v[28:29], v[38:39], v[14:15], v[10:11]
	v_fma_f64 v[6:7], v[40:41], v[14:15], v[6:7]
	;; [unrolled: 1-line block ×4, first 2 shown]
	ds_read2_b64 v[10:13], v24 offset0:96 offset1:112
	s_waitcnt lgkmcnt(1)
	v_fma_f64 v[30:31], v[2:3], v[34:35], v[28:29]
	v_fma_f64 v[6:7], v[4:5], v[34:35], v[6:7]
	;; [unrolled: 1-line block ×4, first 2 shown]
	ds_read_b128 v[2:5], v25 offset:32
	ds_read2_b64 v[26:29], v24 offset0:128 offset1:144
	s_waitcnt lgkmcnt(2)
	v_fma_f64 v[42:43], v[10:11], v[36:37], v[30:31]
	v_fma_f64 v[6:7], v[12:13], v[36:37], v[6:7]
	;; [unrolled: 1-line block ×4, first 2 shown]
	ds_read_b128 v[10:13], v25 offset:1056
	ds_read_b128 v[30:33], v25 offset:48
	ds_read2_b64 v[34:37], v24 offset0:160 offset1:176
	ds_read_b128 v[38:41], v25 offset:1072
	s_waitcnt lgkmcnt(4)
	v_fma_f64 v[42:43], v[26:27], v[2:3], v[42:43]
	v_fma_f64 v[2:3], v[28:29], v[2:3], v[6:7]
	s_waitcnt lgkmcnt(3)
	v_fma_f64 v[6:7], v[26:27], v[10:11], v[14:15]
	v_fma_f64 v[10:11], v[28:29], v[10:11], v[44:45]
	ds_read2_b64 v[26:29], v24 offset0:192 offset1:208
	s_waitcnt lgkmcnt(2)
	v_fma_f64 v[42:43], v[34:35], v[4:5], v[42:43]
	v_fma_f64 v[2:3], v[36:37], v[4:5], v[2:3]
	;; [unrolled: 1-line block ×4, first 2 shown]
	ds_read2_b64 v[12:15], v24 offset0:224 offset1:240
	s_waitcnt lgkmcnt(0)
	s_barrier
	buffer_gl0_inv
	v_fma_f64 v[10:11], v[26:27], v[30:31], v[42:43]
	v_fma_f64 v[2:3], v[28:29], v[30:31], v[2:3]
	;; [unrolled: 1-line block ×8, first 2 shown]
	s_cbranch_vccz .LBB195_12
.LBB195_6:                              ; =>This Inner Loop Header: Depth=1
	v_mov_b32_e32 v12, 0
	v_mov_b32_e32 v13, 0
	s_and_saveexec_b32 s7, s0
	s_cbranch_execz .LBB195_10
; %bb.7:                                ;   in Loop: Header=BB195_6 Depth=1
	v_mov_b32_e32 v12, 0
	v_add_nc_u32_e32 v8, s2, v17
	v_mov_b32_e32 v13, 0
	s_mov_b32 s9, exec_lo
	v_cmpx_gt_u64_e64 s[12:13], v[8:9]
	s_cbranch_execz .LBB195_9
; %bb.8:                                ;   in Loop: Header=BB195_6 Depth=1
	v_lshlrev_b64 v[12:13], 3, v[8:9]
	v_add_co_u32 v12, vcc_lo, v19, v12
	v_add_co_ci_u32_e64 v13, null, v20, v13, vcc_lo
	global_load_dwordx2 v[12:13], v[12:13], off
.LBB195_9:                              ;   in Loop: Header=BB195_6 Depth=1
	s_or_b32 exec_lo, exec_lo, s9
.LBB195_10:                             ;   in Loop: Header=BB195_6 Depth=1
	s_or_b32 exec_lo, exec_lo, s7
	v_add_nc_u32_e32 v8, s2, v16
	v_mov_b32_e32 v14, 0
	v_mov_b32_e32 v15, 0
	s_waitcnt vmcnt(0)
	ds_write_b64 v18, v[12:13]
	v_cmp_gt_u64_e32 vcc_lo, s[12:13], v[8:9]
	s_and_b32 s9, vcc_lo, s1
	s_and_saveexec_b32 s7, s9
	s_cbranch_execz .LBB195_5
; %bb.11:                               ;   in Loop: Header=BB195_6 Depth=1
	v_lshlrev_b64 v[12:13], 3, v[8:9]
	v_add_co_u32 v12, vcc_lo, v22, v12
	v_add_co_ci_u32_e64 v13, null, v23, v13, vcc_lo
	global_load_dwordx2 v[14:15], v[12:13], off
	s_branch .LBB195_5
.LBB195_12:
	v_add_nc_u32_e32 v13, s6, v1
	s_mul_i32 s1, s43, s8
	s_mul_hi_u32 s2, s42, s8
	s_mul_i32 s0, s42, s8
	s_add_i32 s1, s2, s1
	v_ashrrev_i32_e32 v1, 31, v13
	v_cmp_neq_f64_e64 s2, s[10:11], 0
	v_mul_lo_u32 v12, s41, v13
	v_mad_u64_u32 v[8:9], null, s40, v13, 0
	v_mul_lo_u32 v1, s40, v1
	v_add_nc_u32_e32 v0, s5, v0
	s_lshl_b64 s[6:7], s[0:1], 3
	s_add_u32 s3, s38, s6
	s_addc_u32 s5, s39, s7
	v_cmp_le_i32_e32 vcc_lo, v13, v0
	s_waitcnt lgkmcnt(0)
	v_cmp_gt_i32_e64 s0, s4, v0
	v_add3_u32 v9, v9, v1, v12
	v_ashrrev_i32_e32 v1, 31, v0
	s_and_b32 s6, vcc_lo, s0
	v_lshlrev_b64 v[8:9], 3, v[8:9]
	v_cndmask_b32_e64 v12, 0, 1, s2
	v_add_co_u32 v14, s1, s3, v8
	v_add_co_ci_u32_e64 v15, null, s5, v9, s1
	s_and_saveexec_b32 s1, s6
	s_cbranch_execz .LBB195_16
; %bb.13:
	v_mul_f64 v[8:9], s[14:15], v[10:11]
	v_lshlrev_b64 v[10:11], 3, v[0:1]
	v_add_co_u32 v10, vcc_lo, v14, v10
	v_add_co_ci_u32_e64 v11, null, v15, v11, vcc_lo
	s_andn2_b32 vcc_lo, exec_lo, s2
	s_cbranch_vccnz .LBB195_15
; %bb.14:
	global_load_dwordx2 v[16:17], v[10:11], off
	s_waitcnt vmcnt(0)
	v_fma_f64 v[8:9], s[10:11], v[16:17], v[8:9]
.LBB195_15:
	global_store_dwordx2 v[10:11], v[8:9], off
.LBB195_16:
	s_or_b32 exec_lo, exec_lo, s1
	v_add_nc_u32_e32 v8, 16, v0
	v_cmp_le_i32_e32 vcc_lo, v13, v8
	v_cmp_gt_i32_e64 s1, s4, v8
	v_ashrrev_i32_e32 v9, 31, v8
	s_and_b32 s2, vcc_lo, s1
	s_and_saveexec_b32 s4, s2
	s_cbranch_execz .LBB195_20
; %bb.17:
	v_mul_f64 v[6:7], s[14:15], v[6:7]
	v_lshlrev_b64 v[10:11], 3, v[8:9]
	v_cmp_ne_u32_e32 vcc_lo, 1, v12
	v_add_co_u32 v10, s2, v14, v10
	v_add_co_ci_u32_e64 v11, null, v15, v11, s2
	s_cbranch_vccnz .LBB195_19
; %bb.18:
	global_load_dwordx2 v[14:15], v[10:11], off
	s_waitcnt vmcnt(0)
	v_fma_f64 v[6:7], s[10:11], v[14:15], v[6:7]
.LBB195_19:
	global_store_dwordx2 v[10:11], v[6:7], off
.LBB195_20:
	s_or_b32 exec_lo, exec_lo, s4
	v_add_nc_u32_e32 v10, 16, v13
	v_ashrrev_i32_e32 v11, 31, v10
	v_mul_lo_u32 v13, s41, v10
	v_mad_u64_u32 v[6:7], null, s40, v10, 0
	v_cmp_le_i32_e32 vcc_lo, v10, v0
	v_mul_lo_u32 v11, s40, v11
	s_and_b32 s0, vcc_lo, s0
	v_add3_u32 v7, v7, v11, v13
	v_lshlrev_b64 v[6:7], 3, v[6:7]
	v_add_co_u32 v6, s2, s3, v6
	v_add_co_ci_u32_e64 v7, null, s5, v7, s2
	s_and_saveexec_b32 s2, s0
	s_cbranch_execz .LBB195_24
; %bb.21:
	v_mul_f64 v[4:5], s[14:15], v[4:5]
	v_lshlrev_b64 v[0:1], 3, v[0:1]
	v_cmp_ne_u32_e32 vcc_lo, 1, v12
	v_add_co_u32 v0, s0, v6, v0
	v_add_co_ci_u32_e64 v1, null, v7, v1, s0
	s_cbranch_vccnz .LBB195_23
; %bb.22:
	global_load_dwordx2 v[13:14], v[0:1], off
	s_waitcnt vmcnt(0)
	v_fma_f64 v[4:5], s[10:11], v[13:14], v[4:5]
.LBB195_23:
	global_store_dwordx2 v[0:1], v[4:5], off
.LBB195_24:
	s_or_b32 exec_lo, exec_lo, s2
	v_cmp_le_i32_e32 vcc_lo, v10, v8
	s_and_b32 s0, vcc_lo, s1
	s_and_saveexec_b32 s1, s0
	s_cbranch_execz .LBB195_28
; %bb.25:
	v_mul_f64 v[0:1], s[14:15], v[2:3]
	v_lshlrev_b64 v[2:3], 3, v[8:9]
	v_cmp_ne_u32_e32 vcc_lo, 1, v12
	v_add_co_u32 v2, s0, v6, v2
	v_add_co_ci_u32_e64 v3, null, v7, v3, s0
	s_cbranch_vccnz .LBB195_27
; %bb.26:
	global_load_dwordx2 v[4:5], v[2:3], off
	s_waitcnt vmcnt(0)
	v_fma_f64 v[0:1], s[10:11], v[4:5], v[0:1]
.LBB195_27:
	global_store_dwordx2 v[2:3], v[0:1], off
.LBB195_28:
	s_endpgm
	.section	.rodata,"a",@progbits
	.p2align	6, 0x0
	.amdhsa_kernel _ZL29rocblas_internal_gemmt_kernelIlLi16ELi32ELi8ELc67ELc78ELc76ELb0ELb0EdPKdS1_PdEviT_T9_T10_S3_lS5_S3_lS4_T11_S3_li
		.amdhsa_group_segment_fixed_size 4096
		.amdhsa_private_segment_fixed_size 0
		.amdhsa_kernarg_size 108
		.amdhsa_user_sgpr_count 6
		.amdhsa_user_sgpr_private_segment_buffer 1
		.amdhsa_user_sgpr_dispatch_ptr 0
		.amdhsa_user_sgpr_queue_ptr 0
		.amdhsa_user_sgpr_kernarg_segment_ptr 1
		.amdhsa_user_sgpr_dispatch_id 0
		.amdhsa_user_sgpr_flat_scratch_init 0
		.amdhsa_user_sgpr_private_segment_size 0
		.amdhsa_wavefront_size32 1
		.amdhsa_uses_dynamic_stack 0
		.amdhsa_system_sgpr_private_segment_wavefront_offset 0
		.amdhsa_system_sgpr_workgroup_id_x 1
		.amdhsa_system_sgpr_workgroup_id_y 1
		.amdhsa_system_sgpr_workgroup_id_z 1
		.amdhsa_system_sgpr_workgroup_info 0
		.amdhsa_system_vgpr_workitem_id 1
		.amdhsa_next_free_vgpr 46
		.amdhsa_next_free_sgpr 44
		.amdhsa_reserve_vcc 1
		.amdhsa_reserve_flat_scratch 0
		.amdhsa_float_round_mode_32 0
		.amdhsa_float_round_mode_16_64 0
		.amdhsa_float_denorm_mode_32 3
		.amdhsa_float_denorm_mode_16_64 3
		.amdhsa_dx10_clamp 1
		.amdhsa_ieee_mode 1
		.amdhsa_fp16_overflow 0
		.amdhsa_workgroup_processor_mode 1
		.amdhsa_memory_ordered 1
		.amdhsa_forward_progress 1
		.amdhsa_shared_vgpr_count 0
		.amdhsa_exception_fp_ieee_invalid_op 0
		.amdhsa_exception_fp_denorm_src 0
		.amdhsa_exception_fp_ieee_div_zero 0
		.amdhsa_exception_fp_ieee_overflow 0
		.amdhsa_exception_fp_ieee_underflow 0
		.amdhsa_exception_fp_ieee_inexact 0
		.amdhsa_exception_int_div_zero 0
	.end_amdhsa_kernel
	.section	.text._ZL29rocblas_internal_gemmt_kernelIlLi16ELi32ELi8ELc67ELc78ELc76ELb0ELb0EdPKdS1_PdEviT_T9_T10_S3_lS5_S3_lS4_T11_S3_li,"axG",@progbits,_ZL29rocblas_internal_gemmt_kernelIlLi16ELi32ELi8ELc67ELc78ELc76ELb0ELb0EdPKdS1_PdEviT_T9_T10_S3_lS5_S3_lS4_T11_S3_li,comdat
.Lfunc_end195:
	.size	_ZL29rocblas_internal_gemmt_kernelIlLi16ELi32ELi8ELc67ELc78ELc76ELb0ELb0EdPKdS1_PdEviT_T9_T10_S3_lS5_S3_lS4_T11_S3_li, .Lfunc_end195-_ZL29rocblas_internal_gemmt_kernelIlLi16ELi32ELi8ELc67ELc78ELc76ELb0ELb0EdPKdS1_PdEviT_T9_T10_S3_lS5_S3_lS4_T11_S3_li
                                        ; -- End function
	.set _ZL29rocblas_internal_gemmt_kernelIlLi16ELi32ELi8ELc67ELc78ELc76ELb0ELb0EdPKdS1_PdEviT_T9_T10_S3_lS5_S3_lS4_T11_S3_li.num_vgpr, 46
	.set _ZL29rocblas_internal_gemmt_kernelIlLi16ELi32ELi8ELc67ELc78ELc76ELb0ELb0EdPKdS1_PdEviT_T9_T10_S3_lS5_S3_lS4_T11_S3_li.num_agpr, 0
	.set _ZL29rocblas_internal_gemmt_kernelIlLi16ELi32ELi8ELc67ELc78ELc76ELb0ELb0EdPKdS1_PdEviT_T9_T10_S3_lS5_S3_lS4_T11_S3_li.numbered_sgpr, 44
	.set _ZL29rocblas_internal_gemmt_kernelIlLi16ELi32ELi8ELc67ELc78ELc76ELb0ELb0EdPKdS1_PdEviT_T9_T10_S3_lS5_S3_lS4_T11_S3_li.num_named_barrier, 0
	.set _ZL29rocblas_internal_gemmt_kernelIlLi16ELi32ELi8ELc67ELc78ELc76ELb0ELb0EdPKdS1_PdEviT_T9_T10_S3_lS5_S3_lS4_T11_S3_li.private_seg_size, 0
	.set _ZL29rocblas_internal_gemmt_kernelIlLi16ELi32ELi8ELc67ELc78ELc76ELb0ELb0EdPKdS1_PdEviT_T9_T10_S3_lS5_S3_lS4_T11_S3_li.uses_vcc, 1
	.set _ZL29rocblas_internal_gemmt_kernelIlLi16ELi32ELi8ELc67ELc78ELc76ELb0ELb0EdPKdS1_PdEviT_T9_T10_S3_lS5_S3_lS4_T11_S3_li.uses_flat_scratch, 0
	.set _ZL29rocblas_internal_gemmt_kernelIlLi16ELi32ELi8ELc67ELc78ELc76ELb0ELb0EdPKdS1_PdEviT_T9_T10_S3_lS5_S3_lS4_T11_S3_li.has_dyn_sized_stack, 0
	.set _ZL29rocblas_internal_gemmt_kernelIlLi16ELi32ELi8ELc67ELc78ELc76ELb0ELb0EdPKdS1_PdEviT_T9_T10_S3_lS5_S3_lS4_T11_S3_li.has_recursion, 0
	.set _ZL29rocblas_internal_gemmt_kernelIlLi16ELi32ELi8ELc67ELc78ELc76ELb0ELb0EdPKdS1_PdEviT_T9_T10_S3_lS5_S3_lS4_T11_S3_li.has_indirect_call, 0
	.section	.AMDGPU.csdata,"",@progbits
; Kernel info:
; codeLenInByte = 1692
; TotalNumSgprs: 46
; NumVgprs: 46
; ScratchSize: 0
; MemoryBound: 0
; FloatMode: 240
; IeeeMode: 1
; LDSByteSize: 4096 bytes/workgroup (compile time only)
; SGPRBlocks: 0
; VGPRBlocks: 5
; NumSGPRsForWavesPerEU: 46
; NumVGPRsForWavesPerEU: 46
; Occupancy: 16
; WaveLimiterHint : 0
; COMPUTE_PGM_RSRC2:SCRATCH_EN: 0
; COMPUTE_PGM_RSRC2:USER_SGPR: 6
; COMPUTE_PGM_RSRC2:TRAP_HANDLER: 0
; COMPUTE_PGM_RSRC2:TGID_X_EN: 1
; COMPUTE_PGM_RSRC2:TGID_Y_EN: 1
; COMPUTE_PGM_RSRC2:TGID_Z_EN: 1
; COMPUTE_PGM_RSRC2:TIDIG_COMP_CNT: 1
	.section	.text._ZL29rocblas_internal_gemmt_kernelIlLi16ELi32ELi8ELc67ELc84ELc76ELb0ELb0EdPKdS1_PdEviT_T9_T10_S3_lS5_S3_lS4_T11_S3_li,"axG",@progbits,_ZL29rocblas_internal_gemmt_kernelIlLi16ELi32ELi8ELc67ELc84ELc76ELb0ELb0EdPKdS1_PdEviT_T9_T10_S3_lS5_S3_lS4_T11_S3_li,comdat
	.globl	_ZL29rocblas_internal_gemmt_kernelIlLi16ELi32ELi8ELc67ELc84ELc76ELb0ELb0EdPKdS1_PdEviT_T9_T10_S3_lS5_S3_lS4_T11_S3_li ; -- Begin function _ZL29rocblas_internal_gemmt_kernelIlLi16ELi32ELi8ELc67ELc84ELc76ELb0ELb0EdPKdS1_PdEviT_T9_T10_S3_lS5_S3_lS4_T11_S3_li
	.p2align	8
	.type	_ZL29rocblas_internal_gemmt_kernelIlLi16ELi32ELi8ELc67ELc84ELc76ELb0ELb0EdPKdS1_PdEviT_T9_T10_S3_lS5_S3_lS4_T11_S3_li,@function
_ZL29rocblas_internal_gemmt_kernelIlLi16ELi32ELi8ELc67ELc84ELc76ELb0ELb0EdPKdS1_PdEviT_T9_T10_S3_lS5_S3_lS4_T11_S3_li: ; @_ZL29rocblas_internal_gemmt_kernelIlLi16ELi32ELi8ELc67ELc84ELc76ELb0ELb0EdPKdS1_PdEviT_T9_T10_S3_lS5_S3_lS4_T11_S3_li
; %bb.0:
	s_load_dwordx8 s[36:43], s[4:5], 0x48
	s_waitcnt lgkmcnt(0)
	s_load_dwordx2 s[10:11], s[36:37], 0x0
	s_load_dwordx16 s[12:27], s[4:5], 0x8
	s_waitcnt lgkmcnt(0)
	v_cmp_neq_f64_e64 s0, s[10:11], 1.0
	s_load_dwordx2 s[14:15], s[14:15], 0x0
	s_and_b32 vcc_lo, exec_lo, s0
	s_cbranch_vccnz .LBB196_2
; %bb.1:
	s_waitcnt lgkmcnt(0)
	v_cmp_neq_f64_e64 s0, s[14:15], 0
	s_cmp_lg_u64 s[12:13], 0
	s_cselect_b32 s1, -1, 0
	s_and_b32 s0, s1, s0
.LBB196_2:
	s_andn2_b32 vcc_lo, exec_lo, s0
	s_cbranch_vccnz .LBB196_28
; %bb.3:
	s_waitcnt lgkmcnt(0)
	v_cmp_eq_f64_e64 s0, s[14:15], 0
	s_load_dword s4, s[4:5], 0x0
	v_cmp_lt_i64_e64 s1, s[12:13], 1
	v_mov_b32_e32 v10, 0
	v_mov_b32_e32 v6, 0
	;; [unrolled: 1-line block ×8, first 2 shown]
	s_lshl_b32 s5, s6, 5
	s_lshl_b32 s6, s7, 5
	s_or_b32 s0, s0, s1
	s_and_b32 vcc_lo, exec_lo, s0
	s_cbranch_vccnz .LBB196_12
; %bb.4:
	v_lshl_add_u32 v5, v1, 4, v0
	s_mul_i32 s1, s27, s8
	s_mul_hi_u32 s2, s26, s8
	s_mul_i32 s0, s26, s8
	s_add_i32 s1, s2, s1
	v_and_b32_e32 v6, 31, v5
	s_lshl_b64 s[0:1], s[0:1], 3
	s_mul_i32 s2, s21, s8
	s_add_u32 s3, s22, s0
	s_addc_u32 s7, s23, s1
	v_or_b32_e32 v7, s5, v6
	s_mul_hi_u32 s1, s20, s8
	s_mul_i32 s0, s20, s8
	s_add_i32 s1, s1, s2
	v_lshrrev_b32_e32 v9, 3, v5
	v_mul_lo_u32 v8, s19, v7
	v_mad_u64_u32 v[2:3], null, s18, v7, 0
	s_lshl_b64 s[0:1], s[0:1], 3
	v_add_nc_u32_e32 v4, s6, v9
	s_add_u32 s2, s16, s0
	s_addc_u32 s1, s17, s1
	s_ashr_i32 s0, s5, 31
	v_and_b32_e32 v16, 7, v0
	s_mul_i32 s0, s18, s0
	v_lshrrev_b32_e32 v17, 5, v5
	v_add3_u32 v3, v3, s0, v8
	v_lshlrev_b32_e32 v6, 3, v6
	v_ashrrev_i32_e32 v5, 31, v4
	v_lshlrev_b32_e32 v8, 3, v16
	s_waitcnt lgkmcnt(0)
	v_cmp_gt_i32_e64 s0, s4, v7
	v_lshlrev_b64 v[2:3], 3, v[2:3]
	v_lshl_or_b32 v18, v17, 8, v6
	v_lshlrev_b64 v[5:6], 3, v[4:5]
	v_lshl_or_b32 v7, v9, 6, v8
	v_mov_b32_e32 v10, 0
	v_lshlrev_b32_e32 v24, 3, v0
	v_add_co_u32 v19, vcc_lo, s2, v2
	v_add_co_ci_u32_e64 v20, null, s1, v3, vcc_lo
	v_add_co_u32 v22, vcc_lo, s3, v5
	v_cmp_gt_i32_e64 s1, s4, v4
	v_add_nc_u32_e32 v21, 0x800, v7
	v_add_co_ci_u32_e64 v23, null, s7, v6, vcc_lo
	v_mov_b32_e32 v2, 0
	v_mov_b32_e32 v4, 0
	;; [unrolled: 1-line block ×3, first 2 shown]
	v_lshl_add_u32 v25, v1, 6, 0x800
	v_mov_b32_e32 v3, 0
	v_mov_b32_e32 v5, 0
	;; [unrolled: 1-line block ×5, first 2 shown]
	s_mov_b64 s[2:3], 0
	s_branch .LBB196_6
.LBB196_5:                              ;   in Loop: Header=BB196_6 Depth=1
	s_or_b32 exec_lo, exec_lo, s7
	s_waitcnt vmcnt(0)
	ds_write_b64 v21, v[14:15]
	s_waitcnt lgkmcnt(0)
	s_barrier
	buffer_gl0_inv
	ds_read_b128 v[12:15], v25
	ds_read2_b64 v[26:29], v24 offset1:16
	ds_read_b128 v[30:33], v25 offset:1024
	ds_read_b128 v[34:37], v25 offset:16
	ds_read2_b64 v[38:41], v24 offset0:32 offset1:48
	ds_read_b128 v[42:45], v25 offset:1040
	s_add_u32 s2, s2, 8
	s_addc_u32 s3, s3, 0
	v_cmp_gt_i64_e64 s7, s[12:13], s[2:3]
	s_and_b32 vcc_lo, exec_lo, s7
	s_waitcnt lgkmcnt(4)
	v_fma_f64 v[10:11], v[26:27], v[12:13], v[10:11]
	v_fma_f64 v[6:7], v[28:29], v[12:13], v[6:7]
	s_waitcnt lgkmcnt(3)
	v_fma_f64 v[12:13], v[26:27], v[30:31], v[4:5]
	v_fma_f64 v[26:27], v[28:29], v[30:31], v[2:3]
	ds_read2_b64 v[2:5], v24 offset0:64 offset1:80
	s_waitcnt lgkmcnt(2)
	v_fma_f64 v[28:29], v[38:39], v[14:15], v[10:11]
	v_fma_f64 v[6:7], v[40:41], v[14:15], v[6:7]
	;; [unrolled: 1-line block ×4, first 2 shown]
	ds_read2_b64 v[10:13], v24 offset0:96 offset1:112
	s_waitcnt lgkmcnt(1)
	v_fma_f64 v[30:31], v[2:3], v[34:35], v[28:29]
	v_fma_f64 v[6:7], v[4:5], v[34:35], v[6:7]
	;; [unrolled: 1-line block ×4, first 2 shown]
	ds_read_b128 v[2:5], v25 offset:32
	ds_read2_b64 v[26:29], v24 offset0:128 offset1:144
	s_waitcnt lgkmcnt(2)
	v_fma_f64 v[42:43], v[10:11], v[36:37], v[30:31]
	v_fma_f64 v[6:7], v[12:13], v[36:37], v[6:7]
	;; [unrolled: 1-line block ×4, first 2 shown]
	ds_read_b128 v[10:13], v25 offset:1056
	ds_read_b128 v[30:33], v25 offset:48
	ds_read2_b64 v[34:37], v24 offset0:160 offset1:176
	ds_read_b128 v[38:41], v25 offset:1072
	s_waitcnt lgkmcnt(4)
	v_fma_f64 v[42:43], v[26:27], v[2:3], v[42:43]
	v_fma_f64 v[2:3], v[28:29], v[2:3], v[6:7]
	s_waitcnt lgkmcnt(3)
	v_fma_f64 v[6:7], v[26:27], v[10:11], v[14:15]
	v_fma_f64 v[10:11], v[28:29], v[10:11], v[44:45]
	ds_read2_b64 v[26:29], v24 offset0:192 offset1:208
	s_waitcnt lgkmcnt(2)
	v_fma_f64 v[42:43], v[34:35], v[4:5], v[42:43]
	v_fma_f64 v[2:3], v[36:37], v[4:5], v[2:3]
	;; [unrolled: 1-line block ×4, first 2 shown]
	ds_read2_b64 v[12:15], v24 offset0:224 offset1:240
	s_waitcnt lgkmcnt(0)
	s_barrier
	buffer_gl0_inv
	v_fma_f64 v[10:11], v[26:27], v[30:31], v[42:43]
	v_fma_f64 v[2:3], v[28:29], v[30:31], v[2:3]
	;; [unrolled: 1-line block ×8, first 2 shown]
	s_cbranch_vccz .LBB196_12
.LBB196_6:                              ; =>This Inner Loop Header: Depth=1
	v_mov_b32_e32 v12, 0
	v_mov_b32_e32 v13, 0
	s_and_saveexec_b32 s7, s0
	s_cbranch_execz .LBB196_10
; %bb.7:                                ;   in Loop: Header=BB196_6 Depth=1
	v_mov_b32_e32 v12, 0
	v_add_nc_u32_e32 v8, s2, v17
	v_mov_b32_e32 v13, 0
	s_mov_b32 s9, exec_lo
	v_cmpx_gt_u64_e64 s[12:13], v[8:9]
	s_cbranch_execz .LBB196_9
; %bb.8:                                ;   in Loop: Header=BB196_6 Depth=1
	v_lshlrev_b64 v[12:13], 3, v[8:9]
	v_add_co_u32 v12, vcc_lo, v19, v12
	v_add_co_ci_u32_e64 v13, null, v20, v13, vcc_lo
	global_load_dwordx2 v[12:13], v[12:13], off
.LBB196_9:                              ;   in Loop: Header=BB196_6 Depth=1
	s_or_b32 exec_lo, exec_lo, s9
.LBB196_10:                             ;   in Loop: Header=BB196_6 Depth=1
	s_or_b32 exec_lo, exec_lo, s7
	v_add_nc_u32_e32 v8, s2, v16
	v_mov_b32_e32 v14, 0
	v_mov_b32_e32 v15, 0
	s_waitcnt vmcnt(0)
	ds_write_b64 v18, v[12:13]
	v_cmp_gt_u64_e32 vcc_lo, s[12:13], v[8:9]
	s_and_b32 s9, vcc_lo, s1
	s_and_saveexec_b32 s7, s9
	s_cbranch_execz .LBB196_5
; %bb.11:                               ;   in Loop: Header=BB196_6 Depth=1
	v_mad_u64_u32 v[12:13], null, s24, v8, 0
	v_mad_u64_u32 v[13:14], null, s25, v8, v[13:14]
	v_lshlrev_b64 v[12:13], 3, v[12:13]
	v_add_co_u32 v12, vcc_lo, v22, v12
	v_add_co_ci_u32_e64 v13, null, v23, v13, vcc_lo
	global_load_dwordx2 v[14:15], v[12:13], off
	s_branch .LBB196_5
.LBB196_12:
	v_add_nc_u32_e32 v13, s6, v1
	s_mul_i32 s1, s43, s8
	s_mul_hi_u32 s2, s42, s8
	s_mul_i32 s0, s42, s8
	s_add_i32 s1, s2, s1
	v_ashrrev_i32_e32 v1, 31, v13
	v_cmp_neq_f64_e64 s2, s[10:11], 0
	v_mul_lo_u32 v12, s41, v13
	v_mad_u64_u32 v[8:9], null, s40, v13, 0
	v_mul_lo_u32 v1, s40, v1
	v_add_nc_u32_e32 v0, s5, v0
	s_lshl_b64 s[6:7], s[0:1], 3
	s_add_u32 s3, s38, s6
	s_addc_u32 s5, s39, s7
	v_cmp_le_i32_e32 vcc_lo, v13, v0
	s_waitcnt lgkmcnt(0)
	v_cmp_gt_i32_e64 s0, s4, v0
	v_add3_u32 v9, v9, v1, v12
	v_ashrrev_i32_e32 v1, 31, v0
	s_and_b32 s6, vcc_lo, s0
	v_lshlrev_b64 v[8:9], 3, v[8:9]
	v_cndmask_b32_e64 v12, 0, 1, s2
	v_add_co_u32 v14, s1, s3, v8
	v_add_co_ci_u32_e64 v15, null, s5, v9, s1
	s_and_saveexec_b32 s1, s6
	s_cbranch_execz .LBB196_16
; %bb.13:
	v_mul_f64 v[8:9], s[14:15], v[10:11]
	v_lshlrev_b64 v[10:11], 3, v[0:1]
	v_add_co_u32 v10, vcc_lo, v14, v10
	v_add_co_ci_u32_e64 v11, null, v15, v11, vcc_lo
	s_andn2_b32 vcc_lo, exec_lo, s2
	s_cbranch_vccnz .LBB196_15
; %bb.14:
	global_load_dwordx2 v[16:17], v[10:11], off
	s_waitcnt vmcnt(0)
	v_fma_f64 v[8:9], s[10:11], v[16:17], v[8:9]
.LBB196_15:
	global_store_dwordx2 v[10:11], v[8:9], off
.LBB196_16:
	s_or_b32 exec_lo, exec_lo, s1
	v_add_nc_u32_e32 v8, 16, v0
	v_cmp_le_i32_e32 vcc_lo, v13, v8
	v_cmp_gt_i32_e64 s1, s4, v8
	v_ashrrev_i32_e32 v9, 31, v8
	s_and_b32 s2, vcc_lo, s1
	s_and_saveexec_b32 s4, s2
	s_cbranch_execz .LBB196_20
; %bb.17:
	v_mul_f64 v[6:7], s[14:15], v[6:7]
	v_lshlrev_b64 v[10:11], 3, v[8:9]
	v_cmp_ne_u32_e32 vcc_lo, 1, v12
	v_add_co_u32 v10, s2, v14, v10
	v_add_co_ci_u32_e64 v11, null, v15, v11, s2
	s_cbranch_vccnz .LBB196_19
; %bb.18:
	global_load_dwordx2 v[14:15], v[10:11], off
	s_waitcnt vmcnt(0)
	v_fma_f64 v[6:7], s[10:11], v[14:15], v[6:7]
.LBB196_19:
	global_store_dwordx2 v[10:11], v[6:7], off
.LBB196_20:
	s_or_b32 exec_lo, exec_lo, s4
	v_add_nc_u32_e32 v10, 16, v13
	v_ashrrev_i32_e32 v11, 31, v10
	v_mul_lo_u32 v13, s41, v10
	v_mad_u64_u32 v[6:7], null, s40, v10, 0
	v_cmp_le_i32_e32 vcc_lo, v10, v0
	v_mul_lo_u32 v11, s40, v11
	s_and_b32 s0, vcc_lo, s0
	v_add3_u32 v7, v7, v11, v13
	v_lshlrev_b64 v[6:7], 3, v[6:7]
	v_add_co_u32 v6, s2, s3, v6
	v_add_co_ci_u32_e64 v7, null, s5, v7, s2
	s_and_saveexec_b32 s2, s0
	s_cbranch_execz .LBB196_24
; %bb.21:
	v_mul_f64 v[4:5], s[14:15], v[4:5]
	v_lshlrev_b64 v[0:1], 3, v[0:1]
	v_cmp_ne_u32_e32 vcc_lo, 1, v12
	v_add_co_u32 v0, s0, v6, v0
	v_add_co_ci_u32_e64 v1, null, v7, v1, s0
	s_cbranch_vccnz .LBB196_23
; %bb.22:
	global_load_dwordx2 v[13:14], v[0:1], off
	s_waitcnt vmcnt(0)
	v_fma_f64 v[4:5], s[10:11], v[13:14], v[4:5]
.LBB196_23:
	global_store_dwordx2 v[0:1], v[4:5], off
.LBB196_24:
	s_or_b32 exec_lo, exec_lo, s2
	v_cmp_le_i32_e32 vcc_lo, v10, v8
	s_and_b32 s0, vcc_lo, s1
	s_and_saveexec_b32 s1, s0
	s_cbranch_execz .LBB196_28
; %bb.25:
	v_mul_f64 v[0:1], s[14:15], v[2:3]
	v_lshlrev_b64 v[2:3], 3, v[8:9]
	v_cmp_ne_u32_e32 vcc_lo, 1, v12
	v_add_co_u32 v2, s0, v6, v2
	v_add_co_ci_u32_e64 v3, null, v7, v3, s0
	s_cbranch_vccnz .LBB196_27
; %bb.26:
	global_load_dwordx2 v[4:5], v[2:3], off
	s_waitcnt vmcnt(0)
	v_fma_f64 v[0:1], s[10:11], v[4:5], v[0:1]
.LBB196_27:
	global_store_dwordx2 v[2:3], v[0:1], off
.LBB196_28:
	s_endpgm
	.section	.rodata,"a",@progbits
	.p2align	6, 0x0
	.amdhsa_kernel _ZL29rocblas_internal_gemmt_kernelIlLi16ELi32ELi8ELc67ELc84ELc76ELb0ELb0EdPKdS1_PdEviT_T9_T10_S3_lS5_S3_lS4_T11_S3_li
		.amdhsa_group_segment_fixed_size 4096
		.amdhsa_private_segment_fixed_size 0
		.amdhsa_kernarg_size 108
		.amdhsa_user_sgpr_count 6
		.amdhsa_user_sgpr_private_segment_buffer 1
		.amdhsa_user_sgpr_dispatch_ptr 0
		.amdhsa_user_sgpr_queue_ptr 0
		.amdhsa_user_sgpr_kernarg_segment_ptr 1
		.amdhsa_user_sgpr_dispatch_id 0
		.amdhsa_user_sgpr_flat_scratch_init 0
		.amdhsa_user_sgpr_private_segment_size 0
		.amdhsa_wavefront_size32 1
		.amdhsa_uses_dynamic_stack 0
		.amdhsa_system_sgpr_private_segment_wavefront_offset 0
		.amdhsa_system_sgpr_workgroup_id_x 1
		.amdhsa_system_sgpr_workgroup_id_y 1
		.amdhsa_system_sgpr_workgroup_id_z 1
		.amdhsa_system_sgpr_workgroup_info 0
		.amdhsa_system_vgpr_workitem_id 1
		.amdhsa_next_free_vgpr 46
		.amdhsa_next_free_sgpr 44
		.amdhsa_reserve_vcc 1
		.amdhsa_reserve_flat_scratch 0
		.amdhsa_float_round_mode_32 0
		.amdhsa_float_round_mode_16_64 0
		.amdhsa_float_denorm_mode_32 3
		.amdhsa_float_denorm_mode_16_64 3
		.amdhsa_dx10_clamp 1
		.amdhsa_ieee_mode 1
		.amdhsa_fp16_overflow 0
		.amdhsa_workgroup_processor_mode 1
		.amdhsa_memory_ordered 1
		.amdhsa_forward_progress 1
		.amdhsa_shared_vgpr_count 0
		.amdhsa_exception_fp_ieee_invalid_op 0
		.amdhsa_exception_fp_denorm_src 0
		.amdhsa_exception_fp_ieee_div_zero 0
		.amdhsa_exception_fp_ieee_overflow 0
		.amdhsa_exception_fp_ieee_underflow 0
		.amdhsa_exception_fp_ieee_inexact 0
		.amdhsa_exception_int_div_zero 0
	.end_amdhsa_kernel
	.section	.text._ZL29rocblas_internal_gemmt_kernelIlLi16ELi32ELi8ELc67ELc84ELc76ELb0ELb0EdPKdS1_PdEviT_T9_T10_S3_lS5_S3_lS4_T11_S3_li,"axG",@progbits,_ZL29rocblas_internal_gemmt_kernelIlLi16ELi32ELi8ELc67ELc84ELc76ELb0ELb0EdPKdS1_PdEviT_T9_T10_S3_lS5_S3_lS4_T11_S3_li,comdat
.Lfunc_end196:
	.size	_ZL29rocblas_internal_gemmt_kernelIlLi16ELi32ELi8ELc67ELc84ELc76ELb0ELb0EdPKdS1_PdEviT_T9_T10_S3_lS5_S3_lS4_T11_S3_li, .Lfunc_end196-_ZL29rocblas_internal_gemmt_kernelIlLi16ELi32ELi8ELc67ELc84ELc76ELb0ELb0EdPKdS1_PdEviT_T9_T10_S3_lS5_S3_lS4_T11_S3_li
                                        ; -- End function
	.set _ZL29rocblas_internal_gemmt_kernelIlLi16ELi32ELi8ELc67ELc84ELc76ELb0ELb0EdPKdS1_PdEviT_T9_T10_S3_lS5_S3_lS4_T11_S3_li.num_vgpr, 46
	.set _ZL29rocblas_internal_gemmt_kernelIlLi16ELi32ELi8ELc67ELc84ELc76ELb0ELb0EdPKdS1_PdEviT_T9_T10_S3_lS5_S3_lS4_T11_S3_li.num_agpr, 0
	.set _ZL29rocblas_internal_gemmt_kernelIlLi16ELi32ELi8ELc67ELc84ELc76ELb0ELb0EdPKdS1_PdEviT_T9_T10_S3_lS5_S3_lS4_T11_S3_li.numbered_sgpr, 44
	.set _ZL29rocblas_internal_gemmt_kernelIlLi16ELi32ELi8ELc67ELc84ELc76ELb0ELb0EdPKdS1_PdEviT_T9_T10_S3_lS5_S3_lS4_T11_S3_li.num_named_barrier, 0
	.set _ZL29rocblas_internal_gemmt_kernelIlLi16ELi32ELi8ELc67ELc84ELc76ELb0ELb0EdPKdS1_PdEviT_T9_T10_S3_lS5_S3_lS4_T11_S3_li.private_seg_size, 0
	.set _ZL29rocblas_internal_gemmt_kernelIlLi16ELi32ELi8ELc67ELc84ELc76ELb0ELb0EdPKdS1_PdEviT_T9_T10_S3_lS5_S3_lS4_T11_S3_li.uses_vcc, 1
	.set _ZL29rocblas_internal_gemmt_kernelIlLi16ELi32ELi8ELc67ELc84ELc76ELb0ELb0EdPKdS1_PdEviT_T9_T10_S3_lS5_S3_lS4_T11_S3_li.uses_flat_scratch, 0
	.set _ZL29rocblas_internal_gemmt_kernelIlLi16ELi32ELi8ELc67ELc84ELc76ELb0ELb0EdPKdS1_PdEviT_T9_T10_S3_lS5_S3_lS4_T11_S3_li.has_dyn_sized_stack, 0
	.set _ZL29rocblas_internal_gemmt_kernelIlLi16ELi32ELi8ELc67ELc84ELc76ELb0ELb0EdPKdS1_PdEviT_T9_T10_S3_lS5_S3_lS4_T11_S3_li.has_recursion, 0
	.set _ZL29rocblas_internal_gemmt_kernelIlLi16ELi32ELi8ELc67ELc84ELc76ELb0ELb0EdPKdS1_PdEviT_T9_T10_S3_lS5_S3_lS4_T11_S3_li.has_indirect_call, 0
	.section	.AMDGPU.csdata,"",@progbits
; Kernel info:
; codeLenInByte = 1676
; TotalNumSgprs: 46
; NumVgprs: 46
; ScratchSize: 0
; MemoryBound: 0
; FloatMode: 240
; IeeeMode: 1
; LDSByteSize: 4096 bytes/workgroup (compile time only)
; SGPRBlocks: 0
; VGPRBlocks: 5
; NumSGPRsForWavesPerEU: 46
; NumVGPRsForWavesPerEU: 46
; Occupancy: 16
; WaveLimiterHint : 0
; COMPUTE_PGM_RSRC2:SCRATCH_EN: 0
; COMPUTE_PGM_RSRC2:USER_SGPR: 6
; COMPUTE_PGM_RSRC2:TRAP_HANDLER: 0
; COMPUTE_PGM_RSRC2:TGID_X_EN: 1
; COMPUTE_PGM_RSRC2:TGID_Y_EN: 1
; COMPUTE_PGM_RSRC2:TGID_Z_EN: 1
; COMPUTE_PGM_RSRC2:TIDIG_COMP_CNT: 1
	.section	.text._ZL29rocblas_internal_gemmt_kernelIlLi16ELi32ELi8ELc67ELc67ELc76ELb0ELb0EdPKdS1_PdEviT_T9_T10_S3_lS5_S3_lS4_T11_S3_li,"axG",@progbits,_ZL29rocblas_internal_gemmt_kernelIlLi16ELi32ELi8ELc67ELc67ELc76ELb0ELb0EdPKdS1_PdEviT_T9_T10_S3_lS5_S3_lS4_T11_S3_li,comdat
	.globl	_ZL29rocblas_internal_gemmt_kernelIlLi16ELi32ELi8ELc67ELc67ELc76ELb0ELb0EdPKdS1_PdEviT_T9_T10_S3_lS5_S3_lS4_T11_S3_li ; -- Begin function _ZL29rocblas_internal_gemmt_kernelIlLi16ELi32ELi8ELc67ELc67ELc76ELb0ELb0EdPKdS1_PdEviT_T9_T10_S3_lS5_S3_lS4_T11_S3_li
	.p2align	8
	.type	_ZL29rocblas_internal_gemmt_kernelIlLi16ELi32ELi8ELc67ELc67ELc76ELb0ELb0EdPKdS1_PdEviT_T9_T10_S3_lS5_S3_lS4_T11_S3_li,@function
_ZL29rocblas_internal_gemmt_kernelIlLi16ELi32ELi8ELc67ELc67ELc76ELb0ELb0EdPKdS1_PdEviT_T9_T10_S3_lS5_S3_lS4_T11_S3_li: ; @_ZL29rocblas_internal_gemmt_kernelIlLi16ELi32ELi8ELc67ELc67ELc76ELb0ELb0EdPKdS1_PdEviT_T9_T10_S3_lS5_S3_lS4_T11_S3_li
; %bb.0:
	s_load_dwordx8 s[36:43], s[4:5], 0x48
	s_waitcnt lgkmcnt(0)
	s_load_dwordx2 s[10:11], s[36:37], 0x0
	s_load_dwordx16 s[12:27], s[4:5], 0x8
	s_waitcnt lgkmcnt(0)
	v_cmp_neq_f64_e64 s0, s[10:11], 1.0
	s_load_dwordx2 s[14:15], s[14:15], 0x0
	s_and_b32 vcc_lo, exec_lo, s0
	s_cbranch_vccnz .LBB197_2
; %bb.1:
	s_waitcnt lgkmcnt(0)
	v_cmp_neq_f64_e64 s0, s[14:15], 0
	s_cmp_lg_u64 s[12:13], 0
	s_cselect_b32 s1, -1, 0
	s_and_b32 s0, s1, s0
.LBB197_2:
	s_andn2_b32 vcc_lo, exec_lo, s0
	s_cbranch_vccnz .LBB197_28
; %bb.3:
	s_waitcnt lgkmcnt(0)
	v_cmp_eq_f64_e64 s0, s[14:15], 0
	s_load_dword s4, s[4:5], 0x0
	v_cmp_lt_i64_e64 s1, s[12:13], 1
	v_mov_b32_e32 v10, 0
	v_mov_b32_e32 v6, 0
	;; [unrolled: 1-line block ×8, first 2 shown]
	s_lshl_b32 s5, s6, 5
	s_lshl_b32 s6, s7, 5
	s_or_b32 s0, s0, s1
	s_and_b32 vcc_lo, exec_lo, s0
	s_cbranch_vccnz .LBB197_12
; %bb.4:
	v_lshl_add_u32 v5, v1, 4, v0
	s_mul_i32 s1, s27, s8
	s_mul_hi_u32 s2, s26, s8
	s_mul_i32 s0, s26, s8
	s_add_i32 s1, s2, s1
	v_and_b32_e32 v6, 31, v5
	s_lshl_b64 s[0:1], s[0:1], 3
	s_mul_i32 s2, s21, s8
	s_add_u32 s3, s22, s0
	s_addc_u32 s7, s23, s1
	v_or_b32_e32 v7, s5, v6
	s_mul_hi_u32 s1, s20, s8
	s_mul_i32 s0, s20, s8
	s_add_i32 s1, s1, s2
	v_lshrrev_b32_e32 v9, 3, v5
	v_mul_lo_u32 v8, s19, v7
	v_mad_u64_u32 v[2:3], null, s18, v7, 0
	s_lshl_b64 s[0:1], s[0:1], 3
	v_add_nc_u32_e32 v4, s6, v9
	s_add_u32 s2, s16, s0
	s_addc_u32 s1, s17, s1
	s_ashr_i32 s0, s5, 31
	v_and_b32_e32 v16, 7, v0
	s_mul_i32 s0, s18, s0
	v_lshrrev_b32_e32 v17, 5, v5
	v_add3_u32 v3, v3, s0, v8
	v_lshlrev_b32_e32 v6, 3, v6
	v_ashrrev_i32_e32 v5, 31, v4
	v_lshlrev_b32_e32 v8, 3, v16
	s_waitcnt lgkmcnt(0)
	v_cmp_gt_i32_e64 s0, s4, v7
	v_lshlrev_b64 v[2:3], 3, v[2:3]
	v_lshl_or_b32 v18, v17, 8, v6
	v_lshlrev_b64 v[5:6], 3, v[4:5]
	v_lshl_or_b32 v7, v9, 6, v8
	v_mov_b32_e32 v10, 0
	v_lshlrev_b32_e32 v24, 3, v0
	v_add_co_u32 v19, vcc_lo, s2, v2
	v_add_co_ci_u32_e64 v20, null, s1, v3, vcc_lo
	v_add_co_u32 v22, vcc_lo, s3, v5
	v_cmp_gt_i32_e64 s1, s4, v4
	v_add_nc_u32_e32 v21, 0x800, v7
	v_add_co_ci_u32_e64 v23, null, s7, v6, vcc_lo
	v_mov_b32_e32 v2, 0
	v_mov_b32_e32 v4, 0
	;; [unrolled: 1-line block ×3, first 2 shown]
	v_lshl_add_u32 v25, v1, 6, 0x800
	v_mov_b32_e32 v3, 0
	v_mov_b32_e32 v5, 0
	;; [unrolled: 1-line block ×5, first 2 shown]
	s_mov_b64 s[2:3], 0
	s_branch .LBB197_6
.LBB197_5:                              ;   in Loop: Header=BB197_6 Depth=1
	s_or_b32 exec_lo, exec_lo, s7
	s_waitcnt vmcnt(0)
	ds_write_b64 v21, v[14:15]
	s_waitcnt lgkmcnt(0)
	s_barrier
	buffer_gl0_inv
	ds_read_b128 v[12:15], v25
	ds_read2_b64 v[26:29], v24 offset1:16
	ds_read_b128 v[30:33], v25 offset:1024
	ds_read_b128 v[34:37], v25 offset:16
	ds_read2_b64 v[38:41], v24 offset0:32 offset1:48
	ds_read_b128 v[42:45], v25 offset:1040
	s_add_u32 s2, s2, 8
	s_addc_u32 s3, s3, 0
	v_cmp_gt_i64_e64 s7, s[12:13], s[2:3]
	s_and_b32 vcc_lo, exec_lo, s7
	s_waitcnt lgkmcnt(4)
	v_fma_f64 v[10:11], v[26:27], v[12:13], v[10:11]
	v_fma_f64 v[6:7], v[28:29], v[12:13], v[6:7]
	s_waitcnt lgkmcnt(3)
	v_fma_f64 v[12:13], v[26:27], v[30:31], v[4:5]
	v_fma_f64 v[26:27], v[28:29], v[30:31], v[2:3]
	ds_read2_b64 v[2:5], v24 offset0:64 offset1:80
	s_waitcnt lgkmcnt(2)
	v_fma_f64 v[28:29], v[38:39], v[14:15], v[10:11]
	v_fma_f64 v[6:7], v[40:41], v[14:15], v[6:7]
	;; [unrolled: 1-line block ×4, first 2 shown]
	ds_read2_b64 v[10:13], v24 offset0:96 offset1:112
	s_waitcnt lgkmcnt(1)
	v_fma_f64 v[30:31], v[2:3], v[34:35], v[28:29]
	v_fma_f64 v[6:7], v[4:5], v[34:35], v[6:7]
	;; [unrolled: 1-line block ×4, first 2 shown]
	ds_read_b128 v[2:5], v25 offset:32
	ds_read2_b64 v[26:29], v24 offset0:128 offset1:144
	s_waitcnt lgkmcnt(2)
	v_fma_f64 v[42:43], v[10:11], v[36:37], v[30:31]
	v_fma_f64 v[6:7], v[12:13], v[36:37], v[6:7]
	;; [unrolled: 1-line block ×4, first 2 shown]
	ds_read_b128 v[10:13], v25 offset:1056
	ds_read_b128 v[30:33], v25 offset:48
	ds_read2_b64 v[34:37], v24 offset0:160 offset1:176
	ds_read_b128 v[38:41], v25 offset:1072
	s_waitcnt lgkmcnt(4)
	v_fma_f64 v[42:43], v[26:27], v[2:3], v[42:43]
	v_fma_f64 v[2:3], v[28:29], v[2:3], v[6:7]
	s_waitcnt lgkmcnt(3)
	v_fma_f64 v[6:7], v[26:27], v[10:11], v[14:15]
	v_fma_f64 v[10:11], v[28:29], v[10:11], v[44:45]
	ds_read2_b64 v[26:29], v24 offset0:192 offset1:208
	s_waitcnt lgkmcnt(2)
	v_fma_f64 v[42:43], v[34:35], v[4:5], v[42:43]
	v_fma_f64 v[2:3], v[36:37], v[4:5], v[2:3]
	;; [unrolled: 1-line block ×4, first 2 shown]
	ds_read2_b64 v[12:15], v24 offset0:224 offset1:240
	s_waitcnt lgkmcnt(0)
	s_barrier
	buffer_gl0_inv
	v_fma_f64 v[10:11], v[26:27], v[30:31], v[42:43]
	v_fma_f64 v[2:3], v[28:29], v[30:31], v[2:3]
	v_fma_f64 v[4:5], v[26:27], v[38:39], v[4:5]
	v_fma_f64 v[26:27], v[28:29], v[38:39], v[6:7]
	v_fma_f64 v[10:11], v[12:13], v[32:33], v[10:11]
	v_fma_f64 v[6:7], v[14:15], v[32:33], v[2:3]
	v_fma_f64 v[4:5], v[12:13], v[40:41], v[4:5]
	v_fma_f64 v[2:3], v[14:15], v[40:41], v[26:27]
	s_cbranch_vccz .LBB197_12
.LBB197_6:                              ; =>This Inner Loop Header: Depth=1
	v_mov_b32_e32 v12, 0
	v_mov_b32_e32 v13, 0
	s_and_saveexec_b32 s7, s0
	s_cbranch_execz .LBB197_10
; %bb.7:                                ;   in Loop: Header=BB197_6 Depth=1
	v_mov_b32_e32 v12, 0
	v_add_nc_u32_e32 v8, s2, v17
	v_mov_b32_e32 v13, 0
	s_mov_b32 s9, exec_lo
	v_cmpx_gt_u64_e64 s[12:13], v[8:9]
	s_cbranch_execz .LBB197_9
; %bb.8:                                ;   in Loop: Header=BB197_6 Depth=1
	v_lshlrev_b64 v[12:13], 3, v[8:9]
	v_add_co_u32 v12, vcc_lo, v19, v12
	v_add_co_ci_u32_e64 v13, null, v20, v13, vcc_lo
	global_load_dwordx2 v[12:13], v[12:13], off
.LBB197_9:                              ;   in Loop: Header=BB197_6 Depth=1
	s_or_b32 exec_lo, exec_lo, s9
.LBB197_10:                             ;   in Loop: Header=BB197_6 Depth=1
	s_or_b32 exec_lo, exec_lo, s7
	v_add_nc_u32_e32 v8, s2, v16
	v_mov_b32_e32 v14, 0
	v_mov_b32_e32 v15, 0
	s_waitcnt vmcnt(0)
	ds_write_b64 v18, v[12:13]
	v_cmp_gt_u64_e32 vcc_lo, s[12:13], v[8:9]
	s_and_b32 s9, vcc_lo, s1
	s_and_saveexec_b32 s7, s9
	s_cbranch_execz .LBB197_5
; %bb.11:                               ;   in Loop: Header=BB197_6 Depth=1
	v_mad_u64_u32 v[12:13], null, s24, v8, 0
	v_mad_u64_u32 v[13:14], null, s25, v8, v[13:14]
	v_lshlrev_b64 v[12:13], 3, v[12:13]
	v_add_co_u32 v12, vcc_lo, v22, v12
	v_add_co_ci_u32_e64 v13, null, v23, v13, vcc_lo
	global_load_dwordx2 v[14:15], v[12:13], off
	s_branch .LBB197_5
.LBB197_12:
	v_add_nc_u32_e32 v13, s6, v1
	s_mul_i32 s1, s43, s8
	s_mul_hi_u32 s2, s42, s8
	s_mul_i32 s0, s42, s8
	s_add_i32 s1, s2, s1
	v_ashrrev_i32_e32 v1, 31, v13
	v_cmp_neq_f64_e64 s2, s[10:11], 0
	v_mul_lo_u32 v12, s41, v13
	v_mad_u64_u32 v[8:9], null, s40, v13, 0
	v_mul_lo_u32 v1, s40, v1
	v_add_nc_u32_e32 v0, s5, v0
	s_lshl_b64 s[6:7], s[0:1], 3
	s_add_u32 s3, s38, s6
	s_addc_u32 s5, s39, s7
	v_cmp_le_i32_e32 vcc_lo, v13, v0
	s_waitcnt lgkmcnt(0)
	v_cmp_gt_i32_e64 s0, s4, v0
	v_add3_u32 v9, v9, v1, v12
	v_ashrrev_i32_e32 v1, 31, v0
	s_and_b32 s6, vcc_lo, s0
	v_lshlrev_b64 v[8:9], 3, v[8:9]
	v_cndmask_b32_e64 v12, 0, 1, s2
	v_add_co_u32 v14, s1, s3, v8
	v_add_co_ci_u32_e64 v15, null, s5, v9, s1
	s_and_saveexec_b32 s1, s6
	s_cbranch_execz .LBB197_16
; %bb.13:
	v_mul_f64 v[8:9], s[14:15], v[10:11]
	v_lshlrev_b64 v[10:11], 3, v[0:1]
	v_add_co_u32 v10, vcc_lo, v14, v10
	v_add_co_ci_u32_e64 v11, null, v15, v11, vcc_lo
	s_andn2_b32 vcc_lo, exec_lo, s2
	s_cbranch_vccnz .LBB197_15
; %bb.14:
	global_load_dwordx2 v[16:17], v[10:11], off
	s_waitcnt vmcnt(0)
	v_fma_f64 v[8:9], s[10:11], v[16:17], v[8:9]
.LBB197_15:
	global_store_dwordx2 v[10:11], v[8:9], off
.LBB197_16:
	s_or_b32 exec_lo, exec_lo, s1
	v_add_nc_u32_e32 v8, 16, v0
	v_cmp_le_i32_e32 vcc_lo, v13, v8
	v_cmp_gt_i32_e64 s1, s4, v8
	v_ashrrev_i32_e32 v9, 31, v8
	s_and_b32 s2, vcc_lo, s1
	s_and_saveexec_b32 s4, s2
	s_cbranch_execz .LBB197_20
; %bb.17:
	v_mul_f64 v[6:7], s[14:15], v[6:7]
	v_lshlrev_b64 v[10:11], 3, v[8:9]
	v_cmp_ne_u32_e32 vcc_lo, 1, v12
	v_add_co_u32 v10, s2, v14, v10
	v_add_co_ci_u32_e64 v11, null, v15, v11, s2
	s_cbranch_vccnz .LBB197_19
; %bb.18:
	global_load_dwordx2 v[14:15], v[10:11], off
	s_waitcnt vmcnt(0)
	v_fma_f64 v[6:7], s[10:11], v[14:15], v[6:7]
.LBB197_19:
	global_store_dwordx2 v[10:11], v[6:7], off
.LBB197_20:
	s_or_b32 exec_lo, exec_lo, s4
	v_add_nc_u32_e32 v10, 16, v13
	v_ashrrev_i32_e32 v11, 31, v10
	v_mul_lo_u32 v13, s41, v10
	v_mad_u64_u32 v[6:7], null, s40, v10, 0
	v_cmp_le_i32_e32 vcc_lo, v10, v0
	v_mul_lo_u32 v11, s40, v11
	s_and_b32 s0, vcc_lo, s0
	v_add3_u32 v7, v7, v11, v13
	v_lshlrev_b64 v[6:7], 3, v[6:7]
	v_add_co_u32 v6, s2, s3, v6
	v_add_co_ci_u32_e64 v7, null, s5, v7, s2
	s_and_saveexec_b32 s2, s0
	s_cbranch_execz .LBB197_24
; %bb.21:
	v_mul_f64 v[4:5], s[14:15], v[4:5]
	v_lshlrev_b64 v[0:1], 3, v[0:1]
	v_cmp_ne_u32_e32 vcc_lo, 1, v12
	v_add_co_u32 v0, s0, v6, v0
	v_add_co_ci_u32_e64 v1, null, v7, v1, s0
	s_cbranch_vccnz .LBB197_23
; %bb.22:
	global_load_dwordx2 v[13:14], v[0:1], off
	s_waitcnt vmcnt(0)
	v_fma_f64 v[4:5], s[10:11], v[13:14], v[4:5]
.LBB197_23:
	global_store_dwordx2 v[0:1], v[4:5], off
.LBB197_24:
	s_or_b32 exec_lo, exec_lo, s2
	v_cmp_le_i32_e32 vcc_lo, v10, v8
	s_and_b32 s0, vcc_lo, s1
	s_and_saveexec_b32 s1, s0
	s_cbranch_execz .LBB197_28
; %bb.25:
	v_mul_f64 v[0:1], s[14:15], v[2:3]
	v_lshlrev_b64 v[2:3], 3, v[8:9]
	v_cmp_ne_u32_e32 vcc_lo, 1, v12
	v_add_co_u32 v2, s0, v6, v2
	v_add_co_ci_u32_e64 v3, null, v7, v3, s0
	s_cbranch_vccnz .LBB197_27
; %bb.26:
	global_load_dwordx2 v[4:5], v[2:3], off
	s_waitcnt vmcnt(0)
	v_fma_f64 v[0:1], s[10:11], v[4:5], v[0:1]
.LBB197_27:
	global_store_dwordx2 v[2:3], v[0:1], off
.LBB197_28:
	s_endpgm
	.section	.rodata,"a",@progbits
	.p2align	6, 0x0
	.amdhsa_kernel _ZL29rocblas_internal_gemmt_kernelIlLi16ELi32ELi8ELc67ELc67ELc76ELb0ELb0EdPKdS1_PdEviT_T9_T10_S3_lS5_S3_lS4_T11_S3_li
		.amdhsa_group_segment_fixed_size 4096
		.amdhsa_private_segment_fixed_size 0
		.amdhsa_kernarg_size 108
		.amdhsa_user_sgpr_count 6
		.amdhsa_user_sgpr_private_segment_buffer 1
		.amdhsa_user_sgpr_dispatch_ptr 0
		.amdhsa_user_sgpr_queue_ptr 0
		.amdhsa_user_sgpr_kernarg_segment_ptr 1
		.amdhsa_user_sgpr_dispatch_id 0
		.amdhsa_user_sgpr_flat_scratch_init 0
		.amdhsa_user_sgpr_private_segment_size 0
		.amdhsa_wavefront_size32 1
		.amdhsa_uses_dynamic_stack 0
		.amdhsa_system_sgpr_private_segment_wavefront_offset 0
		.amdhsa_system_sgpr_workgroup_id_x 1
		.amdhsa_system_sgpr_workgroup_id_y 1
		.amdhsa_system_sgpr_workgroup_id_z 1
		.amdhsa_system_sgpr_workgroup_info 0
		.amdhsa_system_vgpr_workitem_id 1
		.amdhsa_next_free_vgpr 46
		.amdhsa_next_free_sgpr 44
		.amdhsa_reserve_vcc 1
		.amdhsa_reserve_flat_scratch 0
		.amdhsa_float_round_mode_32 0
		.amdhsa_float_round_mode_16_64 0
		.amdhsa_float_denorm_mode_32 3
		.amdhsa_float_denorm_mode_16_64 3
		.amdhsa_dx10_clamp 1
		.amdhsa_ieee_mode 1
		.amdhsa_fp16_overflow 0
		.amdhsa_workgroup_processor_mode 1
		.amdhsa_memory_ordered 1
		.amdhsa_forward_progress 1
		.amdhsa_shared_vgpr_count 0
		.amdhsa_exception_fp_ieee_invalid_op 0
		.amdhsa_exception_fp_denorm_src 0
		.amdhsa_exception_fp_ieee_div_zero 0
		.amdhsa_exception_fp_ieee_overflow 0
		.amdhsa_exception_fp_ieee_underflow 0
		.amdhsa_exception_fp_ieee_inexact 0
		.amdhsa_exception_int_div_zero 0
	.end_amdhsa_kernel
	.section	.text._ZL29rocblas_internal_gemmt_kernelIlLi16ELi32ELi8ELc67ELc67ELc76ELb0ELb0EdPKdS1_PdEviT_T9_T10_S3_lS5_S3_lS4_T11_S3_li,"axG",@progbits,_ZL29rocblas_internal_gemmt_kernelIlLi16ELi32ELi8ELc67ELc67ELc76ELb0ELb0EdPKdS1_PdEviT_T9_T10_S3_lS5_S3_lS4_T11_S3_li,comdat
.Lfunc_end197:
	.size	_ZL29rocblas_internal_gemmt_kernelIlLi16ELi32ELi8ELc67ELc67ELc76ELb0ELb0EdPKdS1_PdEviT_T9_T10_S3_lS5_S3_lS4_T11_S3_li, .Lfunc_end197-_ZL29rocblas_internal_gemmt_kernelIlLi16ELi32ELi8ELc67ELc67ELc76ELb0ELb0EdPKdS1_PdEviT_T9_T10_S3_lS5_S3_lS4_T11_S3_li
                                        ; -- End function
	.set _ZL29rocblas_internal_gemmt_kernelIlLi16ELi32ELi8ELc67ELc67ELc76ELb0ELb0EdPKdS1_PdEviT_T9_T10_S3_lS5_S3_lS4_T11_S3_li.num_vgpr, 46
	.set _ZL29rocblas_internal_gemmt_kernelIlLi16ELi32ELi8ELc67ELc67ELc76ELb0ELb0EdPKdS1_PdEviT_T9_T10_S3_lS5_S3_lS4_T11_S3_li.num_agpr, 0
	.set _ZL29rocblas_internal_gemmt_kernelIlLi16ELi32ELi8ELc67ELc67ELc76ELb0ELb0EdPKdS1_PdEviT_T9_T10_S3_lS5_S3_lS4_T11_S3_li.numbered_sgpr, 44
	.set _ZL29rocblas_internal_gemmt_kernelIlLi16ELi32ELi8ELc67ELc67ELc76ELb0ELb0EdPKdS1_PdEviT_T9_T10_S3_lS5_S3_lS4_T11_S3_li.num_named_barrier, 0
	.set _ZL29rocblas_internal_gemmt_kernelIlLi16ELi32ELi8ELc67ELc67ELc76ELb0ELb0EdPKdS1_PdEviT_T9_T10_S3_lS5_S3_lS4_T11_S3_li.private_seg_size, 0
	.set _ZL29rocblas_internal_gemmt_kernelIlLi16ELi32ELi8ELc67ELc67ELc76ELb0ELb0EdPKdS1_PdEviT_T9_T10_S3_lS5_S3_lS4_T11_S3_li.uses_vcc, 1
	.set _ZL29rocblas_internal_gemmt_kernelIlLi16ELi32ELi8ELc67ELc67ELc76ELb0ELb0EdPKdS1_PdEviT_T9_T10_S3_lS5_S3_lS4_T11_S3_li.uses_flat_scratch, 0
	.set _ZL29rocblas_internal_gemmt_kernelIlLi16ELi32ELi8ELc67ELc67ELc76ELb0ELb0EdPKdS1_PdEviT_T9_T10_S3_lS5_S3_lS4_T11_S3_li.has_dyn_sized_stack, 0
	.set _ZL29rocblas_internal_gemmt_kernelIlLi16ELi32ELi8ELc67ELc67ELc76ELb0ELb0EdPKdS1_PdEviT_T9_T10_S3_lS5_S3_lS4_T11_S3_li.has_recursion, 0
	.set _ZL29rocblas_internal_gemmt_kernelIlLi16ELi32ELi8ELc67ELc67ELc76ELb0ELb0EdPKdS1_PdEviT_T9_T10_S3_lS5_S3_lS4_T11_S3_li.has_indirect_call, 0
	.section	.AMDGPU.csdata,"",@progbits
; Kernel info:
; codeLenInByte = 1676
; TotalNumSgprs: 46
; NumVgprs: 46
; ScratchSize: 0
; MemoryBound: 0
; FloatMode: 240
; IeeeMode: 1
; LDSByteSize: 4096 bytes/workgroup (compile time only)
; SGPRBlocks: 0
; VGPRBlocks: 5
; NumSGPRsForWavesPerEU: 46
; NumVGPRsForWavesPerEU: 46
; Occupancy: 16
; WaveLimiterHint : 0
; COMPUTE_PGM_RSRC2:SCRATCH_EN: 0
; COMPUTE_PGM_RSRC2:USER_SGPR: 6
; COMPUTE_PGM_RSRC2:TRAP_HANDLER: 0
; COMPUTE_PGM_RSRC2:TGID_X_EN: 1
; COMPUTE_PGM_RSRC2:TGID_Y_EN: 1
; COMPUTE_PGM_RSRC2:TGID_Z_EN: 1
; COMPUTE_PGM_RSRC2:TIDIG_COMP_CNT: 1
	.section	.text._ZL29rocblas_internal_gemmt_kernelIlLi16ELi32ELi8ELc78ELc78ELc85ELb0ELb0EddPKdPdEviT_T9_T10_S3_lS5_S3_lS4_T11_S3_li,"axG",@progbits,_ZL29rocblas_internal_gemmt_kernelIlLi16ELi32ELi8ELc78ELc78ELc85ELb0ELb0EddPKdPdEviT_T9_T10_S3_lS5_S3_lS4_T11_S3_li,comdat
	.globl	_ZL29rocblas_internal_gemmt_kernelIlLi16ELi32ELi8ELc78ELc78ELc85ELb0ELb0EddPKdPdEviT_T9_T10_S3_lS5_S3_lS4_T11_S3_li ; -- Begin function _ZL29rocblas_internal_gemmt_kernelIlLi16ELi32ELi8ELc78ELc78ELc85ELb0ELb0EddPKdPdEviT_T9_T10_S3_lS5_S3_lS4_T11_S3_li
	.p2align	8
	.type	_ZL29rocblas_internal_gemmt_kernelIlLi16ELi32ELi8ELc78ELc78ELc85ELb0ELb0EddPKdPdEviT_T9_T10_S3_lS5_S3_lS4_T11_S3_li,@function
_ZL29rocblas_internal_gemmt_kernelIlLi16ELi32ELi8ELc78ELc78ELc85ELb0ELb0EddPKdPdEviT_T9_T10_S3_lS5_S3_lS4_T11_S3_li: ; @_ZL29rocblas_internal_gemmt_kernelIlLi16ELi32ELi8ELc78ELc78ELc85ELb0ELb0EddPKdPdEviT_T9_T10_S3_lS5_S3_lS4_T11_S3_li
; %bb.0:
	s_clause 0x1
	s_load_dwordx8 s[36:43], s[4:5], 0x48
	s_load_dwordx16 s[12:27], s[4:5], 0x8
	s_waitcnt lgkmcnt(0)
	v_cmp_neq_f64_e64 s0, s[36:37], 1.0
	s_and_b32 vcc_lo, exec_lo, s0
	s_cbranch_vccnz .LBB198_2
; %bb.1:
	v_cmp_neq_f64_e64 s0, s[14:15], 0
	s_cmp_lg_u64 s[12:13], 0
	s_cselect_b32 s1, -1, 0
	s_and_b32 s0, s1, s0
.LBB198_2:
	s_andn2_b32 vcc_lo, exec_lo, s0
	s_cbranch_vccnz .LBB198_28
; %bb.3:
	v_cmp_eq_f64_e64 s0, s[14:15], 0
	s_load_dword s4, s[4:5], 0x0
	v_cmp_lt_i64_e64 s1, s[12:13], 1
	v_mov_b32_e32 v10, 0
	v_mov_b32_e32 v6, 0
	;; [unrolled: 1-line block ×8, first 2 shown]
	s_lshl_b32 s5, s6, 5
	s_lshl_b32 s6, s7, 5
	s_or_b32 s0, s0, s1
	s_and_b32 vcc_lo, exec_lo, s0
	s_cbranch_vccnz .LBB198_12
; %bb.4:
	v_lshl_add_u32 v3, v1, 4, v0
	s_mul_i32 s1, s27, s8
	s_mul_hi_u32 s2, s26, s8
	s_mul_i32 s0, s26, s8
	s_add_i32 s1, s2, s1
	v_lshrrev_b32_e32 v8, 3, v3
	v_and_b32_e32 v6, 31, v3
	s_lshl_b64 s[0:1], s[0:1], 3
	v_lshrrev_b32_e32 v17, 5, v3
	v_and_b32_e32 v16, 7, v0
	v_add_nc_u32_e32 v9, s6, v8
	v_or_b32_e32 v2, s5, v6
	s_mul_i32 s3, s21, s8
	s_mul_hi_u32 s7, s20, s8
	s_add_u32 s9, s22, s0
	v_ashrrev_i32_e32 v4, 31, v9
	v_mul_lo_u32 v7, s25, v9
	v_ashrrev_i32_e32 v3, 31, v2
	s_mul_i32 s2, s20, s8
	s_addc_u32 s10, s23, s1
	v_mul_lo_u32 v10, s24, v4
	v_mad_u64_u32 v[4:5], null, s24, v9, 0
	s_add_i32 s3, s7, s3
	v_lshlrev_b32_e32 v11, 3, v6
	s_lshl_b64 s[0:1], s[2:3], 3
	v_lshlrev_b32_e32 v12, 3, v16
	s_add_u32 s2, s16, s0
	s_waitcnt lgkmcnt(0)
	v_cmp_gt_i32_e64 s0, s4, v2
	v_add3_u32 v5, v5, v10, v7
	v_lshlrev_b64 v[6:7], 3, v[2:3]
	s_addc_u32 s1, s17, s1
	v_lshl_or_b32 v8, v8, 6, v12
	v_lshl_or_b32 v18, v17, 8, v11
	v_lshlrev_b64 v[2:3], 3, v[4:5]
	v_mov_b32_e32 v4, 0
	v_add_co_u32 v19, vcc_lo, s2, v6
	v_add_co_ci_u32_e64 v20, null, s1, v7, vcc_lo
	v_add_co_u32 v22, vcc_lo, s9, v2
	v_add_co_ci_u32_e64 v23, null, s10, v3, vcc_lo
	v_mov_b32_e32 v2, 0
	v_mov_b32_e32 v6, 0
	;; [unrolled: 1-line block ×3, first 2 shown]
	v_cmp_gt_i32_e64 s1, s4, v9
	v_add_nc_u32_e32 v21, 0x800, v8
	v_lshlrev_b32_e32 v24, 3, v0
	v_lshl_add_u32 v25, v1, 6, 0x800
	v_mov_b32_e32 v3, 0
	v_mov_b32_e32 v5, 0
	;; [unrolled: 1-line block ×5, first 2 shown]
	s_mov_b64 s[2:3], 0
	s_branch .LBB198_6
.LBB198_5:                              ;   in Loop: Header=BB198_6 Depth=1
	s_or_b32 exec_lo, exec_lo, s7
	s_waitcnt vmcnt(0)
	ds_write_b64 v21, v[14:15]
	s_waitcnt lgkmcnt(0)
	s_barrier
	buffer_gl0_inv
	ds_read_b128 v[12:15], v25
	ds_read2_b64 v[26:29], v24 offset1:16
	ds_read_b128 v[30:33], v25 offset:1024
	ds_read_b128 v[34:37], v25 offset:16
	ds_read2_b64 v[38:41], v24 offset0:32 offset1:48
	ds_read_b128 v[42:45], v25 offset:1040
	s_add_u32 s2, s2, 8
	s_addc_u32 s3, s3, 0
	v_cmp_gt_i64_e64 s7, s[12:13], s[2:3]
	s_and_b32 vcc_lo, exec_lo, s7
	s_waitcnt lgkmcnt(4)
	v_fma_f64 v[10:11], v[26:27], v[12:13], v[10:11]
	v_fma_f64 v[6:7], v[28:29], v[12:13], v[6:7]
	s_waitcnt lgkmcnt(3)
	v_fma_f64 v[12:13], v[26:27], v[30:31], v[4:5]
	v_fma_f64 v[26:27], v[28:29], v[30:31], v[2:3]
	ds_read2_b64 v[2:5], v24 offset0:64 offset1:80
	s_waitcnt lgkmcnt(2)
	v_fma_f64 v[28:29], v[38:39], v[14:15], v[10:11]
	v_fma_f64 v[6:7], v[40:41], v[14:15], v[6:7]
	;; [unrolled: 1-line block ×4, first 2 shown]
	ds_read2_b64 v[10:13], v24 offset0:96 offset1:112
	s_waitcnt lgkmcnt(1)
	v_fma_f64 v[30:31], v[2:3], v[34:35], v[28:29]
	v_fma_f64 v[6:7], v[4:5], v[34:35], v[6:7]
	v_fma_f64 v[14:15], v[2:3], v[42:43], v[14:15]
	v_fma_f64 v[32:33], v[4:5], v[42:43], v[26:27]
	ds_read_b128 v[2:5], v25 offset:32
	ds_read2_b64 v[26:29], v24 offset0:128 offset1:144
	s_waitcnt lgkmcnt(2)
	v_fma_f64 v[42:43], v[10:11], v[36:37], v[30:31]
	v_fma_f64 v[6:7], v[12:13], v[36:37], v[6:7]
	v_fma_f64 v[14:15], v[10:11], v[44:45], v[14:15]
	v_fma_f64 v[44:45], v[12:13], v[44:45], v[32:33]
	ds_read_b128 v[10:13], v25 offset:1056
	ds_read_b128 v[30:33], v25 offset:48
	ds_read2_b64 v[34:37], v24 offset0:160 offset1:176
	ds_read_b128 v[38:41], v25 offset:1072
	s_waitcnt lgkmcnt(4)
	v_fma_f64 v[42:43], v[26:27], v[2:3], v[42:43]
	v_fma_f64 v[2:3], v[28:29], v[2:3], v[6:7]
	s_waitcnt lgkmcnt(3)
	v_fma_f64 v[6:7], v[26:27], v[10:11], v[14:15]
	v_fma_f64 v[10:11], v[28:29], v[10:11], v[44:45]
	ds_read2_b64 v[26:29], v24 offset0:192 offset1:208
	s_waitcnt lgkmcnt(2)
	v_fma_f64 v[42:43], v[34:35], v[4:5], v[42:43]
	v_fma_f64 v[2:3], v[36:37], v[4:5], v[2:3]
	;; [unrolled: 1-line block ×4, first 2 shown]
	ds_read2_b64 v[12:15], v24 offset0:224 offset1:240
	s_waitcnt lgkmcnt(0)
	s_barrier
	buffer_gl0_inv
	v_fma_f64 v[10:11], v[26:27], v[30:31], v[42:43]
	v_fma_f64 v[2:3], v[28:29], v[30:31], v[2:3]
	;; [unrolled: 1-line block ×8, first 2 shown]
	s_cbranch_vccz .LBB198_12
.LBB198_6:                              ; =>This Inner Loop Header: Depth=1
	v_mov_b32_e32 v12, 0
	v_mov_b32_e32 v13, 0
	s_and_saveexec_b32 s7, s0
	s_cbranch_execz .LBB198_10
; %bb.7:                                ;   in Loop: Header=BB198_6 Depth=1
	v_mov_b32_e32 v12, 0
	v_add_nc_u32_e32 v8, s2, v17
	v_mov_b32_e32 v13, 0
	s_mov_b32 s9, exec_lo
	v_cmpx_gt_u64_e64 s[12:13], v[8:9]
	s_cbranch_execz .LBB198_9
; %bb.8:                                ;   in Loop: Header=BB198_6 Depth=1
	v_mad_u64_u32 v[12:13], null, s18, v8, 0
	v_mad_u64_u32 v[13:14], null, s19, v8, v[13:14]
	v_lshlrev_b64 v[12:13], 3, v[12:13]
	v_add_co_u32 v12, vcc_lo, v19, v12
	v_add_co_ci_u32_e64 v13, null, v20, v13, vcc_lo
	global_load_dwordx2 v[12:13], v[12:13], off
.LBB198_9:                              ;   in Loop: Header=BB198_6 Depth=1
	s_or_b32 exec_lo, exec_lo, s9
.LBB198_10:                             ;   in Loop: Header=BB198_6 Depth=1
	s_or_b32 exec_lo, exec_lo, s7
	v_add_nc_u32_e32 v8, s2, v16
	v_mov_b32_e32 v14, 0
	v_mov_b32_e32 v15, 0
	s_waitcnt vmcnt(0)
	ds_write_b64 v18, v[12:13]
	v_cmp_gt_u64_e32 vcc_lo, s[12:13], v[8:9]
	s_and_b32 s9, vcc_lo, s1
	s_and_saveexec_b32 s7, s9
	s_cbranch_execz .LBB198_5
; %bb.11:                               ;   in Loop: Header=BB198_6 Depth=1
	v_lshlrev_b64 v[12:13], 3, v[8:9]
	v_add_co_u32 v12, vcc_lo, v22, v12
	v_add_co_ci_u32_e64 v13, null, v23, v13, vcc_lo
	global_load_dwordx2 v[14:15], v[12:13], off
	s_branch .LBB198_5
.LBB198_12:
	v_add_nc_u32_e32 v13, s6, v1
	v_add_nc_u32_e32 v0, s5, v0
	v_cmp_neq_f64_e64 s5, s[36:37], 0
	s_mul_i32 s1, s43, s8
	s_mul_hi_u32 s2, s42, s8
	v_ashrrev_i32_e32 v1, 31, v13
	v_mul_lo_u32 v12, s41, v13
	v_mad_u64_u32 v[8:9], null, s40, v13, 0
	s_mul_i32 s0, s42, s8
	v_mul_lo_u32 v1, s40, v1
	s_add_i32 s1, s2, s1
	v_cmp_le_i32_e32 vcc_lo, v0, v13
	s_lshl_b64 s[2:3], s[0:1], 3
	s_waitcnt lgkmcnt(0)
	v_cmp_gt_i32_e64 s0, s4, v13
	s_add_u32 s2, s38, s2
	s_addc_u32 s3, s39, s3
	v_add3_u32 v9, v9, v1, v12
	v_ashrrev_i32_e32 v1, 31, v0
	s_and_b32 s6, s0, vcc_lo
	v_lshlrev_b64 v[8:9], 3, v[8:9]
	v_cndmask_b32_e64 v12, 0, 1, s5
	v_add_co_u32 v14, s1, s2, v8
	v_add_co_ci_u32_e64 v15, null, s3, v9, s1
	s_and_saveexec_b32 s1, s6
	s_cbranch_execz .LBB198_16
; %bb.13:
	v_mul_f64 v[8:9], s[14:15], v[10:11]
	v_lshlrev_b64 v[10:11], 3, v[0:1]
	v_add_co_u32 v10, vcc_lo, v14, v10
	v_add_co_ci_u32_e64 v11, null, v15, v11, vcc_lo
	s_andn2_b32 vcc_lo, exec_lo, s5
	s_cbranch_vccnz .LBB198_15
; %bb.14:
	global_load_dwordx2 v[16:17], v[10:11], off
	s_waitcnt vmcnt(0)
	v_fma_f64 v[8:9], s[36:37], v[16:17], v[8:9]
.LBB198_15:
	global_store_dwordx2 v[10:11], v[8:9], off
.LBB198_16:
	s_or_b32 exec_lo, exec_lo, s1
	v_add_nc_u32_e32 v8, 16, v0
	v_cmp_le_i32_e32 vcc_lo, v8, v13
	v_ashrrev_i32_e32 v9, 31, v8
	s_and_b32 s0, s0, vcc_lo
	s_and_saveexec_b32 s1, s0
	s_cbranch_execz .LBB198_20
; %bb.17:
	v_mul_f64 v[6:7], s[14:15], v[6:7]
	v_lshlrev_b64 v[10:11], 3, v[8:9]
	v_cmp_ne_u32_e32 vcc_lo, 1, v12
	v_add_co_u32 v10, s0, v14, v10
	v_add_co_ci_u32_e64 v11, null, v15, v11, s0
	s_cbranch_vccnz .LBB198_19
; %bb.18:
	global_load_dwordx2 v[14:15], v[10:11], off
	s_waitcnt vmcnt(0)
	v_fma_f64 v[6:7], s[36:37], v[14:15], v[6:7]
.LBB198_19:
	global_store_dwordx2 v[10:11], v[6:7], off
.LBB198_20:
	s_or_b32 exec_lo, exec_lo, s1
	v_add_nc_u32_e32 v10, 16, v13
	v_ashrrev_i32_e32 v11, 31, v10
	v_mul_lo_u32 v13, s41, v10
	v_mad_u64_u32 v[6:7], null, s40, v10, 0
	v_cmp_gt_i32_e64 s0, s4, v10
	v_mul_lo_u32 v11, s40, v11
	v_cmp_le_i32_e32 vcc_lo, v0, v10
	v_add3_u32 v7, v7, v11, v13
	v_lshlrev_b64 v[6:7], 3, v[6:7]
	v_add_co_u32 v6, s1, s2, v6
	v_add_co_ci_u32_e64 v7, null, s3, v7, s1
	s_and_b32 s1, s0, vcc_lo
	s_and_saveexec_b32 s2, s1
	s_cbranch_execz .LBB198_24
; %bb.21:
	v_mul_f64 v[4:5], s[14:15], v[4:5]
	v_lshlrev_b64 v[0:1], 3, v[0:1]
	v_cmp_ne_u32_e32 vcc_lo, 1, v12
	v_add_co_u32 v0, s1, v6, v0
	v_add_co_ci_u32_e64 v1, null, v7, v1, s1
	s_cbranch_vccnz .LBB198_23
; %bb.22:
	global_load_dwordx2 v[13:14], v[0:1], off
	s_waitcnt vmcnt(0)
	v_fma_f64 v[4:5], s[36:37], v[13:14], v[4:5]
.LBB198_23:
	global_store_dwordx2 v[0:1], v[4:5], off
.LBB198_24:
	s_or_b32 exec_lo, exec_lo, s2
	v_cmp_le_i32_e32 vcc_lo, v8, v10
	s_and_b32 s0, s0, vcc_lo
	s_and_saveexec_b32 s1, s0
	s_cbranch_execz .LBB198_28
; %bb.25:
	v_mul_f64 v[0:1], s[14:15], v[2:3]
	v_lshlrev_b64 v[2:3], 3, v[8:9]
	v_cmp_ne_u32_e32 vcc_lo, 1, v12
	v_add_co_u32 v2, s0, v6, v2
	v_add_co_ci_u32_e64 v3, null, v7, v3, s0
	s_cbranch_vccnz .LBB198_27
; %bb.26:
	global_load_dwordx2 v[4:5], v[2:3], off
	s_waitcnt vmcnt(0)
	v_fma_f64 v[0:1], s[36:37], v[4:5], v[0:1]
.LBB198_27:
	global_store_dwordx2 v[2:3], v[0:1], off
.LBB198_28:
	s_endpgm
	.section	.rodata,"a",@progbits
	.p2align	6, 0x0
	.amdhsa_kernel _ZL29rocblas_internal_gemmt_kernelIlLi16ELi32ELi8ELc78ELc78ELc85ELb0ELb0EddPKdPdEviT_T9_T10_S3_lS5_S3_lS4_T11_S3_li
		.amdhsa_group_segment_fixed_size 4096
		.amdhsa_private_segment_fixed_size 0
		.amdhsa_kernarg_size 108
		.amdhsa_user_sgpr_count 6
		.amdhsa_user_sgpr_private_segment_buffer 1
		.amdhsa_user_sgpr_dispatch_ptr 0
		.amdhsa_user_sgpr_queue_ptr 0
		.amdhsa_user_sgpr_kernarg_segment_ptr 1
		.amdhsa_user_sgpr_dispatch_id 0
		.amdhsa_user_sgpr_flat_scratch_init 0
		.amdhsa_user_sgpr_private_segment_size 0
		.amdhsa_wavefront_size32 1
		.amdhsa_uses_dynamic_stack 0
		.amdhsa_system_sgpr_private_segment_wavefront_offset 0
		.amdhsa_system_sgpr_workgroup_id_x 1
		.amdhsa_system_sgpr_workgroup_id_y 1
		.amdhsa_system_sgpr_workgroup_id_z 1
		.amdhsa_system_sgpr_workgroup_info 0
		.amdhsa_system_vgpr_workitem_id 1
		.amdhsa_next_free_vgpr 46
		.amdhsa_next_free_sgpr 44
		.amdhsa_reserve_vcc 1
		.amdhsa_reserve_flat_scratch 0
		.amdhsa_float_round_mode_32 0
		.amdhsa_float_round_mode_16_64 0
		.amdhsa_float_denorm_mode_32 3
		.amdhsa_float_denorm_mode_16_64 3
		.amdhsa_dx10_clamp 1
		.amdhsa_ieee_mode 1
		.amdhsa_fp16_overflow 0
		.amdhsa_workgroup_processor_mode 1
		.amdhsa_memory_ordered 1
		.amdhsa_forward_progress 1
		.amdhsa_shared_vgpr_count 0
		.amdhsa_exception_fp_ieee_invalid_op 0
		.amdhsa_exception_fp_denorm_src 0
		.amdhsa_exception_fp_ieee_div_zero 0
		.amdhsa_exception_fp_ieee_overflow 0
		.amdhsa_exception_fp_ieee_underflow 0
		.amdhsa_exception_fp_ieee_inexact 0
		.amdhsa_exception_int_div_zero 0
	.end_amdhsa_kernel
	.section	.text._ZL29rocblas_internal_gemmt_kernelIlLi16ELi32ELi8ELc78ELc78ELc85ELb0ELb0EddPKdPdEviT_T9_T10_S3_lS5_S3_lS4_T11_S3_li,"axG",@progbits,_ZL29rocblas_internal_gemmt_kernelIlLi16ELi32ELi8ELc78ELc78ELc85ELb0ELb0EddPKdPdEviT_T9_T10_S3_lS5_S3_lS4_T11_S3_li,comdat
.Lfunc_end198:
	.size	_ZL29rocblas_internal_gemmt_kernelIlLi16ELi32ELi8ELc78ELc78ELc85ELb0ELb0EddPKdPdEviT_T9_T10_S3_lS5_S3_lS4_T11_S3_li, .Lfunc_end198-_ZL29rocblas_internal_gemmt_kernelIlLi16ELi32ELi8ELc78ELc78ELc85ELb0ELb0EddPKdPdEviT_T9_T10_S3_lS5_S3_lS4_T11_S3_li
                                        ; -- End function
	.set _ZL29rocblas_internal_gemmt_kernelIlLi16ELi32ELi8ELc78ELc78ELc85ELb0ELb0EddPKdPdEviT_T9_T10_S3_lS5_S3_lS4_T11_S3_li.num_vgpr, 46
	.set _ZL29rocblas_internal_gemmt_kernelIlLi16ELi32ELi8ELc78ELc78ELc85ELb0ELb0EddPKdPdEviT_T9_T10_S3_lS5_S3_lS4_T11_S3_li.num_agpr, 0
	.set _ZL29rocblas_internal_gemmt_kernelIlLi16ELi32ELi8ELc78ELc78ELc85ELb0ELb0EddPKdPdEviT_T9_T10_S3_lS5_S3_lS4_T11_S3_li.numbered_sgpr, 44
	.set _ZL29rocblas_internal_gemmt_kernelIlLi16ELi32ELi8ELc78ELc78ELc85ELb0ELb0EddPKdPdEviT_T9_T10_S3_lS5_S3_lS4_T11_S3_li.num_named_barrier, 0
	.set _ZL29rocblas_internal_gemmt_kernelIlLi16ELi32ELi8ELc78ELc78ELc85ELb0ELb0EddPKdPdEviT_T9_T10_S3_lS5_S3_lS4_T11_S3_li.private_seg_size, 0
	.set _ZL29rocblas_internal_gemmt_kernelIlLi16ELi32ELi8ELc78ELc78ELc85ELb0ELb0EddPKdPdEviT_T9_T10_S3_lS5_S3_lS4_T11_S3_li.uses_vcc, 1
	.set _ZL29rocblas_internal_gemmt_kernelIlLi16ELi32ELi8ELc78ELc78ELc85ELb0ELb0EddPKdPdEviT_T9_T10_S3_lS5_S3_lS4_T11_S3_li.uses_flat_scratch, 0
	.set _ZL29rocblas_internal_gemmt_kernelIlLi16ELi32ELi8ELc78ELc78ELc85ELb0ELb0EddPKdPdEviT_T9_T10_S3_lS5_S3_lS4_T11_S3_li.has_dyn_sized_stack, 0
	.set _ZL29rocblas_internal_gemmt_kernelIlLi16ELi32ELi8ELc78ELc78ELc85ELb0ELb0EddPKdPdEviT_T9_T10_S3_lS5_S3_lS4_T11_S3_li.has_recursion, 0
	.set _ZL29rocblas_internal_gemmt_kernelIlLi16ELi32ELi8ELc78ELc78ELc85ELb0ELb0EddPKdPdEviT_T9_T10_S3_lS5_S3_lS4_T11_S3_li.has_indirect_call, 0
	.section	.AMDGPU.csdata,"",@progbits
; Kernel info:
; codeLenInByte = 1656
; TotalNumSgprs: 46
; NumVgprs: 46
; ScratchSize: 0
; MemoryBound: 0
; FloatMode: 240
; IeeeMode: 1
; LDSByteSize: 4096 bytes/workgroup (compile time only)
; SGPRBlocks: 0
; VGPRBlocks: 5
; NumSGPRsForWavesPerEU: 46
; NumVGPRsForWavesPerEU: 46
; Occupancy: 16
; WaveLimiterHint : 0
; COMPUTE_PGM_RSRC2:SCRATCH_EN: 0
; COMPUTE_PGM_RSRC2:USER_SGPR: 6
; COMPUTE_PGM_RSRC2:TRAP_HANDLER: 0
; COMPUTE_PGM_RSRC2:TGID_X_EN: 1
; COMPUTE_PGM_RSRC2:TGID_Y_EN: 1
; COMPUTE_PGM_RSRC2:TGID_Z_EN: 1
; COMPUTE_PGM_RSRC2:TIDIG_COMP_CNT: 1
	.section	.text._ZL29rocblas_internal_gemmt_kernelIlLi16ELi32ELi8ELc78ELc84ELc85ELb0ELb0EddPKdPdEviT_T9_T10_S3_lS5_S3_lS4_T11_S3_li,"axG",@progbits,_ZL29rocblas_internal_gemmt_kernelIlLi16ELi32ELi8ELc78ELc84ELc85ELb0ELb0EddPKdPdEviT_T9_T10_S3_lS5_S3_lS4_T11_S3_li,comdat
	.globl	_ZL29rocblas_internal_gemmt_kernelIlLi16ELi32ELi8ELc78ELc84ELc85ELb0ELb0EddPKdPdEviT_T9_T10_S3_lS5_S3_lS4_T11_S3_li ; -- Begin function _ZL29rocblas_internal_gemmt_kernelIlLi16ELi32ELi8ELc78ELc84ELc85ELb0ELb0EddPKdPdEviT_T9_T10_S3_lS5_S3_lS4_T11_S3_li
	.p2align	8
	.type	_ZL29rocblas_internal_gemmt_kernelIlLi16ELi32ELi8ELc78ELc84ELc85ELb0ELb0EddPKdPdEviT_T9_T10_S3_lS5_S3_lS4_T11_S3_li,@function
_ZL29rocblas_internal_gemmt_kernelIlLi16ELi32ELi8ELc78ELc84ELc85ELb0ELb0EddPKdPdEviT_T9_T10_S3_lS5_S3_lS4_T11_S3_li: ; @_ZL29rocblas_internal_gemmt_kernelIlLi16ELi32ELi8ELc78ELc84ELc85ELb0ELb0EddPKdPdEviT_T9_T10_S3_lS5_S3_lS4_T11_S3_li
; %bb.0:
	s_clause 0x1
	s_load_dwordx8 s[36:43], s[4:5], 0x48
	s_load_dwordx16 s[12:27], s[4:5], 0x8
	s_waitcnt lgkmcnt(0)
	v_cmp_neq_f64_e64 s0, s[36:37], 1.0
	s_and_b32 vcc_lo, exec_lo, s0
	s_cbranch_vccnz .LBB199_2
; %bb.1:
	v_cmp_neq_f64_e64 s0, s[14:15], 0
	s_cmp_lg_u64 s[12:13], 0
	s_cselect_b32 s1, -1, 0
	s_and_b32 s0, s1, s0
.LBB199_2:
	s_andn2_b32 vcc_lo, exec_lo, s0
	s_cbranch_vccnz .LBB199_28
; %bb.3:
	v_cmp_eq_f64_e64 s0, s[14:15], 0
	s_load_dword s4, s[4:5], 0x0
	v_cmp_lt_i64_e64 s1, s[12:13], 1
	v_mov_b32_e32 v10, 0
	v_mov_b32_e32 v6, 0
	;; [unrolled: 1-line block ×8, first 2 shown]
	s_lshl_b32 s5, s6, 5
	s_lshl_b32 s6, s7, 5
	s_or_b32 s0, s0, s1
	s_and_b32 vcc_lo, exec_lo, s0
	s_cbranch_vccnz .LBB199_12
; %bb.4:
	v_lshl_add_u32 v3, v1, 4, v0
	s_mul_i32 s1, s27, s8
	s_mul_hi_u32 s2, s26, s8
	s_mul_i32 s0, s26, s8
	s_add_i32 s1, s2, s1
	v_and_b32_e32 v5, 31, v3
	v_lshrrev_b32_e32 v8, 3, v3
	s_lshl_b64 s[0:1], s[0:1], 3
	v_lshrrev_b32_e32 v17, 5, v3
	v_and_b32_e32 v16, 7, v0
	v_or_b32_e32 v2, s5, v5
	v_add_nc_u32_e32 v4, s6, v8
	s_add_u32 s2, s22, s0
	s_mul_i32 s0, s21, s8
	s_mul_hi_u32 s3, s20, s8
	v_ashrrev_i32_e32 v3, 31, v2
	v_lshlrev_b32_e32 v9, 3, v5
	v_ashrrev_i32_e32 v5, 31, v4
	s_addc_u32 s7, s23, s1
	s_add_i32 s1, s3, s0
	s_mul_i32 s0, s20, s8
	v_lshlrev_b64 v[6:7], 3, v[2:3]
	s_lshl_b64 s[0:1], s[0:1], 3
	v_lshlrev_b32_e32 v10, 3, v16
	s_add_u32 s3, s16, s0
	s_waitcnt lgkmcnt(0)
	v_cmp_gt_i32_e64 s0, s4, v2
	v_lshlrev_b64 v[2:3], 3, v[4:5]
	s_addc_u32 s1, s17, s1
	v_lshl_or_b32 v8, v8, 6, v10
	v_add_co_u32 v19, vcc_lo, s3, v6
	v_add_co_ci_u32_e64 v20, null, s1, v7, vcc_lo
	v_add_co_u32 v22, vcc_lo, s2, v2
	v_cmp_gt_i32_e64 s1, s4, v4
	v_add_co_ci_u32_e64 v23, null, s7, v3, vcc_lo
	v_mov_b32_e32 v2, 0
	v_mov_b32_e32 v4, 0
	;; [unrolled: 1-line block ×4, first 2 shown]
	v_lshl_or_b32 v18, v17, 8, v9
	v_add_nc_u32_e32 v21, 0x800, v8
	v_lshlrev_b32_e32 v24, 3, v0
	v_lshl_add_u32 v25, v1, 6, 0x800
	v_mov_b32_e32 v3, 0
	v_mov_b32_e32 v5, 0
	;; [unrolled: 1-line block ×5, first 2 shown]
	s_mov_b64 s[2:3], 0
	s_branch .LBB199_6
.LBB199_5:                              ;   in Loop: Header=BB199_6 Depth=1
	s_or_b32 exec_lo, exec_lo, s7
	s_waitcnt vmcnt(0)
	ds_write_b64 v21, v[14:15]
	s_waitcnt lgkmcnt(0)
	s_barrier
	buffer_gl0_inv
	ds_read_b128 v[12:15], v25
	ds_read2_b64 v[26:29], v24 offset1:16
	ds_read_b128 v[30:33], v25 offset:1024
	ds_read_b128 v[34:37], v25 offset:16
	ds_read2_b64 v[38:41], v24 offset0:32 offset1:48
	ds_read_b128 v[42:45], v25 offset:1040
	s_add_u32 s2, s2, 8
	s_addc_u32 s3, s3, 0
	v_cmp_gt_i64_e64 s7, s[12:13], s[2:3]
	s_and_b32 vcc_lo, exec_lo, s7
	s_waitcnt lgkmcnt(4)
	v_fma_f64 v[10:11], v[26:27], v[12:13], v[10:11]
	v_fma_f64 v[6:7], v[28:29], v[12:13], v[6:7]
	s_waitcnt lgkmcnt(3)
	v_fma_f64 v[12:13], v[26:27], v[30:31], v[4:5]
	v_fma_f64 v[26:27], v[28:29], v[30:31], v[2:3]
	ds_read2_b64 v[2:5], v24 offset0:64 offset1:80
	s_waitcnt lgkmcnt(2)
	v_fma_f64 v[28:29], v[38:39], v[14:15], v[10:11]
	v_fma_f64 v[6:7], v[40:41], v[14:15], v[6:7]
	;; [unrolled: 1-line block ×4, first 2 shown]
	ds_read2_b64 v[10:13], v24 offset0:96 offset1:112
	s_waitcnt lgkmcnt(1)
	v_fma_f64 v[30:31], v[2:3], v[34:35], v[28:29]
	v_fma_f64 v[6:7], v[4:5], v[34:35], v[6:7]
	v_fma_f64 v[14:15], v[2:3], v[42:43], v[14:15]
	v_fma_f64 v[32:33], v[4:5], v[42:43], v[26:27]
	ds_read_b128 v[2:5], v25 offset:32
	ds_read2_b64 v[26:29], v24 offset0:128 offset1:144
	s_waitcnt lgkmcnt(2)
	v_fma_f64 v[42:43], v[10:11], v[36:37], v[30:31]
	v_fma_f64 v[6:7], v[12:13], v[36:37], v[6:7]
	;; [unrolled: 1-line block ×4, first 2 shown]
	ds_read_b128 v[10:13], v25 offset:1056
	ds_read_b128 v[30:33], v25 offset:48
	ds_read2_b64 v[34:37], v24 offset0:160 offset1:176
	ds_read_b128 v[38:41], v25 offset:1072
	s_waitcnt lgkmcnt(4)
	v_fma_f64 v[42:43], v[26:27], v[2:3], v[42:43]
	v_fma_f64 v[2:3], v[28:29], v[2:3], v[6:7]
	s_waitcnt lgkmcnt(3)
	v_fma_f64 v[6:7], v[26:27], v[10:11], v[14:15]
	v_fma_f64 v[10:11], v[28:29], v[10:11], v[44:45]
	ds_read2_b64 v[26:29], v24 offset0:192 offset1:208
	s_waitcnt lgkmcnt(2)
	v_fma_f64 v[42:43], v[34:35], v[4:5], v[42:43]
	v_fma_f64 v[2:3], v[36:37], v[4:5], v[2:3]
	;; [unrolled: 1-line block ×4, first 2 shown]
	ds_read2_b64 v[12:15], v24 offset0:224 offset1:240
	s_waitcnt lgkmcnt(0)
	s_barrier
	buffer_gl0_inv
	v_fma_f64 v[10:11], v[26:27], v[30:31], v[42:43]
	v_fma_f64 v[2:3], v[28:29], v[30:31], v[2:3]
	;; [unrolled: 1-line block ×8, first 2 shown]
	s_cbranch_vccz .LBB199_12
.LBB199_6:                              ; =>This Inner Loop Header: Depth=1
	v_mov_b32_e32 v12, 0
	v_mov_b32_e32 v13, 0
	s_and_saveexec_b32 s7, s0
	s_cbranch_execz .LBB199_10
; %bb.7:                                ;   in Loop: Header=BB199_6 Depth=1
	v_mov_b32_e32 v12, 0
	v_add_nc_u32_e32 v8, s2, v17
	v_mov_b32_e32 v13, 0
	s_mov_b32 s9, exec_lo
	v_cmpx_gt_u64_e64 s[12:13], v[8:9]
	s_cbranch_execz .LBB199_9
; %bb.8:                                ;   in Loop: Header=BB199_6 Depth=1
	v_mad_u64_u32 v[12:13], null, s18, v8, 0
	v_mad_u64_u32 v[13:14], null, s19, v8, v[13:14]
	v_lshlrev_b64 v[12:13], 3, v[12:13]
	v_add_co_u32 v12, vcc_lo, v19, v12
	v_add_co_ci_u32_e64 v13, null, v20, v13, vcc_lo
	global_load_dwordx2 v[12:13], v[12:13], off
.LBB199_9:                              ;   in Loop: Header=BB199_6 Depth=1
	s_or_b32 exec_lo, exec_lo, s9
.LBB199_10:                             ;   in Loop: Header=BB199_6 Depth=1
	s_or_b32 exec_lo, exec_lo, s7
	v_add_nc_u32_e32 v8, s2, v16
	v_mov_b32_e32 v14, 0
	v_mov_b32_e32 v15, 0
	s_waitcnt vmcnt(0)
	ds_write_b64 v18, v[12:13]
	v_cmp_gt_u64_e32 vcc_lo, s[12:13], v[8:9]
	s_and_b32 s9, vcc_lo, s1
	s_and_saveexec_b32 s7, s9
	s_cbranch_execz .LBB199_5
; %bb.11:                               ;   in Loop: Header=BB199_6 Depth=1
	v_mad_u64_u32 v[12:13], null, s24, v8, 0
	v_mad_u64_u32 v[13:14], null, s25, v8, v[13:14]
	v_lshlrev_b64 v[12:13], 3, v[12:13]
	v_add_co_u32 v12, vcc_lo, v22, v12
	v_add_co_ci_u32_e64 v13, null, v23, v13, vcc_lo
	global_load_dwordx2 v[14:15], v[12:13], off
	s_branch .LBB199_5
.LBB199_12:
	v_add_nc_u32_e32 v13, s6, v1
	v_add_nc_u32_e32 v0, s5, v0
	v_cmp_neq_f64_e64 s5, s[36:37], 0
	s_mul_i32 s1, s43, s8
	s_mul_hi_u32 s2, s42, s8
	v_ashrrev_i32_e32 v1, 31, v13
	v_mul_lo_u32 v12, s41, v13
	v_mad_u64_u32 v[8:9], null, s40, v13, 0
	s_mul_i32 s0, s42, s8
	v_mul_lo_u32 v1, s40, v1
	s_add_i32 s1, s2, s1
	v_cmp_le_i32_e32 vcc_lo, v0, v13
	s_lshl_b64 s[2:3], s[0:1], 3
	s_waitcnt lgkmcnt(0)
	v_cmp_gt_i32_e64 s0, s4, v13
	s_add_u32 s2, s38, s2
	s_addc_u32 s3, s39, s3
	v_add3_u32 v9, v9, v1, v12
	v_ashrrev_i32_e32 v1, 31, v0
	s_and_b32 s6, s0, vcc_lo
	v_lshlrev_b64 v[8:9], 3, v[8:9]
	v_cndmask_b32_e64 v12, 0, 1, s5
	v_add_co_u32 v14, s1, s2, v8
	v_add_co_ci_u32_e64 v15, null, s3, v9, s1
	s_and_saveexec_b32 s1, s6
	s_cbranch_execz .LBB199_16
; %bb.13:
	v_mul_f64 v[8:9], s[14:15], v[10:11]
	v_lshlrev_b64 v[10:11], 3, v[0:1]
	v_add_co_u32 v10, vcc_lo, v14, v10
	v_add_co_ci_u32_e64 v11, null, v15, v11, vcc_lo
	s_andn2_b32 vcc_lo, exec_lo, s5
	s_cbranch_vccnz .LBB199_15
; %bb.14:
	global_load_dwordx2 v[16:17], v[10:11], off
	s_waitcnt vmcnt(0)
	v_fma_f64 v[8:9], s[36:37], v[16:17], v[8:9]
.LBB199_15:
	global_store_dwordx2 v[10:11], v[8:9], off
.LBB199_16:
	s_or_b32 exec_lo, exec_lo, s1
	v_add_nc_u32_e32 v8, 16, v0
	v_cmp_le_i32_e32 vcc_lo, v8, v13
	v_ashrrev_i32_e32 v9, 31, v8
	s_and_b32 s0, s0, vcc_lo
	s_and_saveexec_b32 s1, s0
	s_cbranch_execz .LBB199_20
; %bb.17:
	v_mul_f64 v[6:7], s[14:15], v[6:7]
	v_lshlrev_b64 v[10:11], 3, v[8:9]
	v_cmp_ne_u32_e32 vcc_lo, 1, v12
	v_add_co_u32 v10, s0, v14, v10
	v_add_co_ci_u32_e64 v11, null, v15, v11, s0
	s_cbranch_vccnz .LBB199_19
; %bb.18:
	global_load_dwordx2 v[14:15], v[10:11], off
	s_waitcnt vmcnt(0)
	v_fma_f64 v[6:7], s[36:37], v[14:15], v[6:7]
.LBB199_19:
	global_store_dwordx2 v[10:11], v[6:7], off
.LBB199_20:
	s_or_b32 exec_lo, exec_lo, s1
	v_add_nc_u32_e32 v10, 16, v13
	v_ashrrev_i32_e32 v11, 31, v10
	v_mul_lo_u32 v13, s41, v10
	v_mad_u64_u32 v[6:7], null, s40, v10, 0
	v_cmp_gt_i32_e64 s0, s4, v10
	v_mul_lo_u32 v11, s40, v11
	v_cmp_le_i32_e32 vcc_lo, v0, v10
	v_add3_u32 v7, v7, v11, v13
	v_lshlrev_b64 v[6:7], 3, v[6:7]
	v_add_co_u32 v6, s1, s2, v6
	v_add_co_ci_u32_e64 v7, null, s3, v7, s1
	s_and_b32 s1, s0, vcc_lo
	s_and_saveexec_b32 s2, s1
	s_cbranch_execz .LBB199_24
; %bb.21:
	v_mul_f64 v[4:5], s[14:15], v[4:5]
	v_lshlrev_b64 v[0:1], 3, v[0:1]
	v_cmp_ne_u32_e32 vcc_lo, 1, v12
	v_add_co_u32 v0, s1, v6, v0
	v_add_co_ci_u32_e64 v1, null, v7, v1, s1
	s_cbranch_vccnz .LBB199_23
; %bb.22:
	global_load_dwordx2 v[13:14], v[0:1], off
	s_waitcnt vmcnt(0)
	v_fma_f64 v[4:5], s[36:37], v[13:14], v[4:5]
.LBB199_23:
	global_store_dwordx2 v[0:1], v[4:5], off
.LBB199_24:
	s_or_b32 exec_lo, exec_lo, s2
	v_cmp_le_i32_e32 vcc_lo, v8, v10
	s_and_b32 s0, s0, vcc_lo
	s_and_saveexec_b32 s1, s0
	s_cbranch_execz .LBB199_28
; %bb.25:
	v_mul_f64 v[0:1], s[14:15], v[2:3]
	v_lshlrev_b64 v[2:3], 3, v[8:9]
	v_cmp_ne_u32_e32 vcc_lo, 1, v12
	v_add_co_u32 v2, s0, v6, v2
	v_add_co_ci_u32_e64 v3, null, v7, v3, s0
	s_cbranch_vccnz .LBB199_27
; %bb.26:
	global_load_dwordx2 v[4:5], v[2:3], off
	s_waitcnt vmcnt(0)
	v_fma_f64 v[0:1], s[36:37], v[4:5], v[0:1]
.LBB199_27:
	global_store_dwordx2 v[2:3], v[0:1], off
.LBB199_28:
	s_endpgm
	.section	.rodata,"a",@progbits
	.p2align	6, 0x0
	.amdhsa_kernel _ZL29rocblas_internal_gemmt_kernelIlLi16ELi32ELi8ELc78ELc84ELc85ELb0ELb0EddPKdPdEviT_T9_T10_S3_lS5_S3_lS4_T11_S3_li
		.amdhsa_group_segment_fixed_size 4096
		.amdhsa_private_segment_fixed_size 0
		.amdhsa_kernarg_size 108
		.amdhsa_user_sgpr_count 6
		.amdhsa_user_sgpr_private_segment_buffer 1
		.amdhsa_user_sgpr_dispatch_ptr 0
		.amdhsa_user_sgpr_queue_ptr 0
		.amdhsa_user_sgpr_kernarg_segment_ptr 1
		.amdhsa_user_sgpr_dispatch_id 0
		.amdhsa_user_sgpr_flat_scratch_init 0
		.amdhsa_user_sgpr_private_segment_size 0
		.amdhsa_wavefront_size32 1
		.amdhsa_uses_dynamic_stack 0
		.amdhsa_system_sgpr_private_segment_wavefront_offset 0
		.amdhsa_system_sgpr_workgroup_id_x 1
		.amdhsa_system_sgpr_workgroup_id_y 1
		.amdhsa_system_sgpr_workgroup_id_z 1
		.amdhsa_system_sgpr_workgroup_info 0
		.amdhsa_system_vgpr_workitem_id 1
		.amdhsa_next_free_vgpr 46
		.amdhsa_next_free_sgpr 44
		.amdhsa_reserve_vcc 1
		.amdhsa_reserve_flat_scratch 0
		.amdhsa_float_round_mode_32 0
		.amdhsa_float_round_mode_16_64 0
		.amdhsa_float_denorm_mode_32 3
		.amdhsa_float_denorm_mode_16_64 3
		.amdhsa_dx10_clamp 1
		.amdhsa_ieee_mode 1
		.amdhsa_fp16_overflow 0
		.amdhsa_workgroup_processor_mode 1
		.amdhsa_memory_ordered 1
		.amdhsa_forward_progress 1
		.amdhsa_shared_vgpr_count 0
		.amdhsa_exception_fp_ieee_invalid_op 0
		.amdhsa_exception_fp_denorm_src 0
		.amdhsa_exception_fp_ieee_div_zero 0
		.amdhsa_exception_fp_ieee_overflow 0
		.amdhsa_exception_fp_ieee_underflow 0
		.amdhsa_exception_fp_ieee_inexact 0
		.amdhsa_exception_int_div_zero 0
	.end_amdhsa_kernel
	.section	.text._ZL29rocblas_internal_gemmt_kernelIlLi16ELi32ELi8ELc78ELc84ELc85ELb0ELb0EddPKdPdEviT_T9_T10_S3_lS5_S3_lS4_T11_S3_li,"axG",@progbits,_ZL29rocblas_internal_gemmt_kernelIlLi16ELi32ELi8ELc78ELc84ELc85ELb0ELb0EddPKdPdEviT_T9_T10_S3_lS5_S3_lS4_T11_S3_li,comdat
.Lfunc_end199:
	.size	_ZL29rocblas_internal_gemmt_kernelIlLi16ELi32ELi8ELc78ELc84ELc85ELb0ELb0EddPKdPdEviT_T9_T10_S3_lS5_S3_lS4_T11_S3_li, .Lfunc_end199-_ZL29rocblas_internal_gemmt_kernelIlLi16ELi32ELi8ELc78ELc84ELc85ELb0ELb0EddPKdPdEviT_T9_T10_S3_lS5_S3_lS4_T11_S3_li
                                        ; -- End function
	.set _ZL29rocblas_internal_gemmt_kernelIlLi16ELi32ELi8ELc78ELc84ELc85ELb0ELb0EddPKdPdEviT_T9_T10_S3_lS5_S3_lS4_T11_S3_li.num_vgpr, 46
	.set _ZL29rocblas_internal_gemmt_kernelIlLi16ELi32ELi8ELc78ELc84ELc85ELb0ELb0EddPKdPdEviT_T9_T10_S3_lS5_S3_lS4_T11_S3_li.num_agpr, 0
	.set _ZL29rocblas_internal_gemmt_kernelIlLi16ELi32ELi8ELc78ELc84ELc85ELb0ELb0EddPKdPdEviT_T9_T10_S3_lS5_S3_lS4_T11_S3_li.numbered_sgpr, 44
	.set _ZL29rocblas_internal_gemmt_kernelIlLi16ELi32ELi8ELc78ELc84ELc85ELb0ELb0EddPKdPdEviT_T9_T10_S3_lS5_S3_lS4_T11_S3_li.num_named_barrier, 0
	.set _ZL29rocblas_internal_gemmt_kernelIlLi16ELi32ELi8ELc78ELc84ELc85ELb0ELb0EddPKdPdEviT_T9_T10_S3_lS5_S3_lS4_T11_S3_li.private_seg_size, 0
	.set _ZL29rocblas_internal_gemmt_kernelIlLi16ELi32ELi8ELc78ELc84ELc85ELb0ELb0EddPKdPdEviT_T9_T10_S3_lS5_S3_lS4_T11_S3_li.uses_vcc, 1
	.set _ZL29rocblas_internal_gemmt_kernelIlLi16ELi32ELi8ELc78ELc84ELc85ELb0ELb0EddPKdPdEviT_T9_T10_S3_lS5_S3_lS4_T11_S3_li.uses_flat_scratch, 0
	.set _ZL29rocblas_internal_gemmt_kernelIlLi16ELi32ELi8ELc78ELc84ELc85ELb0ELb0EddPKdPdEviT_T9_T10_S3_lS5_S3_lS4_T11_S3_li.has_dyn_sized_stack, 0
	.set _ZL29rocblas_internal_gemmt_kernelIlLi16ELi32ELi8ELc78ELc84ELc85ELb0ELb0EddPKdPdEviT_T9_T10_S3_lS5_S3_lS4_T11_S3_li.has_recursion, 0
	.set _ZL29rocblas_internal_gemmt_kernelIlLi16ELi32ELi8ELc78ELc84ELc85ELb0ELb0EddPKdPdEviT_T9_T10_S3_lS5_S3_lS4_T11_S3_li.has_indirect_call, 0
	.section	.AMDGPU.csdata,"",@progbits
; Kernel info:
; codeLenInByte = 1640
; TotalNumSgprs: 46
; NumVgprs: 46
; ScratchSize: 0
; MemoryBound: 0
; FloatMode: 240
; IeeeMode: 1
; LDSByteSize: 4096 bytes/workgroup (compile time only)
; SGPRBlocks: 0
; VGPRBlocks: 5
; NumSGPRsForWavesPerEU: 46
; NumVGPRsForWavesPerEU: 46
; Occupancy: 16
; WaveLimiterHint : 0
; COMPUTE_PGM_RSRC2:SCRATCH_EN: 0
; COMPUTE_PGM_RSRC2:USER_SGPR: 6
; COMPUTE_PGM_RSRC2:TRAP_HANDLER: 0
; COMPUTE_PGM_RSRC2:TGID_X_EN: 1
; COMPUTE_PGM_RSRC2:TGID_Y_EN: 1
; COMPUTE_PGM_RSRC2:TGID_Z_EN: 1
; COMPUTE_PGM_RSRC2:TIDIG_COMP_CNT: 1
	.section	.text._ZL29rocblas_internal_gemmt_kernelIlLi16ELi32ELi8ELc78ELc67ELc85ELb0ELb0EddPKdPdEviT_T9_T10_S3_lS5_S3_lS4_T11_S3_li,"axG",@progbits,_ZL29rocblas_internal_gemmt_kernelIlLi16ELi32ELi8ELc78ELc67ELc85ELb0ELb0EddPKdPdEviT_T9_T10_S3_lS5_S3_lS4_T11_S3_li,comdat
	.globl	_ZL29rocblas_internal_gemmt_kernelIlLi16ELi32ELi8ELc78ELc67ELc85ELb0ELb0EddPKdPdEviT_T9_T10_S3_lS5_S3_lS4_T11_S3_li ; -- Begin function _ZL29rocblas_internal_gemmt_kernelIlLi16ELi32ELi8ELc78ELc67ELc85ELb0ELb0EddPKdPdEviT_T9_T10_S3_lS5_S3_lS4_T11_S3_li
	.p2align	8
	.type	_ZL29rocblas_internal_gemmt_kernelIlLi16ELi32ELi8ELc78ELc67ELc85ELb0ELb0EddPKdPdEviT_T9_T10_S3_lS5_S3_lS4_T11_S3_li,@function
_ZL29rocblas_internal_gemmt_kernelIlLi16ELi32ELi8ELc78ELc67ELc85ELb0ELb0EddPKdPdEviT_T9_T10_S3_lS5_S3_lS4_T11_S3_li: ; @_ZL29rocblas_internal_gemmt_kernelIlLi16ELi32ELi8ELc78ELc67ELc85ELb0ELb0EddPKdPdEviT_T9_T10_S3_lS5_S3_lS4_T11_S3_li
; %bb.0:
	s_clause 0x1
	s_load_dwordx8 s[36:43], s[4:5], 0x48
	s_load_dwordx16 s[12:27], s[4:5], 0x8
	s_waitcnt lgkmcnt(0)
	v_cmp_neq_f64_e64 s0, s[36:37], 1.0
	s_and_b32 vcc_lo, exec_lo, s0
	s_cbranch_vccnz .LBB200_2
; %bb.1:
	v_cmp_neq_f64_e64 s0, s[14:15], 0
	s_cmp_lg_u64 s[12:13], 0
	s_cselect_b32 s1, -1, 0
	s_and_b32 s0, s1, s0
.LBB200_2:
	s_andn2_b32 vcc_lo, exec_lo, s0
	s_cbranch_vccnz .LBB200_28
; %bb.3:
	v_cmp_eq_f64_e64 s0, s[14:15], 0
	s_load_dword s4, s[4:5], 0x0
	v_cmp_lt_i64_e64 s1, s[12:13], 1
	v_mov_b32_e32 v10, 0
	v_mov_b32_e32 v6, 0
	;; [unrolled: 1-line block ×8, first 2 shown]
	s_lshl_b32 s5, s6, 5
	s_lshl_b32 s6, s7, 5
	s_or_b32 s0, s0, s1
	s_and_b32 vcc_lo, exec_lo, s0
	s_cbranch_vccnz .LBB200_12
; %bb.4:
	v_lshl_add_u32 v3, v1, 4, v0
	s_mul_i32 s1, s27, s8
	s_mul_hi_u32 s2, s26, s8
	s_mul_i32 s0, s26, s8
	s_add_i32 s1, s2, s1
	v_and_b32_e32 v5, 31, v3
	v_lshrrev_b32_e32 v8, 3, v3
	s_lshl_b64 s[0:1], s[0:1], 3
	v_lshrrev_b32_e32 v17, 5, v3
	v_and_b32_e32 v16, 7, v0
	v_or_b32_e32 v2, s5, v5
	v_add_nc_u32_e32 v4, s6, v8
	s_add_u32 s2, s22, s0
	s_mul_i32 s0, s21, s8
	s_mul_hi_u32 s3, s20, s8
	v_ashrrev_i32_e32 v3, 31, v2
	v_lshlrev_b32_e32 v9, 3, v5
	v_ashrrev_i32_e32 v5, 31, v4
	s_addc_u32 s7, s23, s1
	s_add_i32 s1, s3, s0
	s_mul_i32 s0, s20, s8
	v_lshlrev_b64 v[6:7], 3, v[2:3]
	s_lshl_b64 s[0:1], s[0:1], 3
	v_lshlrev_b32_e32 v10, 3, v16
	s_add_u32 s3, s16, s0
	s_waitcnt lgkmcnt(0)
	v_cmp_gt_i32_e64 s0, s4, v2
	v_lshlrev_b64 v[2:3], 3, v[4:5]
	s_addc_u32 s1, s17, s1
	v_lshl_or_b32 v8, v8, 6, v10
	v_add_co_u32 v19, vcc_lo, s3, v6
	v_add_co_ci_u32_e64 v20, null, s1, v7, vcc_lo
	v_add_co_u32 v22, vcc_lo, s2, v2
	v_cmp_gt_i32_e64 s1, s4, v4
	v_add_co_ci_u32_e64 v23, null, s7, v3, vcc_lo
	v_mov_b32_e32 v2, 0
	v_mov_b32_e32 v4, 0
	;; [unrolled: 1-line block ×4, first 2 shown]
	v_lshl_or_b32 v18, v17, 8, v9
	v_add_nc_u32_e32 v21, 0x800, v8
	v_lshlrev_b32_e32 v24, 3, v0
	v_lshl_add_u32 v25, v1, 6, 0x800
	v_mov_b32_e32 v3, 0
	v_mov_b32_e32 v5, 0
	;; [unrolled: 1-line block ×5, first 2 shown]
	s_mov_b64 s[2:3], 0
	s_branch .LBB200_6
.LBB200_5:                              ;   in Loop: Header=BB200_6 Depth=1
	s_or_b32 exec_lo, exec_lo, s7
	s_waitcnt vmcnt(0)
	ds_write_b64 v21, v[14:15]
	s_waitcnt lgkmcnt(0)
	s_barrier
	buffer_gl0_inv
	ds_read_b128 v[12:15], v25
	ds_read2_b64 v[26:29], v24 offset1:16
	ds_read_b128 v[30:33], v25 offset:1024
	ds_read_b128 v[34:37], v25 offset:16
	ds_read2_b64 v[38:41], v24 offset0:32 offset1:48
	ds_read_b128 v[42:45], v25 offset:1040
	s_add_u32 s2, s2, 8
	s_addc_u32 s3, s3, 0
	v_cmp_gt_i64_e64 s7, s[12:13], s[2:3]
	s_and_b32 vcc_lo, exec_lo, s7
	s_waitcnt lgkmcnt(4)
	v_fma_f64 v[10:11], v[26:27], v[12:13], v[10:11]
	v_fma_f64 v[6:7], v[28:29], v[12:13], v[6:7]
	s_waitcnt lgkmcnt(3)
	v_fma_f64 v[12:13], v[26:27], v[30:31], v[4:5]
	v_fma_f64 v[26:27], v[28:29], v[30:31], v[2:3]
	ds_read2_b64 v[2:5], v24 offset0:64 offset1:80
	s_waitcnt lgkmcnt(2)
	v_fma_f64 v[28:29], v[38:39], v[14:15], v[10:11]
	v_fma_f64 v[6:7], v[40:41], v[14:15], v[6:7]
	v_fma_f64 v[14:15], v[38:39], v[32:33], v[12:13]
	v_fma_f64 v[26:27], v[40:41], v[32:33], v[26:27]
	ds_read2_b64 v[10:13], v24 offset0:96 offset1:112
	s_waitcnt lgkmcnt(1)
	v_fma_f64 v[30:31], v[2:3], v[34:35], v[28:29]
	v_fma_f64 v[6:7], v[4:5], v[34:35], v[6:7]
	;; [unrolled: 1-line block ×4, first 2 shown]
	ds_read_b128 v[2:5], v25 offset:32
	ds_read2_b64 v[26:29], v24 offset0:128 offset1:144
	s_waitcnt lgkmcnt(2)
	v_fma_f64 v[42:43], v[10:11], v[36:37], v[30:31]
	v_fma_f64 v[6:7], v[12:13], v[36:37], v[6:7]
	;; [unrolled: 1-line block ×4, first 2 shown]
	ds_read_b128 v[10:13], v25 offset:1056
	ds_read_b128 v[30:33], v25 offset:48
	ds_read2_b64 v[34:37], v24 offset0:160 offset1:176
	ds_read_b128 v[38:41], v25 offset:1072
	s_waitcnt lgkmcnt(4)
	v_fma_f64 v[42:43], v[26:27], v[2:3], v[42:43]
	v_fma_f64 v[2:3], v[28:29], v[2:3], v[6:7]
	s_waitcnt lgkmcnt(3)
	v_fma_f64 v[6:7], v[26:27], v[10:11], v[14:15]
	v_fma_f64 v[10:11], v[28:29], v[10:11], v[44:45]
	ds_read2_b64 v[26:29], v24 offset0:192 offset1:208
	s_waitcnt lgkmcnt(2)
	v_fma_f64 v[42:43], v[34:35], v[4:5], v[42:43]
	v_fma_f64 v[2:3], v[36:37], v[4:5], v[2:3]
	;; [unrolled: 1-line block ×4, first 2 shown]
	ds_read2_b64 v[12:15], v24 offset0:224 offset1:240
	s_waitcnt lgkmcnt(0)
	s_barrier
	buffer_gl0_inv
	v_fma_f64 v[10:11], v[26:27], v[30:31], v[42:43]
	v_fma_f64 v[2:3], v[28:29], v[30:31], v[2:3]
	;; [unrolled: 1-line block ×8, first 2 shown]
	s_cbranch_vccz .LBB200_12
.LBB200_6:                              ; =>This Inner Loop Header: Depth=1
	v_mov_b32_e32 v12, 0
	v_mov_b32_e32 v13, 0
	s_and_saveexec_b32 s7, s0
	s_cbranch_execz .LBB200_10
; %bb.7:                                ;   in Loop: Header=BB200_6 Depth=1
	v_mov_b32_e32 v12, 0
	v_add_nc_u32_e32 v8, s2, v17
	v_mov_b32_e32 v13, 0
	s_mov_b32 s9, exec_lo
	v_cmpx_gt_u64_e64 s[12:13], v[8:9]
	s_cbranch_execz .LBB200_9
; %bb.8:                                ;   in Loop: Header=BB200_6 Depth=1
	v_mad_u64_u32 v[12:13], null, s18, v8, 0
	v_mad_u64_u32 v[13:14], null, s19, v8, v[13:14]
	v_lshlrev_b64 v[12:13], 3, v[12:13]
	v_add_co_u32 v12, vcc_lo, v19, v12
	v_add_co_ci_u32_e64 v13, null, v20, v13, vcc_lo
	global_load_dwordx2 v[12:13], v[12:13], off
.LBB200_9:                              ;   in Loop: Header=BB200_6 Depth=1
	s_or_b32 exec_lo, exec_lo, s9
.LBB200_10:                             ;   in Loop: Header=BB200_6 Depth=1
	s_or_b32 exec_lo, exec_lo, s7
	v_add_nc_u32_e32 v8, s2, v16
	v_mov_b32_e32 v14, 0
	v_mov_b32_e32 v15, 0
	s_waitcnt vmcnt(0)
	ds_write_b64 v18, v[12:13]
	v_cmp_gt_u64_e32 vcc_lo, s[12:13], v[8:9]
	s_and_b32 s9, vcc_lo, s1
	s_and_saveexec_b32 s7, s9
	s_cbranch_execz .LBB200_5
; %bb.11:                               ;   in Loop: Header=BB200_6 Depth=1
	v_mad_u64_u32 v[12:13], null, s24, v8, 0
	v_mad_u64_u32 v[13:14], null, s25, v8, v[13:14]
	v_lshlrev_b64 v[12:13], 3, v[12:13]
	v_add_co_u32 v12, vcc_lo, v22, v12
	v_add_co_ci_u32_e64 v13, null, v23, v13, vcc_lo
	global_load_dwordx2 v[14:15], v[12:13], off
	s_branch .LBB200_5
.LBB200_12:
	v_add_nc_u32_e32 v13, s6, v1
	v_add_nc_u32_e32 v0, s5, v0
	v_cmp_neq_f64_e64 s5, s[36:37], 0
	s_mul_i32 s1, s43, s8
	s_mul_hi_u32 s2, s42, s8
	v_ashrrev_i32_e32 v1, 31, v13
	v_mul_lo_u32 v12, s41, v13
	v_mad_u64_u32 v[8:9], null, s40, v13, 0
	s_mul_i32 s0, s42, s8
	v_mul_lo_u32 v1, s40, v1
	s_add_i32 s1, s2, s1
	v_cmp_le_i32_e32 vcc_lo, v0, v13
	s_lshl_b64 s[2:3], s[0:1], 3
	s_waitcnt lgkmcnt(0)
	v_cmp_gt_i32_e64 s0, s4, v13
	s_add_u32 s2, s38, s2
	s_addc_u32 s3, s39, s3
	v_add3_u32 v9, v9, v1, v12
	v_ashrrev_i32_e32 v1, 31, v0
	s_and_b32 s6, s0, vcc_lo
	v_lshlrev_b64 v[8:9], 3, v[8:9]
	v_cndmask_b32_e64 v12, 0, 1, s5
	v_add_co_u32 v14, s1, s2, v8
	v_add_co_ci_u32_e64 v15, null, s3, v9, s1
	s_and_saveexec_b32 s1, s6
	s_cbranch_execz .LBB200_16
; %bb.13:
	v_mul_f64 v[8:9], s[14:15], v[10:11]
	v_lshlrev_b64 v[10:11], 3, v[0:1]
	v_add_co_u32 v10, vcc_lo, v14, v10
	v_add_co_ci_u32_e64 v11, null, v15, v11, vcc_lo
	s_andn2_b32 vcc_lo, exec_lo, s5
	s_cbranch_vccnz .LBB200_15
; %bb.14:
	global_load_dwordx2 v[16:17], v[10:11], off
	s_waitcnt vmcnt(0)
	v_fma_f64 v[8:9], s[36:37], v[16:17], v[8:9]
.LBB200_15:
	global_store_dwordx2 v[10:11], v[8:9], off
.LBB200_16:
	s_or_b32 exec_lo, exec_lo, s1
	v_add_nc_u32_e32 v8, 16, v0
	v_cmp_le_i32_e32 vcc_lo, v8, v13
	v_ashrrev_i32_e32 v9, 31, v8
	s_and_b32 s0, s0, vcc_lo
	s_and_saveexec_b32 s1, s0
	s_cbranch_execz .LBB200_20
; %bb.17:
	v_mul_f64 v[6:7], s[14:15], v[6:7]
	v_lshlrev_b64 v[10:11], 3, v[8:9]
	v_cmp_ne_u32_e32 vcc_lo, 1, v12
	v_add_co_u32 v10, s0, v14, v10
	v_add_co_ci_u32_e64 v11, null, v15, v11, s0
	s_cbranch_vccnz .LBB200_19
; %bb.18:
	global_load_dwordx2 v[14:15], v[10:11], off
	s_waitcnt vmcnt(0)
	v_fma_f64 v[6:7], s[36:37], v[14:15], v[6:7]
.LBB200_19:
	global_store_dwordx2 v[10:11], v[6:7], off
.LBB200_20:
	s_or_b32 exec_lo, exec_lo, s1
	v_add_nc_u32_e32 v10, 16, v13
	v_ashrrev_i32_e32 v11, 31, v10
	v_mul_lo_u32 v13, s41, v10
	v_mad_u64_u32 v[6:7], null, s40, v10, 0
	v_cmp_gt_i32_e64 s0, s4, v10
	v_mul_lo_u32 v11, s40, v11
	v_cmp_le_i32_e32 vcc_lo, v0, v10
	v_add3_u32 v7, v7, v11, v13
	v_lshlrev_b64 v[6:7], 3, v[6:7]
	v_add_co_u32 v6, s1, s2, v6
	v_add_co_ci_u32_e64 v7, null, s3, v7, s1
	s_and_b32 s1, s0, vcc_lo
	s_and_saveexec_b32 s2, s1
	s_cbranch_execz .LBB200_24
; %bb.21:
	v_mul_f64 v[4:5], s[14:15], v[4:5]
	v_lshlrev_b64 v[0:1], 3, v[0:1]
	v_cmp_ne_u32_e32 vcc_lo, 1, v12
	v_add_co_u32 v0, s1, v6, v0
	v_add_co_ci_u32_e64 v1, null, v7, v1, s1
	s_cbranch_vccnz .LBB200_23
; %bb.22:
	global_load_dwordx2 v[13:14], v[0:1], off
	s_waitcnt vmcnt(0)
	v_fma_f64 v[4:5], s[36:37], v[13:14], v[4:5]
.LBB200_23:
	global_store_dwordx2 v[0:1], v[4:5], off
.LBB200_24:
	s_or_b32 exec_lo, exec_lo, s2
	v_cmp_le_i32_e32 vcc_lo, v8, v10
	s_and_b32 s0, s0, vcc_lo
	s_and_saveexec_b32 s1, s0
	s_cbranch_execz .LBB200_28
; %bb.25:
	v_mul_f64 v[0:1], s[14:15], v[2:3]
	v_lshlrev_b64 v[2:3], 3, v[8:9]
	v_cmp_ne_u32_e32 vcc_lo, 1, v12
	v_add_co_u32 v2, s0, v6, v2
	v_add_co_ci_u32_e64 v3, null, v7, v3, s0
	s_cbranch_vccnz .LBB200_27
; %bb.26:
	global_load_dwordx2 v[4:5], v[2:3], off
	s_waitcnt vmcnt(0)
	v_fma_f64 v[0:1], s[36:37], v[4:5], v[0:1]
.LBB200_27:
	global_store_dwordx2 v[2:3], v[0:1], off
.LBB200_28:
	s_endpgm
	.section	.rodata,"a",@progbits
	.p2align	6, 0x0
	.amdhsa_kernel _ZL29rocblas_internal_gemmt_kernelIlLi16ELi32ELi8ELc78ELc67ELc85ELb0ELb0EddPKdPdEviT_T9_T10_S3_lS5_S3_lS4_T11_S3_li
		.amdhsa_group_segment_fixed_size 4096
		.amdhsa_private_segment_fixed_size 0
		.amdhsa_kernarg_size 108
		.amdhsa_user_sgpr_count 6
		.amdhsa_user_sgpr_private_segment_buffer 1
		.amdhsa_user_sgpr_dispatch_ptr 0
		.amdhsa_user_sgpr_queue_ptr 0
		.amdhsa_user_sgpr_kernarg_segment_ptr 1
		.amdhsa_user_sgpr_dispatch_id 0
		.amdhsa_user_sgpr_flat_scratch_init 0
		.amdhsa_user_sgpr_private_segment_size 0
		.amdhsa_wavefront_size32 1
		.amdhsa_uses_dynamic_stack 0
		.amdhsa_system_sgpr_private_segment_wavefront_offset 0
		.amdhsa_system_sgpr_workgroup_id_x 1
		.amdhsa_system_sgpr_workgroup_id_y 1
		.amdhsa_system_sgpr_workgroup_id_z 1
		.amdhsa_system_sgpr_workgroup_info 0
		.amdhsa_system_vgpr_workitem_id 1
		.amdhsa_next_free_vgpr 46
		.amdhsa_next_free_sgpr 44
		.amdhsa_reserve_vcc 1
		.amdhsa_reserve_flat_scratch 0
		.amdhsa_float_round_mode_32 0
		.amdhsa_float_round_mode_16_64 0
		.amdhsa_float_denorm_mode_32 3
		.amdhsa_float_denorm_mode_16_64 3
		.amdhsa_dx10_clamp 1
		.amdhsa_ieee_mode 1
		.amdhsa_fp16_overflow 0
		.amdhsa_workgroup_processor_mode 1
		.amdhsa_memory_ordered 1
		.amdhsa_forward_progress 1
		.amdhsa_shared_vgpr_count 0
		.amdhsa_exception_fp_ieee_invalid_op 0
		.amdhsa_exception_fp_denorm_src 0
		.amdhsa_exception_fp_ieee_div_zero 0
		.amdhsa_exception_fp_ieee_overflow 0
		.amdhsa_exception_fp_ieee_underflow 0
		.amdhsa_exception_fp_ieee_inexact 0
		.amdhsa_exception_int_div_zero 0
	.end_amdhsa_kernel
	.section	.text._ZL29rocblas_internal_gemmt_kernelIlLi16ELi32ELi8ELc78ELc67ELc85ELb0ELb0EddPKdPdEviT_T9_T10_S3_lS5_S3_lS4_T11_S3_li,"axG",@progbits,_ZL29rocblas_internal_gemmt_kernelIlLi16ELi32ELi8ELc78ELc67ELc85ELb0ELb0EddPKdPdEviT_T9_T10_S3_lS5_S3_lS4_T11_S3_li,comdat
.Lfunc_end200:
	.size	_ZL29rocblas_internal_gemmt_kernelIlLi16ELi32ELi8ELc78ELc67ELc85ELb0ELb0EddPKdPdEviT_T9_T10_S3_lS5_S3_lS4_T11_S3_li, .Lfunc_end200-_ZL29rocblas_internal_gemmt_kernelIlLi16ELi32ELi8ELc78ELc67ELc85ELb0ELb0EddPKdPdEviT_T9_T10_S3_lS5_S3_lS4_T11_S3_li
                                        ; -- End function
	.set _ZL29rocblas_internal_gemmt_kernelIlLi16ELi32ELi8ELc78ELc67ELc85ELb0ELb0EddPKdPdEviT_T9_T10_S3_lS5_S3_lS4_T11_S3_li.num_vgpr, 46
	.set _ZL29rocblas_internal_gemmt_kernelIlLi16ELi32ELi8ELc78ELc67ELc85ELb0ELb0EddPKdPdEviT_T9_T10_S3_lS5_S3_lS4_T11_S3_li.num_agpr, 0
	.set _ZL29rocblas_internal_gemmt_kernelIlLi16ELi32ELi8ELc78ELc67ELc85ELb0ELb0EddPKdPdEviT_T9_T10_S3_lS5_S3_lS4_T11_S3_li.numbered_sgpr, 44
	.set _ZL29rocblas_internal_gemmt_kernelIlLi16ELi32ELi8ELc78ELc67ELc85ELb0ELb0EddPKdPdEviT_T9_T10_S3_lS5_S3_lS4_T11_S3_li.num_named_barrier, 0
	.set _ZL29rocblas_internal_gemmt_kernelIlLi16ELi32ELi8ELc78ELc67ELc85ELb0ELb0EddPKdPdEviT_T9_T10_S3_lS5_S3_lS4_T11_S3_li.private_seg_size, 0
	.set _ZL29rocblas_internal_gemmt_kernelIlLi16ELi32ELi8ELc78ELc67ELc85ELb0ELb0EddPKdPdEviT_T9_T10_S3_lS5_S3_lS4_T11_S3_li.uses_vcc, 1
	.set _ZL29rocblas_internal_gemmt_kernelIlLi16ELi32ELi8ELc78ELc67ELc85ELb0ELb0EddPKdPdEviT_T9_T10_S3_lS5_S3_lS4_T11_S3_li.uses_flat_scratch, 0
	.set _ZL29rocblas_internal_gemmt_kernelIlLi16ELi32ELi8ELc78ELc67ELc85ELb0ELb0EddPKdPdEviT_T9_T10_S3_lS5_S3_lS4_T11_S3_li.has_dyn_sized_stack, 0
	.set _ZL29rocblas_internal_gemmt_kernelIlLi16ELi32ELi8ELc78ELc67ELc85ELb0ELb0EddPKdPdEviT_T9_T10_S3_lS5_S3_lS4_T11_S3_li.has_recursion, 0
	.set _ZL29rocblas_internal_gemmt_kernelIlLi16ELi32ELi8ELc78ELc67ELc85ELb0ELb0EddPKdPdEviT_T9_T10_S3_lS5_S3_lS4_T11_S3_li.has_indirect_call, 0
	.section	.AMDGPU.csdata,"",@progbits
; Kernel info:
; codeLenInByte = 1640
; TotalNumSgprs: 46
; NumVgprs: 46
; ScratchSize: 0
; MemoryBound: 0
; FloatMode: 240
; IeeeMode: 1
; LDSByteSize: 4096 bytes/workgroup (compile time only)
; SGPRBlocks: 0
; VGPRBlocks: 5
; NumSGPRsForWavesPerEU: 46
; NumVGPRsForWavesPerEU: 46
; Occupancy: 16
; WaveLimiterHint : 0
; COMPUTE_PGM_RSRC2:SCRATCH_EN: 0
; COMPUTE_PGM_RSRC2:USER_SGPR: 6
; COMPUTE_PGM_RSRC2:TRAP_HANDLER: 0
; COMPUTE_PGM_RSRC2:TGID_X_EN: 1
; COMPUTE_PGM_RSRC2:TGID_Y_EN: 1
; COMPUTE_PGM_RSRC2:TGID_Z_EN: 1
; COMPUTE_PGM_RSRC2:TIDIG_COMP_CNT: 1
	.section	.text._ZL29rocblas_internal_gemmt_kernelIlLi16ELi32ELi8ELc84ELc78ELc85ELb0ELb0EddPKdPdEviT_T9_T10_S3_lS5_S3_lS4_T11_S3_li,"axG",@progbits,_ZL29rocblas_internal_gemmt_kernelIlLi16ELi32ELi8ELc84ELc78ELc85ELb0ELb0EddPKdPdEviT_T9_T10_S3_lS5_S3_lS4_T11_S3_li,comdat
	.globl	_ZL29rocblas_internal_gemmt_kernelIlLi16ELi32ELi8ELc84ELc78ELc85ELb0ELb0EddPKdPdEviT_T9_T10_S3_lS5_S3_lS4_T11_S3_li ; -- Begin function _ZL29rocblas_internal_gemmt_kernelIlLi16ELi32ELi8ELc84ELc78ELc85ELb0ELb0EddPKdPdEviT_T9_T10_S3_lS5_S3_lS4_T11_S3_li
	.p2align	8
	.type	_ZL29rocblas_internal_gemmt_kernelIlLi16ELi32ELi8ELc84ELc78ELc85ELb0ELb0EddPKdPdEviT_T9_T10_S3_lS5_S3_lS4_T11_S3_li,@function
_ZL29rocblas_internal_gemmt_kernelIlLi16ELi32ELi8ELc84ELc78ELc85ELb0ELb0EddPKdPdEviT_T9_T10_S3_lS5_S3_lS4_T11_S3_li: ; @_ZL29rocblas_internal_gemmt_kernelIlLi16ELi32ELi8ELc84ELc78ELc85ELb0ELb0EddPKdPdEviT_T9_T10_S3_lS5_S3_lS4_T11_S3_li
; %bb.0:
	s_clause 0x1
	s_load_dwordx8 s[36:43], s[4:5], 0x48
	s_load_dwordx16 s[12:27], s[4:5], 0x8
	s_waitcnt lgkmcnt(0)
	v_cmp_neq_f64_e64 s0, s[36:37], 1.0
	s_and_b32 vcc_lo, exec_lo, s0
	s_cbranch_vccnz .LBB201_2
; %bb.1:
	v_cmp_neq_f64_e64 s0, s[14:15], 0
	s_cmp_lg_u64 s[12:13], 0
	s_cselect_b32 s1, -1, 0
	s_and_b32 s0, s1, s0
.LBB201_2:
	s_andn2_b32 vcc_lo, exec_lo, s0
	s_cbranch_vccnz .LBB201_28
; %bb.3:
	v_cmp_eq_f64_e64 s0, s[14:15], 0
	s_load_dword s4, s[4:5], 0x0
	v_cmp_lt_i64_e64 s1, s[12:13], 1
	v_mov_b32_e32 v10, 0
	v_mov_b32_e32 v6, 0
	;; [unrolled: 1-line block ×8, first 2 shown]
	s_lshl_b32 s5, s6, 5
	s_lshl_b32 s6, s7, 5
	s_or_b32 s0, s0, s1
	s_and_b32 vcc_lo, exec_lo, s0
	s_cbranch_vccnz .LBB201_12
; %bb.4:
	v_lshl_add_u32 v6, v1, 4, v0
	s_mul_i32 s1, s27, s8
	s_mul_hi_u32 s2, s26, s8
	s_mul_i32 s0, s26, s8
	s_add_i32 s1, s2, s1
	v_lshrrev_b32_e32 v7, 3, v6
	v_and_b32_e32 v8, 31, v6
	s_lshl_b64 s[0:1], s[0:1], 3
	s_mul_hi_u32 s3, s20, s8
	s_add_u32 s2, s22, s0
	v_add_nc_u32_e32 v9, s6, v7
	v_or_b32_e32 v10, s5, v8
	s_mul_i32 s0, s21, s8
	s_addc_u32 s7, s23, s1
	s_add_i32 s1, s3, s0
	v_ashrrev_i32_e32 v4, 31, v9
	s_mul_i32 s0, s20, s8
	v_mul_lo_u32 v11, s19, v10
	v_mad_u64_u32 v[2:3], null, s18, v10, 0
	s_lshl_b64 s[0:1], s[0:1], 3
	v_mul_lo_u32 v12, s24, v4
	v_mul_lo_u32 v13, s25, v9
	v_mad_u64_u32 v[4:5], null, s24, v9, 0
	s_add_u32 s3, s16, s0
	s_addc_u32 s1, s17, s1
	s_ashr_i32 s0, s5, 31
	v_and_b32_e32 v16, 7, v0
	s_mul_i32 s0, s18, s0
	v_lshrrev_b32_e32 v17, 5, v6
	v_add3_u32 v3, v3, s0, v11
	v_add3_u32 v5, v5, v12, v13
	v_lshlrev_b32_e32 v6, 3, v8
	v_lshlrev_b32_e32 v8, 3, v16
	s_waitcnt lgkmcnt(0)
	v_cmp_gt_i32_e64 s0, s4, v10
	v_lshlrev_b64 v[2:3], 3, v[2:3]
	v_lshlrev_b64 v[4:5], 3, v[4:5]
	v_lshl_or_b32 v18, v17, 8, v6
	v_lshl_or_b32 v6, v7, 6, v8
	v_mov_b32_e32 v10, 0
	v_lshlrev_b32_e32 v24, 3, v0
	v_add_co_u32 v19, vcc_lo, s3, v2
	v_add_co_ci_u32_e64 v20, null, s1, v3, vcc_lo
	v_add_co_u32 v22, vcc_lo, s2, v4
	v_add_nc_u32_e32 v21, 0x800, v6
	v_add_co_ci_u32_e64 v23, null, s7, v5, vcc_lo
	v_mov_b32_e32 v2, 0
	v_mov_b32_e32 v4, 0
	;; [unrolled: 1-line block ×3, first 2 shown]
	v_cmp_gt_i32_e64 s1, s4, v9
	v_lshl_add_u32 v25, v1, 6, 0x800
	v_mov_b32_e32 v3, 0
	v_mov_b32_e32 v5, 0
	;; [unrolled: 1-line block ×5, first 2 shown]
	s_mov_b64 s[2:3], 0
	s_branch .LBB201_6
.LBB201_5:                              ;   in Loop: Header=BB201_6 Depth=1
	s_or_b32 exec_lo, exec_lo, s7
	s_waitcnt vmcnt(0)
	ds_write_b64 v21, v[14:15]
	s_waitcnt lgkmcnt(0)
	s_barrier
	buffer_gl0_inv
	ds_read_b128 v[12:15], v25
	ds_read2_b64 v[26:29], v24 offset1:16
	ds_read_b128 v[30:33], v25 offset:1024
	ds_read_b128 v[34:37], v25 offset:16
	ds_read2_b64 v[38:41], v24 offset0:32 offset1:48
	ds_read_b128 v[42:45], v25 offset:1040
	s_add_u32 s2, s2, 8
	s_addc_u32 s3, s3, 0
	v_cmp_gt_i64_e64 s7, s[12:13], s[2:3]
	s_and_b32 vcc_lo, exec_lo, s7
	s_waitcnt lgkmcnt(4)
	v_fma_f64 v[10:11], v[26:27], v[12:13], v[10:11]
	v_fma_f64 v[6:7], v[28:29], v[12:13], v[6:7]
	s_waitcnt lgkmcnt(3)
	v_fma_f64 v[12:13], v[26:27], v[30:31], v[4:5]
	v_fma_f64 v[26:27], v[28:29], v[30:31], v[2:3]
	ds_read2_b64 v[2:5], v24 offset0:64 offset1:80
	s_waitcnt lgkmcnt(2)
	v_fma_f64 v[28:29], v[38:39], v[14:15], v[10:11]
	v_fma_f64 v[6:7], v[40:41], v[14:15], v[6:7]
	;; [unrolled: 1-line block ×4, first 2 shown]
	ds_read2_b64 v[10:13], v24 offset0:96 offset1:112
	s_waitcnt lgkmcnt(1)
	v_fma_f64 v[30:31], v[2:3], v[34:35], v[28:29]
	v_fma_f64 v[6:7], v[4:5], v[34:35], v[6:7]
	;; [unrolled: 1-line block ×4, first 2 shown]
	ds_read_b128 v[2:5], v25 offset:32
	ds_read2_b64 v[26:29], v24 offset0:128 offset1:144
	s_waitcnt lgkmcnt(2)
	v_fma_f64 v[42:43], v[10:11], v[36:37], v[30:31]
	v_fma_f64 v[6:7], v[12:13], v[36:37], v[6:7]
	;; [unrolled: 1-line block ×4, first 2 shown]
	ds_read_b128 v[10:13], v25 offset:1056
	ds_read_b128 v[30:33], v25 offset:48
	ds_read2_b64 v[34:37], v24 offset0:160 offset1:176
	ds_read_b128 v[38:41], v25 offset:1072
	s_waitcnt lgkmcnt(4)
	v_fma_f64 v[42:43], v[26:27], v[2:3], v[42:43]
	v_fma_f64 v[2:3], v[28:29], v[2:3], v[6:7]
	s_waitcnt lgkmcnt(3)
	v_fma_f64 v[6:7], v[26:27], v[10:11], v[14:15]
	v_fma_f64 v[10:11], v[28:29], v[10:11], v[44:45]
	ds_read2_b64 v[26:29], v24 offset0:192 offset1:208
	s_waitcnt lgkmcnt(2)
	v_fma_f64 v[42:43], v[34:35], v[4:5], v[42:43]
	v_fma_f64 v[2:3], v[36:37], v[4:5], v[2:3]
	;; [unrolled: 1-line block ×4, first 2 shown]
	ds_read2_b64 v[12:15], v24 offset0:224 offset1:240
	s_waitcnt lgkmcnt(0)
	s_barrier
	buffer_gl0_inv
	v_fma_f64 v[10:11], v[26:27], v[30:31], v[42:43]
	v_fma_f64 v[2:3], v[28:29], v[30:31], v[2:3]
	;; [unrolled: 1-line block ×8, first 2 shown]
	s_cbranch_vccz .LBB201_12
.LBB201_6:                              ; =>This Inner Loop Header: Depth=1
	v_mov_b32_e32 v12, 0
	v_mov_b32_e32 v13, 0
	s_and_saveexec_b32 s7, s0
	s_cbranch_execz .LBB201_10
; %bb.7:                                ;   in Loop: Header=BB201_6 Depth=1
	v_mov_b32_e32 v12, 0
	v_add_nc_u32_e32 v8, s2, v17
	v_mov_b32_e32 v13, 0
	s_mov_b32 s9, exec_lo
	v_cmpx_gt_u64_e64 s[12:13], v[8:9]
	s_cbranch_execz .LBB201_9
; %bb.8:                                ;   in Loop: Header=BB201_6 Depth=1
	v_lshlrev_b64 v[12:13], 3, v[8:9]
	v_add_co_u32 v12, vcc_lo, v19, v12
	v_add_co_ci_u32_e64 v13, null, v20, v13, vcc_lo
	global_load_dwordx2 v[12:13], v[12:13], off
.LBB201_9:                              ;   in Loop: Header=BB201_6 Depth=1
	s_or_b32 exec_lo, exec_lo, s9
.LBB201_10:                             ;   in Loop: Header=BB201_6 Depth=1
	s_or_b32 exec_lo, exec_lo, s7
	v_add_nc_u32_e32 v8, s2, v16
	v_mov_b32_e32 v14, 0
	v_mov_b32_e32 v15, 0
	s_waitcnt vmcnt(0)
	ds_write_b64 v18, v[12:13]
	v_cmp_gt_u64_e32 vcc_lo, s[12:13], v[8:9]
	s_and_b32 s9, vcc_lo, s1
	s_and_saveexec_b32 s7, s9
	s_cbranch_execz .LBB201_5
; %bb.11:                               ;   in Loop: Header=BB201_6 Depth=1
	v_lshlrev_b64 v[12:13], 3, v[8:9]
	v_add_co_u32 v12, vcc_lo, v22, v12
	v_add_co_ci_u32_e64 v13, null, v23, v13, vcc_lo
	global_load_dwordx2 v[14:15], v[12:13], off
	s_branch .LBB201_5
.LBB201_12:
	v_add_nc_u32_e32 v13, s6, v1
	v_add_nc_u32_e32 v0, s5, v0
	v_cmp_neq_f64_e64 s5, s[36:37], 0
	s_mul_i32 s1, s43, s8
	s_mul_hi_u32 s2, s42, s8
	v_ashrrev_i32_e32 v1, 31, v13
	v_mul_lo_u32 v12, s41, v13
	v_mad_u64_u32 v[8:9], null, s40, v13, 0
	s_mul_i32 s0, s42, s8
	v_mul_lo_u32 v1, s40, v1
	s_add_i32 s1, s2, s1
	v_cmp_le_i32_e32 vcc_lo, v0, v13
	s_lshl_b64 s[2:3], s[0:1], 3
	s_waitcnt lgkmcnt(0)
	v_cmp_gt_i32_e64 s0, s4, v13
	s_add_u32 s2, s38, s2
	s_addc_u32 s3, s39, s3
	v_add3_u32 v9, v9, v1, v12
	v_ashrrev_i32_e32 v1, 31, v0
	s_and_b32 s6, s0, vcc_lo
	v_lshlrev_b64 v[8:9], 3, v[8:9]
	v_cndmask_b32_e64 v12, 0, 1, s5
	v_add_co_u32 v14, s1, s2, v8
	v_add_co_ci_u32_e64 v15, null, s3, v9, s1
	s_and_saveexec_b32 s1, s6
	s_cbranch_execz .LBB201_16
; %bb.13:
	v_mul_f64 v[8:9], s[14:15], v[10:11]
	v_lshlrev_b64 v[10:11], 3, v[0:1]
	v_add_co_u32 v10, vcc_lo, v14, v10
	v_add_co_ci_u32_e64 v11, null, v15, v11, vcc_lo
	s_andn2_b32 vcc_lo, exec_lo, s5
	s_cbranch_vccnz .LBB201_15
; %bb.14:
	global_load_dwordx2 v[16:17], v[10:11], off
	s_waitcnt vmcnt(0)
	v_fma_f64 v[8:9], s[36:37], v[16:17], v[8:9]
.LBB201_15:
	global_store_dwordx2 v[10:11], v[8:9], off
.LBB201_16:
	s_or_b32 exec_lo, exec_lo, s1
	v_add_nc_u32_e32 v8, 16, v0
	v_cmp_le_i32_e32 vcc_lo, v8, v13
	v_ashrrev_i32_e32 v9, 31, v8
	s_and_b32 s0, s0, vcc_lo
	s_and_saveexec_b32 s1, s0
	s_cbranch_execz .LBB201_20
; %bb.17:
	v_mul_f64 v[6:7], s[14:15], v[6:7]
	v_lshlrev_b64 v[10:11], 3, v[8:9]
	v_cmp_ne_u32_e32 vcc_lo, 1, v12
	v_add_co_u32 v10, s0, v14, v10
	v_add_co_ci_u32_e64 v11, null, v15, v11, s0
	s_cbranch_vccnz .LBB201_19
; %bb.18:
	global_load_dwordx2 v[14:15], v[10:11], off
	s_waitcnt vmcnt(0)
	v_fma_f64 v[6:7], s[36:37], v[14:15], v[6:7]
.LBB201_19:
	global_store_dwordx2 v[10:11], v[6:7], off
.LBB201_20:
	s_or_b32 exec_lo, exec_lo, s1
	v_add_nc_u32_e32 v10, 16, v13
	v_ashrrev_i32_e32 v11, 31, v10
	v_mul_lo_u32 v13, s41, v10
	v_mad_u64_u32 v[6:7], null, s40, v10, 0
	v_cmp_gt_i32_e64 s0, s4, v10
	v_mul_lo_u32 v11, s40, v11
	v_cmp_le_i32_e32 vcc_lo, v0, v10
	v_add3_u32 v7, v7, v11, v13
	v_lshlrev_b64 v[6:7], 3, v[6:7]
	v_add_co_u32 v6, s1, s2, v6
	v_add_co_ci_u32_e64 v7, null, s3, v7, s1
	s_and_b32 s1, s0, vcc_lo
	s_and_saveexec_b32 s2, s1
	s_cbranch_execz .LBB201_24
; %bb.21:
	v_mul_f64 v[4:5], s[14:15], v[4:5]
	v_lshlrev_b64 v[0:1], 3, v[0:1]
	v_cmp_ne_u32_e32 vcc_lo, 1, v12
	v_add_co_u32 v0, s1, v6, v0
	v_add_co_ci_u32_e64 v1, null, v7, v1, s1
	s_cbranch_vccnz .LBB201_23
; %bb.22:
	global_load_dwordx2 v[13:14], v[0:1], off
	s_waitcnt vmcnt(0)
	v_fma_f64 v[4:5], s[36:37], v[13:14], v[4:5]
.LBB201_23:
	global_store_dwordx2 v[0:1], v[4:5], off
.LBB201_24:
	s_or_b32 exec_lo, exec_lo, s2
	v_cmp_le_i32_e32 vcc_lo, v8, v10
	s_and_b32 s0, s0, vcc_lo
	s_and_saveexec_b32 s1, s0
	s_cbranch_execz .LBB201_28
; %bb.25:
	v_mul_f64 v[0:1], s[14:15], v[2:3]
	v_lshlrev_b64 v[2:3], 3, v[8:9]
	v_cmp_ne_u32_e32 vcc_lo, 1, v12
	v_add_co_u32 v2, s0, v6, v2
	v_add_co_ci_u32_e64 v3, null, v7, v3, s0
	s_cbranch_vccnz .LBB201_27
; %bb.26:
	global_load_dwordx2 v[4:5], v[2:3], off
	s_waitcnt vmcnt(0)
	v_fma_f64 v[0:1], s[36:37], v[4:5], v[0:1]
.LBB201_27:
	global_store_dwordx2 v[2:3], v[0:1], off
.LBB201_28:
	s_endpgm
	.section	.rodata,"a",@progbits
	.p2align	6, 0x0
	.amdhsa_kernel _ZL29rocblas_internal_gemmt_kernelIlLi16ELi32ELi8ELc84ELc78ELc85ELb0ELb0EddPKdPdEviT_T9_T10_S3_lS5_S3_lS4_T11_S3_li
		.amdhsa_group_segment_fixed_size 4096
		.amdhsa_private_segment_fixed_size 0
		.amdhsa_kernarg_size 108
		.amdhsa_user_sgpr_count 6
		.amdhsa_user_sgpr_private_segment_buffer 1
		.amdhsa_user_sgpr_dispatch_ptr 0
		.amdhsa_user_sgpr_queue_ptr 0
		.amdhsa_user_sgpr_kernarg_segment_ptr 1
		.amdhsa_user_sgpr_dispatch_id 0
		.amdhsa_user_sgpr_flat_scratch_init 0
		.amdhsa_user_sgpr_private_segment_size 0
		.amdhsa_wavefront_size32 1
		.amdhsa_uses_dynamic_stack 0
		.amdhsa_system_sgpr_private_segment_wavefront_offset 0
		.amdhsa_system_sgpr_workgroup_id_x 1
		.amdhsa_system_sgpr_workgroup_id_y 1
		.amdhsa_system_sgpr_workgroup_id_z 1
		.amdhsa_system_sgpr_workgroup_info 0
		.amdhsa_system_vgpr_workitem_id 1
		.amdhsa_next_free_vgpr 46
		.amdhsa_next_free_sgpr 44
		.amdhsa_reserve_vcc 1
		.amdhsa_reserve_flat_scratch 0
		.amdhsa_float_round_mode_32 0
		.amdhsa_float_round_mode_16_64 0
		.amdhsa_float_denorm_mode_32 3
		.amdhsa_float_denorm_mode_16_64 3
		.amdhsa_dx10_clamp 1
		.amdhsa_ieee_mode 1
		.amdhsa_fp16_overflow 0
		.amdhsa_workgroup_processor_mode 1
		.amdhsa_memory_ordered 1
		.amdhsa_forward_progress 1
		.amdhsa_shared_vgpr_count 0
		.amdhsa_exception_fp_ieee_invalid_op 0
		.amdhsa_exception_fp_denorm_src 0
		.amdhsa_exception_fp_ieee_div_zero 0
		.amdhsa_exception_fp_ieee_overflow 0
		.amdhsa_exception_fp_ieee_underflow 0
		.amdhsa_exception_fp_ieee_inexact 0
		.amdhsa_exception_int_div_zero 0
	.end_amdhsa_kernel
	.section	.text._ZL29rocblas_internal_gemmt_kernelIlLi16ELi32ELi8ELc84ELc78ELc85ELb0ELb0EddPKdPdEviT_T9_T10_S3_lS5_S3_lS4_T11_S3_li,"axG",@progbits,_ZL29rocblas_internal_gemmt_kernelIlLi16ELi32ELi8ELc84ELc78ELc85ELb0ELb0EddPKdPdEviT_T9_T10_S3_lS5_S3_lS4_T11_S3_li,comdat
.Lfunc_end201:
	.size	_ZL29rocblas_internal_gemmt_kernelIlLi16ELi32ELi8ELc84ELc78ELc85ELb0ELb0EddPKdPdEviT_T9_T10_S3_lS5_S3_lS4_T11_S3_li, .Lfunc_end201-_ZL29rocblas_internal_gemmt_kernelIlLi16ELi32ELi8ELc84ELc78ELc85ELb0ELb0EddPKdPdEviT_T9_T10_S3_lS5_S3_lS4_T11_S3_li
                                        ; -- End function
	.set _ZL29rocblas_internal_gemmt_kernelIlLi16ELi32ELi8ELc84ELc78ELc85ELb0ELb0EddPKdPdEviT_T9_T10_S3_lS5_S3_lS4_T11_S3_li.num_vgpr, 46
	.set _ZL29rocblas_internal_gemmt_kernelIlLi16ELi32ELi8ELc84ELc78ELc85ELb0ELb0EddPKdPdEviT_T9_T10_S3_lS5_S3_lS4_T11_S3_li.num_agpr, 0
	.set _ZL29rocblas_internal_gemmt_kernelIlLi16ELi32ELi8ELc84ELc78ELc85ELb0ELb0EddPKdPdEviT_T9_T10_S3_lS5_S3_lS4_T11_S3_li.numbered_sgpr, 44
	.set _ZL29rocblas_internal_gemmt_kernelIlLi16ELi32ELi8ELc84ELc78ELc85ELb0ELb0EddPKdPdEviT_T9_T10_S3_lS5_S3_lS4_T11_S3_li.num_named_barrier, 0
	.set _ZL29rocblas_internal_gemmt_kernelIlLi16ELi32ELi8ELc84ELc78ELc85ELb0ELb0EddPKdPdEviT_T9_T10_S3_lS5_S3_lS4_T11_S3_li.private_seg_size, 0
	.set _ZL29rocblas_internal_gemmt_kernelIlLi16ELi32ELi8ELc84ELc78ELc85ELb0ELb0EddPKdPdEviT_T9_T10_S3_lS5_S3_lS4_T11_S3_li.uses_vcc, 1
	.set _ZL29rocblas_internal_gemmt_kernelIlLi16ELi32ELi8ELc84ELc78ELc85ELb0ELb0EddPKdPdEviT_T9_T10_S3_lS5_S3_lS4_T11_S3_li.uses_flat_scratch, 0
	.set _ZL29rocblas_internal_gemmt_kernelIlLi16ELi32ELi8ELc84ELc78ELc85ELb0ELb0EddPKdPdEviT_T9_T10_S3_lS5_S3_lS4_T11_S3_li.has_dyn_sized_stack, 0
	.set _ZL29rocblas_internal_gemmt_kernelIlLi16ELi32ELi8ELc84ELc78ELc85ELb0ELb0EddPKdPdEviT_T9_T10_S3_lS5_S3_lS4_T11_S3_li.has_recursion, 0
	.set _ZL29rocblas_internal_gemmt_kernelIlLi16ELi32ELi8ELc84ELc78ELc85ELb0ELb0EddPKdPdEviT_T9_T10_S3_lS5_S3_lS4_T11_S3_li.has_indirect_call, 0
	.section	.AMDGPU.csdata,"",@progbits
; Kernel info:
; codeLenInByte = 1668
; TotalNumSgprs: 46
; NumVgprs: 46
; ScratchSize: 0
; MemoryBound: 0
; FloatMode: 240
; IeeeMode: 1
; LDSByteSize: 4096 bytes/workgroup (compile time only)
; SGPRBlocks: 0
; VGPRBlocks: 5
; NumSGPRsForWavesPerEU: 46
; NumVGPRsForWavesPerEU: 46
; Occupancy: 16
; WaveLimiterHint : 0
; COMPUTE_PGM_RSRC2:SCRATCH_EN: 0
; COMPUTE_PGM_RSRC2:USER_SGPR: 6
; COMPUTE_PGM_RSRC2:TRAP_HANDLER: 0
; COMPUTE_PGM_RSRC2:TGID_X_EN: 1
; COMPUTE_PGM_RSRC2:TGID_Y_EN: 1
; COMPUTE_PGM_RSRC2:TGID_Z_EN: 1
; COMPUTE_PGM_RSRC2:TIDIG_COMP_CNT: 1
	.section	.text._ZL29rocblas_internal_gemmt_kernelIlLi16ELi32ELi8ELc84ELc84ELc85ELb0ELb0EddPKdPdEviT_T9_T10_S3_lS5_S3_lS4_T11_S3_li,"axG",@progbits,_ZL29rocblas_internal_gemmt_kernelIlLi16ELi32ELi8ELc84ELc84ELc85ELb0ELb0EddPKdPdEviT_T9_T10_S3_lS5_S3_lS4_T11_S3_li,comdat
	.globl	_ZL29rocblas_internal_gemmt_kernelIlLi16ELi32ELi8ELc84ELc84ELc85ELb0ELb0EddPKdPdEviT_T9_T10_S3_lS5_S3_lS4_T11_S3_li ; -- Begin function _ZL29rocblas_internal_gemmt_kernelIlLi16ELi32ELi8ELc84ELc84ELc85ELb0ELb0EddPKdPdEviT_T9_T10_S3_lS5_S3_lS4_T11_S3_li
	.p2align	8
	.type	_ZL29rocblas_internal_gemmt_kernelIlLi16ELi32ELi8ELc84ELc84ELc85ELb0ELb0EddPKdPdEviT_T9_T10_S3_lS5_S3_lS4_T11_S3_li,@function
_ZL29rocblas_internal_gemmt_kernelIlLi16ELi32ELi8ELc84ELc84ELc85ELb0ELb0EddPKdPdEviT_T9_T10_S3_lS5_S3_lS4_T11_S3_li: ; @_ZL29rocblas_internal_gemmt_kernelIlLi16ELi32ELi8ELc84ELc84ELc85ELb0ELb0EddPKdPdEviT_T9_T10_S3_lS5_S3_lS4_T11_S3_li
; %bb.0:
	s_clause 0x1
	s_load_dwordx8 s[36:43], s[4:5], 0x48
	s_load_dwordx16 s[12:27], s[4:5], 0x8
	s_waitcnt lgkmcnt(0)
	v_cmp_neq_f64_e64 s0, s[36:37], 1.0
	s_and_b32 vcc_lo, exec_lo, s0
	s_cbranch_vccnz .LBB202_2
; %bb.1:
	v_cmp_neq_f64_e64 s0, s[14:15], 0
	s_cmp_lg_u64 s[12:13], 0
	s_cselect_b32 s1, -1, 0
	s_and_b32 s0, s1, s0
.LBB202_2:
	s_andn2_b32 vcc_lo, exec_lo, s0
	s_cbranch_vccnz .LBB202_28
; %bb.3:
	v_cmp_eq_f64_e64 s0, s[14:15], 0
	s_load_dword s4, s[4:5], 0x0
	v_cmp_lt_i64_e64 s1, s[12:13], 1
	v_mov_b32_e32 v10, 0
	v_mov_b32_e32 v6, 0
	;; [unrolled: 1-line block ×8, first 2 shown]
	s_lshl_b32 s5, s6, 5
	s_lshl_b32 s6, s7, 5
	s_or_b32 s0, s0, s1
	s_and_b32 vcc_lo, exec_lo, s0
	s_cbranch_vccnz .LBB202_12
; %bb.4:
	v_lshl_add_u32 v5, v1, 4, v0
	s_mul_i32 s1, s27, s8
	s_mul_hi_u32 s2, s26, s8
	s_mul_i32 s0, s26, s8
	s_add_i32 s1, s2, s1
	v_and_b32_e32 v6, 31, v5
	s_lshl_b64 s[0:1], s[0:1], 3
	s_mul_i32 s2, s21, s8
	s_add_u32 s3, s22, s0
	s_addc_u32 s7, s23, s1
	v_or_b32_e32 v7, s5, v6
	s_mul_hi_u32 s1, s20, s8
	s_mul_i32 s0, s20, s8
	s_add_i32 s1, s1, s2
	v_lshrrev_b32_e32 v9, 3, v5
	v_mul_lo_u32 v8, s19, v7
	v_mad_u64_u32 v[2:3], null, s18, v7, 0
	s_lshl_b64 s[0:1], s[0:1], 3
	v_add_nc_u32_e32 v4, s6, v9
	s_add_u32 s2, s16, s0
	s_addc_u32 s1, s17, s1
	s_ashr_i32 s0, s5, 31
	v_and_b32_e32 v16, 7, v0
	s_mul_i32 s0, s18, s0
	v_lshrrev_b32_e32 v17, 5, v5
	v_add3_u32 v3, v3, s0, v8
	v_lshlrev_b32_e32 v6, 3, v6
	v_ashrrev_i32_e32 v5, 31, v4
	v_lshlrev_b32_e32 v8, 3, v16
	s_waitcnt lgkmcnt(0)
	v_cmp_gt_i32_e64 s0, s4, v7
	v_lshlrev_b64 v[2:3], 3, v[2:3]
	v_lshl_or_b32 v18, v17, 8, v6
	v_lshlrev_b64 v[5:6], 3, v[4:5]
	v_lshl_or_b32 v7, v9, 6, v8
	v_mov_b32_e32 v10, 0
	v_lshlrev_b32_e32 v24, 3, v0
	v_add_co_u32 v19, vcc_lo, s2, v2
	v_add_co_ci_u32_e64 v20, null, s1, v3, vcc_lo
	v_add_co_u32 v22, vcc_lo, s3, v5
	v_cmp_gt_i32_e64 s1, s4, v4
	v_add_nc_u32_e32 v21, 0x800, v7
	v_add_co_ci_u32_e64 v23, null, s7, v6, vcc_lo
	v_mov_b32_e32 v2, 0
	v_mov_b32_e32 v4, 0
	;; [unrolled: 1-line block ×3, first 2 shown]
	v_lshl_add_u32 v25, v1, 6, 0x800
	v_mov_b32_e32 v3, 0
	v_mov_b32_e32 v5, 0
	v_mov_b32_e32 v7, 0
	v_mov_b32_e32 v11, 0
	v_mov_b32_e32 v9, 0
	s_mov_b64 s[2:3], 0
	s_branch .LBB202_6
.LBB202_5:                              ;   in Loop: Header=BB202_6 Depth=1
	s_or_b32 exec_lo, exec_lo, s7
	s_waitcnt vmcnt(0)
	ds_write_b64 v21, v[14:15]
	s_waitcnt lgkmcnt(0)
	s_barrier
	buffer_gl0_inv
	ds_read_b128 v[12:15], v25
	ds_read2_b64 v[26:29], v24 offset1:16
	ds_read_b128 v[30:33], v25 offset:1024
	ds_read_b128 v[34:37], v25 offset:16
	ds_read2_b64 v[38:41], v24 offset0:32 offset1:48
	ds_read_b128 v[42:45], v25 offset:1040
	s_add_u32 s2, s2, 8
	s_addc_u32 s3, s3, 0
	v_cmp_gt_i64_e64 s7, s[12:13], s[2:3]
	s_and_b32 vcc_lo, exec_lo, s7
	s_waitcnt lgkmcnt(4)
	v_fma_f64 v[10:11], v[26:27], v[12:13], v[10:11]
	v_fma_f64 v[6:7], v[28:29], v[12:13], v[6:7]
	s_waitcnt lgkmcnt(3)
	v_fma_f64 v[12:13], v[26:27], v[30:31], v[4:5]
	v_fma_f64 v[26:27], v[28:29], v[30:31], v[2:3]
	ds_read2_b64 v[2:5], v24 offset0:64 offset1:80
	s_waitcnt lgkmcnt(2)
	v_fma_f64 v[28:29], v[38:39], v[14:15], v[10:11]
	v_fma_f64 v[6:7], v[40:41], v[14:15], v[6:7]
	;; [unrolled: 1-line block ×4, first 2 shown]
	ds_read2_b64 v[10:13], v24 offset0:96 offset1:112
	s_waitcnt lgkmcnt(1)
	v_fma_f64 v[30:31], v[2:3], v[34:35], v[28:29]
	v_fma_f64 v[6:7], v[4:5], v[34:35], v[6:7]
	;; [unrolled: 1-line block ×4, first 2 shown]
	ds_read_b128 v[2:5], v25 offset:32
	ds_read2_b64 v[26:29], v24 offset0:128 offset1:144
	s_waitcnt lgkmcnt(2)
	v_fma_f64 v[42:43], v[10:11], v[36:37], v[30:31]
	v_fma_f64 v[6:7], v[12:13], v[36:37], v[6:7]
	v_fma_f64 v[14:15], v[10:11], v[44:45], v[14:15]
	v_fma_f64 v[44:45], v[12:13], v[44:45], v[32:33]
	ds_read_b128 v[10:13], v25 offset:1056
	ds_read_b128 v[30:33], v25 offset:48
	ds_read2_b64 v[34:37], v24 offset0:160 offset1:176
	ds_read_b128 v[38:41], v25 offset:1072
	s_waitcnt lgkmcnt(4)
	v_fma_f64 v[42:43], v[26:27], v[2:3], v[42:43]
	v_fma_f64 v[2:3], v[28:29], v[2:3], v[6:7]
	s_waitcnt lgkmcnt(3)
	v_fma_f64 v[6:7], v[26:27], v[10:11], v[14:15]
	v_fma_f64 v[10:11], v[28:29], v[10:11], v[44:45]
	ds_read2_b64 v[26:29], v24 offset0:192 offset1:208
	s_waitcnt lgkmcnt(2)
	v_fma_f64 v[42:43], v[34:35], v[4:5], v[42:43]
	v_fma_f64 v[2:3], v[36:37], v[4:5], v[2:3]
	;; [unrolled: 1-line block ×4, first 2 shown]
	ds_read2_b64 v[12:15], v24 offset0:224 offset1:240
	s_waitcnt lgkmcnt(0)
	s_barrier
	buffer_gl0_inv
	v_fma_f64 v[10:11], v[26:27], v[30:31], v[42:43]
	v_fma_f64 v[2:3], v[28:29], v[30:31], v[2:3]
	;; [unrolled: 1-line block ×8, first 2 shown]
	s_cbranch_vccz .LBB202_12
.LBB202_6:                              ; =>This Inner Loop Header: Depth=1
	v_mov_b32_e32 v12, 0
	v_mov_b32_e32 v13, 0
	s_and_saveexec_b32 s7, s0
	s_cbranch_execz .LBB202_10
; %bb.7:                                ;   in Loop: Header=BB202_6 Depth=1
	v_mov_b32_e32 v12, 0
	v_add_nc_u32_e32 v8, s2, v17
	v_mov_b32_e32 v13, 0
	s_mov_b32 s9, exec_lo
	v_cmpx_gt_u64_e64 s[12:13], v[8:9]
	s_cbranch_execz .LBB202_9
; %bb.8:                                ;   in Loop: Header=BB202_6 Depth=1
	v_lshlrev_b64 v[12:13], 3, v[8:9]
	v_add_co_u32 v12, vcc_lo, v19, v12
	v_add_co_ci_u32_e64 v13, null, v20, v13, vcc_lo
	global_load_dwordx2 v[12:13], v[12:13], off
.LBB202_9:                              ;   in Loop: Header=BB202_6 Depth=1
	s_or_b32 exec_lo, exec_lo, s9
.LBB202_10:                             ;   in Loop: Header=BB202_6 Depth=1
	s_or_b32 exec_lo, exec_lo, s7
	v_add_nc_u32_e32 v8, s2, v16
	v_mov_b32_e32 v14, 0
	v_mov_b32_e32 v15, 0
	s_waitcnt vmcnt(0)
	ds_write_b64 v18, v[12:13]
	v_cmp_gt_u64_e32 vcc_lo, s[12:13], v[8:9]
	s_and_b32 s9, vcc_lo, s1
	s_and_saveexec_b32 s7, s9
	s_cbranch_execz .LBB202_5
; %bb.11:                               ;   in Loop: Header=BB202_6 Depth=1
	v_mad_u64_u32 v[12:13], null, s24, v8, 0
	v_mad_u64_u32 v[13:14], null, s25, v8, v[13:14]
	v_lshlrev_b64 v[12:13], 3, v[12:13]
	v_add_co_u32 v12, vcc_lo, v22, v12
	v_add_co_ci_u32_e64 v13, null, v23, v13, vcc_lo
	global_load_dwordx2 v[14:15], v[12:13], off
	s_branch .LBB202_5
.LBB202_12:
	v_add_nc_u32_e32 v13, s6, v1
	v_add_nc_u32_e32 v0, s5, v0
	v_cmp_neq_f64_e64 s5, s[36:37], 0
	s_mul_i32 s1, s43, s8
	s_mul_hi_u32 s2, s42, s8
	v_ashrrev_i32_e32 v1, 31, v13
	v_mul_lo_u32 v12, s41, v13
	v_mad_u64_u32 v[8:9], null, s40, v13, 0
	s_mul_i32 s0, s42, s8
	v_mul_lo_u32 v1, s40, v1
	s_add_i32 s1, s2, s1
	v_cmp_le_i32_e32 vcc_lo, v0, v13
	s_lshl_b64 s[2:3], s[0:1], 3
	s_waitcnt lgkmcnt(0)
	v_cmp_gt_i32_e64 s0, s4, v13
	s_add_u32 s2, s38, s2
	s_addc_u32 s3, s39, s3
	v_add3_u32 v9, v9, v1, v12
	v_ashrrev_i32_e32 v1, 31, v0
	s_and_b32 s6, s0, vcc_lo
	v_lshlrev_b64 v[8:9], 3, v[8:9]
	v_cndmask_b32_e64 v12, 0, 1, s5
	v_add_co_u32 v14, s1, s2, v8
	v_add_co_ci_u32_e64 v15, null, s3, v9, s1
	s_and_saveexec_b32 s1, s6
	s_cbranch_execz .LBB202_16
; %bb.13:
	v_mul_f64 v[8:9], s[14:15], v[10:11]
	v_lshlrev_b64 v[10:11], 3, v[0:1]
	v_add_co_u32 v10, vcc_lo, v14, v10
	v_add_co_ci_u32_e64 v11, null, v15, v11, vcc_lo
	s_andn2_b32 vcc_lo, exec_lo, s5
	s_cbranch_vccnz .LBB202_15
; %bb.14:
	global_load_dwordx2 v[16:17], v[10:11], off
	s_waitcnt vmcnt(0)
	v_fma_f64 v[8:9], s[36:37], v[16:17], v[8:9]
.LBB202_15:
	global_store_dwordx2 v[10:11], v[8:9], off
.LBB202_16:
	s_or_b32 exec_lo, exec_lo, s1
	v_add_nc_u32_e32 v8, 16, v0
	v_cmp_le_i32_e32 vcc_lo, v8, v13
	v_ashrrev_i32_e32 v9, 31, v8
	s_and_b32 s0, s0, vcc_lo
	s_and_saveexec_b32 s1, s0
	s_cbranch_execz .LBB202_20
; %bb.17:
	v_mul_f64 v[6:7], s[14:15], v[6:7]
	v_lshlrev_b64 v[10:11], 3, v[8:9]
	v_cmp_ne_u32_e32 vcc_lo, 1, v12
	v_add_co_u32 v10, s0, v14, v10
	v_add_co_ci_u32_e64 v11, null, v15, v11, s0
	s_cbranch_vccnz .LBB202_19
; %bb.18:
	global_load_dwordx2 v[14:15], v[10:11], off
	s_waitcnt vmcnt(0)
	v_fma_f64 v[6:7], s[36:37], v[14:15], v[6:7]
.LBB202_19:
	global_store_dwordx2 v[10:11], v[6:7], off
.LBB202_20:
	s_or_b32 exec_lo, exec_lo, s1
	v_add_nc_u32_e32 v10, 16, v13
	v_ashrrev_i32_e32 v11, 31, v10
	v_mul_lo_u32 v13, s41, v10
	v_mad_u64_u32 v[6:7], null, s40, v10, 0
	v_cmp_gt_i32_e64 s0, s4, v10
	v_mul_lo_u32 v11, s40, v11
	v_cmp_le_i32_e32 vcc_lo, v0, v10
	v_add3_u32 v7, v7, v11, v13
	v_lshlrev_b64 v[6:7], 3, v[6:7]
	v_add_co_u32 v6, s1, s2, v6
	v_add_co_ci_u32_e64 v7, null, s3, v7, s1
	s_and_b32 s1, s0, vcc_lo
	s_and_saveexec_b32 s2, s1
	s_cbranch_execz .LBB202_24
; %bb.21:
	v_mul_f64 v[4:5], s[14:15], v[4:5]
	v_lshlrev_b64 v[0:1], 3, v[0:1]
	v_cmp_ne_u32_e32 vcc_lo, 1, v12
	v_add_co_u32 v0, s1, v6, v0
	v_add_co_ci_u32_e64 v1, null, v7, v1, s1
	s_cbranch_vccnz .LBB202_23
; %bb.22:
	global_load_dwordx2 v[13:14], v[0:1], off
	s_waitcnt vmcnt(0)
	v_fma_f64 v[4:5], s[36:37], v[13:14], v[4:5]
.LBB202_23:
	global_store_dwordx2 v[0:1], v[4:5], off
.LBB202_24:
	s_or_b32 exec_lo, exec_lo, s2
	v_cmp_le_i32_e32 vcc_lo, v8, v10
	s_and_b32 s0, s0, vcc_lo
	s_and_saveexec_b32 s1, s0
	s_cbranch_execz .LBB202_28
; %bb.25:
	v_mul_f64 v[0:1], s[14:15], v[2:3]
	v_lshlrev_b64 v[2:3], 3, v[8:9]
	v_cmp_ne_u32_e32 vcc_lo, 1, v12
	v_add_co_u32 v2, s0, v6, v2
	v_add_co_ci_u32_e64 v3, null, v7, v3, s0
	s_cbranch_vccnz .LBB202_27
; %bb.26:
	global_load_dwordx2 v[4:5], v[2:3], off
	s_waitcnt vmcnt(0)
	v_fma_f64 v[0:1], s[36:37], v[4:5], v[0:1]
.LBB202_27:
	global_store_dwordx2 v[2:3], v[0:1], off
.LBB202_28:
	s_endpgm
	.section	.rodata,"a",@progbits
	.p2align	6, 0x0
	.amdhsa_kernel _ZL29rocblas_internal_gemmt_kernelIlLi16ELi32ELi8ELc84ELc84ELc85ELb0ELb0EddPKdPdEviT_T9_T10_S3_lS5_S3_lS4_T11_S3_li
		.amdhsa_group_segment_fixed_size 4096
		.amdhsa_private_segment_fixed_size 0
		.amdhsa_kernarg_size 108
		.amdhsa_user_sgpr_count 6
		.amdhsa_user_sgpr_private_segment_buffer 1
		.amdhsa_user_sgpr_dispatch_ptr 0
		.amdhsa_user_sgpr_queue_ptr 0
		.amdhsa_user_sgpr_kernarg_segment_ptr 1
		.amdhsa_user_sgpr_dispatch_id 0
		.amdhsa_user_sgpr_flat_scratch_init 0
		.amdhsa_user_sgpr_private_segment_size 0
		.amdhsa_wavefront_size32 1
		.amdhsa_uses_dynamic_stack 0
		.amdhsa_system_sgpr_private_segment_wavefront_offset 0
		.amdhsa_system_sgpr_workgroup_id_x 1
		.amdhsa_system_sgpr_workgroup_id_y 1
		.amdhsa_system_sgpr_workgroup_id_z 1
		.amdhsa_system_sgpr_workgroup_info 0
		.amdhsa_system_vgpr_workitem_id 1
		.amdhsa_next_free_vgpr 46
		.amdhsa_next_free_sgpr 44
		.amdhsa_reserve_vcc 1
		.amdhsa_reserve_flat_scratch 0
		.amdhsa_float_round_mode_32 0
		.amdhsa_float_round_mode_16_64 0
		.amdhsa_float_denorm_mode_32 3
		.amdhsa_float_denorm_mode_16_64 3
		.amdhsa_dx10_clamp 1
		.amdhsa_ieee_mode 1
		.amdhsa_fp16_overflow 0
		.amdhsa_workgroup_processor_mode 1
		.amdhsa_memory_ordered 1
		.amdhsa_forward_progress 1
		.amdhsa_shared_vgpr_count 0
		.amdhsa_exception_fp_ieee_invalid_op 0
		.amdhsa_exception_fp_denorm_src 0
		.amdhsa_exception_fp_ieee_div_zero 0
		.amdhsa_exception_fp_ieee_overflow 0
		.amdhsa_exception_fp_ieee_underflow 0
		.amdhsa_exception_fp_ieee_inexact 0
		.amdhsa_exception_int_div_zero 0
	.end_amdhsa_kernel
	.section	.text._ZL29rocblas_internal_gemmt_kernelIlLi16ELi32ELi8ELc84ELc84ELc85ELb0ELb0EddPKdPdEviT_T9_T10_S3_lS5_S3_lS4_T11_S3_li,"axG",@progbits,_ZL29rocblas_internal_gemmt_kernelIlLi16ELi32ELi8ELc84ELc84ELc85ELb0ELb0EddPKdPdEviT_T9_T10_S3_lS5_S3_lS4_T11_S3_li,comdat
.Lfunc_end202:
	.size	_ZL29rocblas_internal_gemmt_kernelIlLi16ELi32ELi8ELc84ELc84ELc85ELb0ELb0EddPKdPdEviT_T9_T10_S3_lS5_S3_lS4_T11_S3_li, .Lfunc_end202-_ZL29rocblas_internal_gemmt_kernelIlLi16ELi32ELi8ELc84ELc84ELc85ELb0ELb0EddPKdPdEviT_T9_T10_S3_lS5_S3_lS4_T11_S3_li
                                        ; -- End function
	.set _ZL29rocblas_internal_gemmt_kernelIlLi16ELi32ELi8ELc84ELc84ELc85ELb0ELb0EddPKdPdEviT_T9_T10_S3_lS5_S3_lS4_T11_S3_li.num_vgpr, 46
	.set _ZL29rocblas_internal_gemmt_kernelIlLi16ELi32ELi8ELc84ELc84ELc85ELb0ELb0EddPKdPdEviT_T9_T10_S3_lS5_S3_lS4_T11_S3_li.num_agpr, 0
	.set _ZL29rocblas_internal_gemmt_kernelIlLi16ELi32ELi8ELc84ELc84ELc85ELb0ELb0EddPKdPdEviT_T9_T10_S3_lS5_S3_lS4_T11_S3_li.numbered_sgpr, 44
	.set _ZL29rocblas_internal_gemmt_kernelIlLi16ELi32ELi8ELc84ELc84ELc85ELb0ELb0EddPKdPdEviT_T9_T10_S3_lS5_S3_lS4_T11_S3_li.num_named_barrier, 0
	.set _ZL29rocblas_internal_gemmt_kernelIlLi16ELi32ELi8ELc84ELc84ELc85ELb0ELb0EddPKdPdEviT_T9_T10_S3_lS5_S3_lS4_T11_S3_li.private_seg_size, 0
	.set _ZL29rocblas_internal_gemmt_kernelIlLi16ELi32ELi8ELc84ELc84ELc85ELb0ELb0EddPKdPdEviT_T9_T10_S3_lS5_S3_lS4_T11_S3_li.uses_vcc, 1
	.set _ZL29rocblas_internal_gemmt_kernelIlLi16ELi32ELi8ELc84ELc84ELc85ELb0ELb0EddPKdPdEviT_T9_T10_S3_lS5_S3_lS4_T11_S3_li.uses_flat_scratch, 0
	.set _ZL29rocblas_internal_gemmt_kernelIlLi16ELi32ELi8ELc84ELc84ELc85ELb0ELb0EddPKdPdEviT_T9_T10_S3_lS5_S3_lS4_T11_S3_li.has_dyn_sized_stack, 0
	.set _ZL29rocblas_internal_gemmt_kernelIlLi16ELi32ELi8ELc84ELc84ELc85ELb0ELb0EddPKdPdEviT_T9_T10_S3_lS5_S3_lS4_T11_S3_li.has_recursion, 0
	.set _ZL29rocblas_internal_gemmt_kernelIlLi16ELi32ELi8ELc84ELc84ELc85ELb0ELb0EddPKdPdEviT_T9_T10_S3_lS5_S3_lS4_T11_S3_li.has_indirect_call, 0
	.section	.AMDGPU.csdata,"",@progbits
; Kernel info:
; codeLenInByte = 1652
; TotalNumSgprs: 46
; NumVgprs: 46
; ScratchSize: 0
; MemoryBound: 0
; FloatMode: 240
; IeeeMode: 1
; LDSByteSize: 4096 bytes/workgroup (compile time only)
; SGPRBlocks: 0
; VGPRBlocks: 5
; NumSGPRsForWavesPerEU: 46
; NumVGPRsForWavesPerEU: 46
; Occupancy: 16
; WaveLimiterHint : 0
; COMPUTE_PGM_RSRC2:SCRATCH_EN: 0
; COMPUTE_PGM_RSRC2:USER_SGPR: 6
; COMPUTE_PGM_RSRC2:TRAP_HANDLER: 0
; COMPUTE_PGM_RSRC2:TGID_X_EN: 1
; COMPUTE_PGM_RSRC2:TGID_Y_EN: 1
; COMPUTE_PGM_RSRC2:TGID_Z_EN: 1
; COMPUTE_PGM_RSRC2:TIDIG_COMP_CNT: 1
	.section	.text._ZL29rocblas_internal_gemmt_kernelIlLi16ELi32ELi8ELc84ELc67ELc85ELb0ELb0EddPKdPdEviT_T9_T10_S3_lS5_S3_lS4_T11_S3_li,"axG",@progbits,_ZL29rocblas_internal_gemmt_kernelIlLi16ELi32ELi8ELc84ELc67ELc85ELb0ELb0EddPKdPdEviT_T9_T10_S3_lS5_S3_lS4_T11_S3_li,comdat
	.globl	_ZL29rocblas_internal_gemmt_kernelIlLi16ELi32ELi8ELc84ELc67ELc85ELb0ELb0EddPKdPdEviT_T9_T10_S3_lS5_S3_lS4_T11_S3_li ; -- Begin function _ZL29rocblas_internal_gemmt_kernelIlLi16ELi32ELi8ELc84ELc67ELc85ELb0ELb0EddPKdPdEviT_T9_T10_S3_lS5_S3_lS4_T11_S3_li
	.p2align	8
	.type	_ZL29rocblas_internal_gemmt_kernelIlLi16ELi32ELi8ELc84ELc67ELc85ELb0ELb0EddPKdPdEviT_T9_T10_S3_lS5_S3_lS4_T11_S3_li,@function
_ZL29rocblas_internal_gemmt_kernelIlLi16ELi32ELi8ELc84ELc67ELc85ELb0ELb0EddPKdPdEviT_T9_T10_S3_lS5_S3_lS4_T11_S3_li: ; @_ZL29rocblas_internal_gemmt_kernelIlLi16ELi32ELi8ELc84ELc67ELc85ELb0ELb0EddPKdPdEviT_T9_T10_S3_lS5_S3_lS4_T11_S3_li
; %bb.0:
	s_clause 0x1
	s_load_dwordx8 s[36:43], s[4:5], 0x48
	s_load_dwordx16 s[12:27], s[4:5], 0x8
	s_waitcnt lgkmcnt(0)
	v_cmp_neq_f64_e64 s0, s[36:37], 1.0
	s_and_b32 vcc_lo, exec_lo, s0
	s_cbranch_vccnz .LBB203_2
; %bb.1:
	v_cmp_neq_f64_e64 s0, s[14:15], 0
	s_cmp_lg_u64 s[12:13], 0
	s_cselect_b32 s1, -1, 0
	s_and_b32 s0, s1, s0
.LBB203_2:
	s_andn2_b32 vcc_lo, exec_lo, s0
	s_cbranch_vccnz .LBB203_28
; %bb.3:
	v_cmp_eq_f64_e64 s0, s[14:15], 0
	s_load_dword s4, s[4:5], 0x0
	v_cmp_lt_i64_e64 s1, s[12:13], 1
	v_mov_b32_e32 v10, 0
	v_mov_b32_e32 v6, 0
	;; [unrolled: 1-line block ×8, first 2 shown]
	s_lshl_b32 s5, s6, 5
	s_lshl_b32 s6, s7, 5
	s_or_b32 s0, s0, s1
	s_and_b32 vcc_lo, exec_lo, s0
	s_cbranch_vccnz .LBB203_12
; %bb.4:
	v_lshl_add_u32 v5, v1, 4, v0
	s_mul_i32 s1, s27, s8
	s_mul_hi_u32 s2, s26, s8
	s_mul_i32 s0, s26, s8
	s_add_i32 s1, s2, s1
	v_and_b32_e32 v6, 31, v5
	s_lshl_b64 s[0:1], s[0:1], 3
	s_mul_i32 s2, s21, s8
	s_add_u32 s3, s22, s0
	s_addc_u32 s7, s23, s1
	v_or_b32_e32 v7, s5, v6
	s_mul_hi_u32 s1, s20, s8
	s_mul_i32 s0, s20, s8
	s_add_i32 s1, s1, s2
	v_lshrrev_b32_e32 v9, 3, v5
	v_mul_lo_u32 v8, s19, v7
	v_mad_u64_u32 v[2:3], null, s18, v7, 0
	s_lshl_b64 s[0:1], s[0:1], 3
	v_add_nc_u32_e32 v4, s6, v9
	s_add_u32 s2, s16, s0
	s_addc_u32 s1, s17, s1
	s_ashr_i32 s0, s5, 31
	v_and_b32_e32 v16, 7, v0
	s_mul_i32 s0, s18, s0
	v_lshrrev_b32_e32 v17, 5, v5
	v_add3_u32 v3, v3, s0, v8
	v_lshlrev_b32_e32 v6, 3, v6
	v_ashrrev_i32_e32 v5, 31, v4
	v_lshlrev_b32_e32 v8, 3, v16
	s_waitcnt lgkmcnt(0)
	v_cmp_gt_i32_e64 s0, s4, v7
	v_lshlrev_b64 v[2:3], 3, v[2:3]
	v_lshl_or_b32 v18, v17, 8, v6
	v_lshlrev_b64 v[5:6], 3, v[4:5]
	v_lshl_or_b32 v7, v9, 6, v8
	v_mov_b32_e32 v10, 0
	v_lshlrev_b32_e32 v24, 3, v0
	v_add_co_u32 v19, vcc_lo, s2, v2
	v_add_co_ci_u32_e64 v20, null, s1, v3, vcc_lo
	v_add_co_u32 v22, vcc_lo, s3, v5
	v_cmp_gt_i32_e64 s1, s4, v4
	v_add_nc_u32_e32 v21, 0x800, v7
	v_add_co_ci_u32_e64 v23, null, s7, v6, vcc_lo
	v_mov_b32_e32 v2, 0
	v_mov_b32_e32 v4, 0
	;; [unrolled: 1-line block ×3, first 2 shown]
	v_lshl_add_u32 v25, v1, 6, 0x800
	v_mov_b32_e32 v3, 0
	v_mov_b32_e32 v5, 0
	v_mov_b32_e32 v7, 0
	v_mov_b32_e32 v11, 0
	v_mov_b32_e32 v9, 0
	s_mov_b64 s[2:3], 0
	s_branch .LBB203_6
.LBB203_5:                              ;   in Loop: Header=BB203_6 Depth=1
	s_or_b32 exec_lo, exec_lo, s7
	s_waitcnt vmcnt(0)
	ds_write_b64 v21, v[14:15]
	s_waitcnt lgkmcnt(0)
	s_barrier
	buffer_gl0_inv
	ds_read_b128 v[12:15], v25
	ds_read2_b64 v[26:29], v24 offset1:16
	ds_read_b128 v[30:33], v25 offset:1024
	ds_read_b128 v[34:37], v25 offset:16
	ds_read2_b64 v[38:41], v24 offset0:32 offset1:48
	ds_read_b128 v[42:45], v25 offset:1040
	s_add_u32 s2, s2, 8
	s_addc_u32 s3, s3, 0
	v_cmp_gt_i64_e64 s7, s[12:13], s[2:3]
	s_and_b32 vcc_lo, exec_lo, s7
	s_waitcnt lgkmcnt(4)
	v_fma_f64 v[10:11], v[26:27], v[12:13], v[10:11]
	v_fma_f64 v[6:7], v[28:29], v[12:13], v[6:7]
	s_waitcnt lgkmcnt(3)
	v_fma_f64 v[12:13], v[26:27], v[30:31], v[4:5]
	v_fma_f64 v[26:27], v[28:29], v[30:31], v[2:3]
	ds_read2_b64 v[2:5], v24 offset0:64 offset1:80
	s_waitcnt lgkmcnt(2)
	v_fma_f64 v[28:29], v[38:39], v[14:15], v[10:11]
	v_fma_f64 v[6:7], v[40:41], v[14:15], v[6:7]
	;; [unrolled: 1-line block ×4, first 2 shown]
	ds_read2_b64 v[10:13], v24 offset0:96 offset1:112
	s_waitcnt lgkmcnt(1)
	v_fma_f64 v[30:31], v[2:3], v[34:35], v[28:29]
	v_fma_f64 v[6:7], v[4:5], v[34:35], v[6:7]
	;; [unrolled: 1-line block ×4, first 2 shown]
	ds_read_b128 v[2:5], v25 offset:32
	ds_read2_b64 v[26:29], v24 offset0:128 offset1:144
	s_waitcnt lgkmcnt(2)
	v_fma_f64 v[42:43], v[10:11], v[36:37], v[30:31]
	v_fma_f64 v[6:7], v[12:13], v[36:37], v[6:7]
	;; [unrolled: 1-line block ×4, first 2 shown]
	ds_read_b128 v[10:13], v25 offset:1056
	ds_read_b128 v[30:33], v25 offset:48
	ds_read2_b64 v[34:37], v24 offset0:160 offset1:176
	ds_read_b128 v[38:41], v25 offset:1072
	s_waitcnt lgkmcnt(4)
	v_fma_f64 v[42:43], v[26:27], v[2:3], v[42:43]
	v_fma_f64 v[2:3], v[28:29], v[2:3], v[6:7]
	s_waitcnt lgkmcnt(3)
	v_fma_f64 v[6:7], v[26:27], v[10:11], v[14:15]
	v_fma_f64 v[10:11], v[28:29], v[10:11], v[44:45]
	ds_read2_b64 v[26:29], v24 offset0:192 offset1:208
	s_waitcnt lgkmcnt(2)
	v_fma_f64 v[42:43], v[34:35], v[4:5], v[42:43]
	v_fma_f64 v[2:3], v[36:37], v[4:5], v[2:3]
	;; [unrolled: 1-line block ×4, first 2 shown]
	ds_read2_b64 v[12:15], v24 offset0:224 offset1:240
	s_waitcnt lgkmcnt(0)
	s_barrier
	buffer_gl0_inv
	v_fma_f64 v[10:11], v[26:27], v[30:31], v[42:43]
	v_fma_f64 v[2:3], v[28:29], v[30:31], v[2:3]
	;; [unrolled: 1-line block ×8, first 2 shown]
	s_cbranch_vccz .LBB203_12
.LBB203_6:                              ; =>This Inner Loop Header: Depth=1
	v_mov_b32_e32 v12, 0
	v_mov_b32_e32 v13, 0
	s_and_saveexec_b32 s7, s0
	s_cbranch_execz .LBB203_10
; %bb.7:                                ;   in Loop: Header=BB203_6 Depth=1
	v_mov_b32_e32 v12, 0
	v_add_nc_u32_e32 v8, s2, v17
	v_mov_b32_e32 v13, 0
	s_mov_b32 s9, exec_lo
	v_cmpx_gt_u64_e64 s[12:13], v[8:9]
	s_cbranch_execz .LBB203_9
; %bb.8:                                ;   in Loop: Header=BB203_6 Depth=1
	v_lshlrev_b64 v[12:13], 3, v[8:9]
	v_add_co_u32 v12, vcc_lo, v19, v12
	v_add_co_ci_u32_e64 v13, null, v20, v13, vcc_lo
	global_load_dwordx2 v[12:13], v[12:13], off
.LBB203_9:                              ;   in Loop: Header=BB203_6 Depth=1
	s_or_b32 exec_lo, exec_lo, s9
.LBB203_10:                             ;   in Loop: Header=BB203_6 Depth=1
	s_or_b32 exec_lo, exec_lo, s7
	v_add_nc_u32_e32 v8, s2, v16
	v_mov_b32_e32 v14, 0
	v_mov_b32_e32 v15, 0
	s_waitcnt vmcnt(0)
	ds_write_b64 v18, v[12:13]
	v_cmp_gt_u64_e32 vcc_lo, s[12:13], v[8:9]
	s_and_b32 s9, vcc_lo, s1
	s_and_saveexec_b32 s7, s9
	s_cbranch_execz .LBB203_5
; %bb.11:                               ;   in Loop: Header=BB203_6 Depth=1
	v_mad_u64_u32 v[12:13], null, s24, v8, 0
	v_mad_u64_u32 v[13:14], null, s25, v8, v[13:14]
	v_lshlrev_b64 v[12:13], 3, v[12:13]
	v_add_co_u32 v12, vcc_lo, v22, v12
	v_add_co_ci_u32_e64 v13, null, v23, v13, vcc_lo
	global_load_dwordx2 v[14:15], v[12:13], off
	s_branch .LBB203_5
.LBB203_12:
	v_add_nc_u32_e32 v13, s6, v1
	v_add_nc_u32_e32 v0, s5, v0
	v_cmp_neq_f64_e64 s5, s[36:37], 0
	s_mul_i32 s1, s43, s8
	s_mul_hi_u32 s2, s42, s8
	v_ashrrev_i32_e32 v1, 31, v13
	v_mul_lo_u32 v12, s41, v13
	v_mad_u64_u32 v[8:9], null, s40, v13, 0
	s_mul_i32 s0, s42, s8
	v_mul_lo_u32 v1, s40, v1
	s_add_i32 s1, s2, s1
	v_cmp_le_i32_e32 vcc_lo, v0, v13
	s_lshl_b64 s[2:3], s[0:1], 3
	s_waitcnt lgkmcnt(0)
	v_cmp_gt_i32_e64 s0, s4, v13
	s_add_u32 s2, s38, s2
	s_addc_u32 s3, s39, s3
	v_add3_u32 v9, v9, v1, v12
	v_ashrrev_i32_e32 v1, 31, v0
	s_and_b32 s6, s0, vcc_lo
	v_lshlrev_b64 v[8:9], 3, v[8:9]
	v_cndmask_b32_e64 v12, 0, 1, s5
	v_add_co_u32 v14, s1, s2, v8
	v_add_co_ci_u32_e64 v15, null, s3, v9, s1
	s_and_saveexec_b32 s1, s6
	s_cbranch_execz .LBB203_16
; %bb.13:
	v_mul_f64 v[8:9], s[14:15], v[10:11]
	v_lshlrev_b64 v[10:11], 3, v[0:1]
	v_add_co_u32 v10, vcc_lo, v14, v10
	v_add_co_ci_u32_e64 v11, null, v15, v11, vcc_lo
	s_andn2_b32 vcc_lo, exec_lo, s5
	s_cbranch_vccnz .LBB203_15
; %bb.14:
	global_load_dwordx2 v[16:17], v[10:11], off
	s_waitcnt vmcnt(0)
	v_fma_f64 v[8:9], s[36:37], v[16:17], v[8:9]
.LBB203_15:
	global_store_dwordx2 v[10:11], v[8:9], off
.LBB203_16:
	s_or_b32 exec_lo, exec_lo, s1
	v_add_nc_u32_e32 v8, 16, v0
	v_cmp_le_i32_e32 vcc_lo, v8, v13
	v_ashrrev_i32_e32 v9, 31, v8
	s_and_b32 s0, s0, vcc_lo
	s_and_saveexec_b32 s1, s0
	s_cbranch_execz .LBB203_20
; %bb.17:
	v_mul_f64 v[6:7], s[14:15], v[6:7]
	v_lshlrev_b64 v[10:11], 3, v[8:9]
	v_cmp_ne_u32_e32 vcc_lo, 1, v12
	v_add_co_u32 v10, s0, v14, v10
	v_add_co_ci_u32_e64 v11, null, v15, v11, s0
	s_cbranch_vccnz .LBB203_19
; %bb.18:
	global_load_dwordx2 v[14:15], v[10:11], off
	s_waitcnt vmcnt(0)
	v_fma_f64 v[6:7], s[36:37], v[14:15], v[6:7]
.LBB203_19:
	global_store_dwordx2 v[10:11], v[6:7], off
.LBB203_20:
	s_or_b32 exec_lo, exec_lo, s1
	v_add_nc_u32_e32 v10, 16, v13
	v_ashrrev_i32_e32 v11, 31, v10
	v_mul_lo_u32 v13, s41, v10
	v_mad_u64_u32 v[6:7], null, s40, v10, 0
	v_cmp_gt_i32_e64 s0, s4, v10
	v_mul_lo_u32 v11, s40, v11
	v_cmp_le_i32_e32 vcc_lo, v0, v10
	v_add3_u32 v7, v7, v11, v13
	v_lshlrev_b64 v[6:7], 3, v[6:7]
	v_add_co_u32 v6, s1, s2, v6
	v_add_co_ci_u32_e64 v7, null, s3, v7, s1
	s_and_b32 s1, s0, vcc_lo
	s_and_saveexec_b32 s2, s1
	s_cbranch_execz .LBB203_24
; %bb.21:
	v_mul_f64 v[4:5], s[14:15], v[4:5]
	v_lshlrev_b64 v[0:1], 3, v[0:1]
	v_cmp_ne_u32_e32 vcc_lo, 1, v12
	v_add_co_u32 v0, s1, v6, v0
	v_add_co_ci_u32_e64 v1, null, v7, v1, s1
	s_cbranch_vccnz .LBB203_23
; %bb.22:
	global_load_dwordx2 v[13:14], v[0:1], off
	s_waitcnt vmcnt(0)
	v_fma_f64 v[4:5], s[36:37], v[13:14], v[4:5]
.LBB203_23:
	global_store_dwordx2 v[0:1], v[4:5], off
.LBB203_24:
	s_or_b32 exec_lo, exec_lo, s2
	v_cmp_le_i32_e32 vcc_lo, v8, v10
	s_and_b32 s0, s0, vcc_lo
	s_and_saveexec_b32 s1, s0
	s_cbranch_execz .LBB203_28
; %bb.25:
	v_mul_f64 v[0:1], s[14:15], v[2:3]
	v_lshlrev_b64 v[2:3], 3, v[8:9]
	v_cmp_ne_u32_e32 vcc_lo, 1, v12
	v_add_co_u32 v2, s0, v6, v2
	v_add_co_ci_u32_e64 v3, null, v7, v3, s0
	s_cbranch_vccnz .LBB203_27
; %bb.26:
	global_load_dwordx2 v[4:5], v[2:3], off
	s_waitcnt vmcnt(0)
	v_fma_f64 v[0:1], s[36:37], v[4:5], v[0:1]
.LBB203_27:
	global_store_dwordx2 v[2:3], v[0:1], off
.LBB203_28:
	s_endpgm
	.section	.rodata,"a",@progbits
	.p2align	6, 0x0
	.amdhsa_kernel _ZL29rocblas_internal_gemmt_kernelIlLi16ELi32ELi8ELc84ELc67ELc85ELb0ELb0EddPKdPdEviT_T9_T10_S3_lS5_S3_lS4_T11_S3_li
		.amdhsa_group_segment_fixed_size 4096
		.amdhsa_private_segment_fixed_size 0
		.amdhsa_kernarg_size 108
		.amdhsa_user_sgpr_count 6
		.amdhsa_user_sgpr_private_segment_buffer 1
		.amdhsa_user_sgpr_dispatch_ptr 0
		.amdhsa_user_sgpr_queue_ptr 0
		.amdhsa_user_sgpr_kernarg_segment_ptr 1
		.amdhsa_user_sgpr_dispatch_id 0
		.amdhsa_user_sgpr_flat_scratch_init 0
		.amdhsa_user_sgpr_private_segment_size 0
		.amdhsa_wavefront_size32 1
		.amdhsa_uses_dynamic_stack 0
		.amdhsa_system_sgpr_private_segment_wavefront_offset 0
		.amdhsa_system_sgpr_workgroup_id_x 1
		.amdhsa_system_sgpr_workgroup_id_y 1
		.amdhsa_system_sgpr_workgroup_id_z 1
		.amdhsa_system_sgpr_workgroup_info 0
		.amdhsa_system_vgpr_workitem_id 1
		.amdhsa_next_free_vgpr 46
		.amdhsa_next_free_sgpr 44
		.amdhsa_reserve_vcc 1
		.amdhsa_reserve_flat_scratch 0
		.amdhsa_float_round_mode_32 0
		.amdhsa_float_round_mode_16_64 0
		.amdhsa_float_denorm_mode_32 3
		.amdhsa_float_denorm_mode_16_64 3
		.amdhsa_dx10_clamp 1
		.amdhsa_ieee_mode 1
		.amdhsa_fp16_overflow 0
		.amdhsa_workgroup_processor_mode 1
		.amdhsa_memory_ordered 1
		.amdhsa_forward_progress 1
		.amdhsa_shared_vgpr_count 0
		.amdhsa_exception_fp_ieee_invalid_op 0
		.amdhsa_exception_fp_denorm_src 0
		.amdhsa_exception_fp_ieee_div_zero 0
		.amdhsa_exception_fp_ieee_overflow 0
		.amdhsa_exception_fp_ieee_underflow 0
		.amdhsa_exception_fp_ieee_inexact 0
		.amdhsa_exception_int_div_zero 0
	.end_amdhsa_kernel
	.section	.text._ZL29rocblas_internal_gemmt_kernelIlLi16ELi32ELi8ELc84ELc67ELc85ELb0ELb0EddPKdPdEviT_T9_T10_S3_lS5_S3_lS4_T11_S3_li,"axG",@progbits,_ZL29rocblas_internal_gemmt_kernelIlLi16ELi32ELi8ELc84ELc67ELc85ELb0ELb0EddPKdPdEviT_T9_T10_S3_lS5_S3_lS4_T11_S3_li,comdat
.Lfunc_end203:
	.size	_ZL29rocblas_internal_gemmt_kernelIlLi16ELi32ELi8ELc84ELc67ELc85ELb0ELb0EddPKdPdEviT_T9_T10_S3_lS5_S3_lS4_T11_S3_li, .Lfunc_end203-_ZL29rocblas_internal_gemmt_kernelIlLi16ELi32ELi8ELc84ELc67ELc85ELb0ELb0EddPKdPdEviT_T9_T10_S3_lS5_S3_lS4_T11_S3_li
                                        ; -- End function
	.set _ZL29rocblas_internal_gemmt_kernelIlLi16ELi32ELi8ELc84ELc67ELc85ELb0ELb0EddPKdPdEviT_T9_T10_S3_lS5_S3_lS4_T11_S3_li.num_vgpr, 46
	.set _ZL29rocblas_internal_gemmt_kernelIlLi16ELi32ELi8ELc84ELc67ELc85ELb0ELb0EddPKdPdEviT_T9_T10_S3_lS5_S3_lS4_T11_S3_li.num_agpr, 0
	.set _ZL29rocblas_internal_gemmt_kernelIlLi16ELi32ELi8ELc84ELc67ELc85ELb0ELb0EddPKdPdEviT_T9_T10_S3_lS5_S3_lS4_T11_S3_li.numbered_sgpr, 44
	.set _ZL29rocblas_internal_gemmt_kernelIlLi16ELi32ELi8ELc84ELc67ELc85ELb0ELb0EddPKdPdEviT_T9_T10_S3_lS5_S3_lS4_T11_S3_li.num_named_barrier, 0
	.set _ZL29rocblas_internal_gemmt_kernelIlLi16ELi32ELi8ELc84ELc67ELc85ELb0ELb0EddPKdPdEviT_T9_T10_S3_lS5_S3_lS4_T11_S3_li.private_seg_size, 0
	.set _ZL29rocblas_internal_gemmt_kernelIlLi16ELi32ELi8ELc84ELc67ELc85ELb0ELb0EddPKdPdEviT_T9_T10_S3_lS5_S3_lS4_T11_S3_li.uses_vcc, 1
	.set _ZL29rocblas_internal_gemmt_kernelIlLi16ELi32ELi8ELc84ELc67ELc85ELb0ELb0EddPKdPdEviT_T9_T10_S3_lS5_S3_lS4_T11_S3_li.uses_flat_scratch, 0
	.set _ZL29rocblas_internal_gemmt_kernelIlLi16ELi32ELi8ELc84ELc67ELc85ELb0ELb0EddPKdPdEviT_T9_T10_S3_lS5_S3_lS4_T11_S3_li.has_dyn_sized_stack, 0
	.set _ZL29rocblas_internal_gemmt_kernelIlLi16ELi32ELi8ELc84ELc67ELc85ELb0ELb0EddPKdPdEviT_T9_T10_S3_lS5_S3_lS4_T11_S3_li.has_recursion, 0
	.set _ZL29rocblas_internal_gemmt_kernelIlLi16ELi32ELi8ELc84ELc67ELc85ELb0ELb0EddPKdPdEviT_T9_T10_S3_lS5_S3_lS4_T11_S3_li.has_indirect_call, 0
	.section	.AMDGPU.csdata,"",@progbits
; Kernel info:
; codeLenInByte = 1652
; TotalNumSgprs: 46
; NumVgprs: 46
; ScratchSize: 0
; MemoryBound: 0
; FloatMode: 240
; IeeeMode: 1
; LDSByteSize: 4096 bytes/workgroup (compile time only)
; SGPRBlocks: 0
; VGPRBlocks: 5
; NumSGPRsForWavesPerEU: 46
; NumVGPRsForWavesPerEU: 46
; Occupancy: 16
; WaveLimiterHint : 0
; COMPUTE_PGM_RSRC2:SCRATCH_EN: 0
; COMPUTE_PGM_RSRC2:USER_SGPR: 6
; COMPUTE_PGM_RSRC2:TRAP_HANDLER: 0
; COMPUTE_PGM_RSRC2:TGID_X_EN: 1
; COMPUTE_PGM_RSRC2:TGID_Y_EN: 1
; COMPUTE_PGM_RSRC2:TGID_Z_EN: 1
; COMPUTE_PGM_RSRC2:TIDIG_COMP_CNT: 1
	.section	.text._ZL29rocblas_internal_gemmt_kernelIlLi16ELi32ELi8ELc67ELc78ELc85ELb0ELb0EddPKdPdEviT_T9_T10_S3_lS5_S3_lS4_T11_S3_li,"axG",@progbits,_ZL29rocblas_internal_gemmt_kernelIlLi16ELi32ELi8ELc67ELc78ELc85ELb0ELb0EddPKdPdEviT_T9_T10_S3_lS5_S3_lS4_T11_S3_li,comdat
	.globl	_ZL29rocblas_internal_gemmt_kernelIlLi16ELi32ELi8ELc67ELc78ELc85ELb0ELb0EddPKdPdEviT_T9_T10_S3_lS5_S3_lS4_T11_S3_li ; -- Begin function _ZL29rocblas_internal_gemmt_kernelIlLi16ELi32ELi8ELc67ELc78ELc85ELb0ELb0EddPKdPdEviT_T9_T10_S3_lS5_S3_lS4_T11_S3_li
	.p2align	8
	.type	_ZL29rocblas_internal_gemmt_kernelIlLi16ELi32ELi8ELc67ELc78ELc85ELb0ELb0EddPKdPdEviT_T9_T10_S3_lS5_S3_lS4_T11_S3_li,@function
_ZL29rocblas_internal_gemmt_kernelIlLi16ELi32ELi8ELc67ELc78ELc85ELb0ELb0EddPKdPdEviT_T9_T10_S3_lS5_S3_lS4_T11_S3_li: ; @_ZL29rocblas_internal_gemmt_kernelIlLi16ELi32ELi8ELc67ELc78ELc85ELb0ELb0EddPKdPdEviT_T9_T10_S3_lS5_S3_lS4_T11_S3_li
; %bb.0:
	s_clause 0x1
	s_load_dwordx8 s[36:43], s[4:5], 0x48
	s_load_dwordx16 s[12:27], s[4:5], 0x8
	s_waitcnt lgkmcnt(0)
	v_cmp_neq_f64_e64 s0, s[36:37], 1.0
	s_and_b32 vcc_lo, exec_lo, s0
	s_cbranch_vccnz .LBB204_2
; %bb.1:
	v_cmp_neq_f64_e64 s0, s[14:15], 0
	s_cmp_lg_u64 s[12:13], 0
	s_cselect_b32 s1, -1, 0
	s_and_b32 s0, s1, s0
.LBB204_2:
	s_andn2_b32 vcc_lo, exec_lo, s0
	s_cbranch_vccnz .LBB204_28
; %bb.3:
	v_cmp_eq_f64_e64 s0, s[14:15], 0
	s_load_dword s4, s[4:5], 0x0
	v_cmp_lt_i64_e64 s1, s[12:13], 1
	v_mov_b32_e32 v10, 0
	v_mov_b32_e32 v6, 0
	;; [unrolled: 1-line block ×8, first 2 shown]
	s_lshl_b32 s5, s6, 5
	s_lshl_b32 s6, s7, 5
	s_or_b32 s0, s0, s1
	s_and_b32 vcc_lo, exec_lo, s0
	s_cbranch_vccnz .LBB204_12
; %bb.4:
	v_lshl_add_u32 v6, v1, 4, v0
	s_mul_i32 s1, s27, s8
	s_mul_hi_u32 s2, s26, s8
	s_mul_i32 s0, s26, s8
	s_add_i32 s1, s2, s1
	v_lshrrev_b32_e32 v7, 3, v6
	v_and_b32_e32 v8, 31, v6
	s_lshl_b64 s[0:1], s[0:1], 3
	s_mul_hi_u32 s3, s20, s8
	s_add_u32 s2, s22, s0
	v_add_nc_u32_e32 v9, s6, v7
	v_or_b32_e32 v10, s5, v8
	s_mul_i32 s0, s21, s8
	s_addc_u32 s7, s23, s1
	s_add_i32 s1, s3, s0
	v_ashrrev_i32_e32 v4, 31, v9
	s_mul_i32 s0, s20, s8
	v_mul_lo_u32 v11, s19, v10
	v_mad_u64_u32 v[2:3], null, s18, v10, 0
	s_lshl_b64 s[0:1], s[0:1], 3
	v_mul_lo_u32 v12, s24, v4
	v_mul_lo_u32 v13, s25, v9
	v_mad_u64_u32 v[4:5], null, s24, v9, 0
	s_add_u32 s3, s16, s0
	s_addc_u32 s1, s17, s1
	s_ashr_i32 s0, s5, 31
	v_and_b32_e32 v16, 7, v0
	s_mul_i32 s0, s18, s0
	v_lshrrev_b32_e32 v17, 5, v6
	v_add3_u32 v3, v3, s0, v11
	v_add3_u32 v5, v5, v12, v13
	v_lshlrev_b32_e32 v6, 3, v8
	v_lshlrev_b32_e32 v8, 3, v16
	s_waitcnt lgkmcnt(0)
	v_cmp_gt_i32_e64 s0, s4, v10
	v_lshlrev_b64 v[2:3], 3, v[2:3]
	v_lshlrev_b64 v[4:5], 3, v[4:5]
	v_lshl_or_b32 v18, v17, 8, v6
	v_lshl_or_b32 v6, v7, 6, v8
	v_mov_b32_e32 v10, 0
	v_lshlrev_b32_e32 v24, 3, v0
	v_add_co_u32 v19, vcc_lo, s3, v2
	v_add_co_ci_u32_e64 v20, null, s1, v3, vcc_lo
	v_add_co_u32 v22, vcc_lo, s2, v4
	v_add_nc_u32_e32 v21, 0x800, v6
	v_add_co_ci_u32_e64 v23, null, s7, v5, vcc_lo
	v_mov_b32_e32 v2, 0
	v_mov_b32_e32 v4, 0
	;; [unrolled: 1-line block ×3, first 2 shown]
	v_cmp_gt_i32_e64 s1, s4, v9
	v_lshl_add_u32 v25, v1, 6, 0x800
	v_mov_b32_e32 v3, 0
	v_mov_b32_e32 v5, 0
	;; [unrolled: 1-line block ×5, first 2 shown]
	s_mov_b64 s[2:3], 0
	s_branch .LBB204_6
.LBB204_5:                              ;   in Loop: Header=BB204_6 Depth=1
	s_or_b32 exec_lo, exec_lo, s7
	s_waitcnt vmcnt(0)
	ds_write_b64 v21, v[14:15]
	s_waitcnt lgkmcnt(0)
	s_barrier
	buffer_gl0_inv
	ds_read_b128 v[12:15], v25
	ds_read2_b64 v[26:29], v24 offset1:16
	ds_read_b128 v[30:33], v25 offset:1024
	ds_read_b128 v[34:37], v25 offset:16
	ds_read2_b64 v[38:41], v24 offset0:32 offset1:48
	ds_read_b128 v[42:45], v25 offset:1040
	s_add_u32 s2, s2, 8
	s_addc_u32 s3, s3, 0
	v_cmp_gt_i64_e64 s7, s[12:13], s[2:3]
	s_and_b32 vcc_lo, exec_lo, s7
	s_waitcnt lgkmcnt(4)
	v_fma_f64 v[10:11], v[26:27], v[12:13], v[10:11]
	v_fma_f64 v[6:7], v[28:29], v[12:13], v[6:7]
	s_waitcnt lgkmcnt(3)
	v_fma_f64 v[12:13], v[26:27], v[30:31], v[4:5]
	v_fma_f64 v[26:27], v[28:29], v[30:31], v[2:3]
	ds_read2_b64 v[2:5], v24 offset0:64 offset1:80
	s_waitcnt lgkmcnt(2)
	v_fma_f64 v[28:29], v[38:39], v[14:15], v[10:11]
	v_fma_f64 v[6:7], v[40:41], v[14:15], v[6:7]
	;; [unrolled: 1-line block ×4, first 2 shown]
	ds_read2_b64 v[10:13], v24 offset0:96 offset1:112
	s_waitcnt lgkmcnt(1)
	v_fma_f64 v[30:31], v[2:3], v[34:35], v[28:29]
	v_fma_f64 v[6:7], v[4:5], v[34:35], v[6:7]
	;; [unrolled: 1-line block ×4, first 2 shown]
	ds_read_b128 v[2:5], v25 offset:32
	ds_read2_b64 v[26:29], v24 offset0:128 offset1:144
	s_waitcnt lgkmcnt(2)
	v_fma_f64 v[42:43], v[10:11], v[36:37], v[30:31]
	v_fma_f64 v[6:7], v[12:13], v[36:37], v[6:7]
	;; [unrolled: 1-line block ×4, first 2 shown]
	ds_read_b128 v[10:13], v25 offset:1056
	ds_read_b128 v[30:33], v25 offset:48
	ds_read2_b64 v[34:37], v24 offset0:160 offset1:176
	ds_read_b128 v[38:41], v25 offset:1072
	s_waitcnt lgkmcnt(4)
	v_fma_f64 v[42:43], v[26:27], v[2:3], v[42:43]
	v_fma_f64 v[2:3], v[28:29], v[2:3], v[6:7]
	s_waitcnt lgkmcnt(3)
	v_fma_f64 v[6:7], v[26:27], v[10:11], v[14:15]
	v_fma_f64 v[10:11], v[28:29], v[10:11], v[44:45]
	ds_read2_b64 v[26:29], v24 offset0:192 offset1:208
	s_waitcnt lgkmcnt(2)
	v_fma_f64 v[42:43], v[34:35], v[4:5], v[42:43]
	v_fma_f64 v[2:3], v[36:37], v[4:5], v[2:3]
	;; [unrolled: 1-line block ×4, first 2 shown]
	ds_read2_b64 v[12:15], v24 offset0:224 offset1:240
	s_waitcnt lgkmcnt(0)
	s_barrier
	buffer_gl0_inv
	v_fma_f64 v[10:11], v[26:27], v[30:31], v[42:43]
	v_fma_f64 v[2:3], v[28:29], v[30:31], v[2:3]
	v_fma_f64 v[4:5], v[26:27], v[38:39], v[4:5]
	v_fma_f64 v[26:27], v[28:29], v[38:39], v[6:7]
	v_fma_f64 v[10:11], v[12:13], v[32:33], v[10:11]
	v_fma_f64 v[6:7], v[14:15], v[32:33], v[2:3]
	v_fma_f64 v[4:5], v[12:13], v[40:41], v[4:5]
	v_fma_f64 v[2:3], v[14:15], v[40:41], v[26:27]
	s_cbranch_vccz .LBB204_12
.LBB204_6:                              ; =>This Inner Loop Header: Depth=1
	v_mov_b32_e32 v12, 0
	v_mov_b32_e32 v13, 0
	s_and_saveexec_b32 s7, s0
	s_cbranch_execz .LBB204_10
; %bb.7:                                ;   in Loop: Header=BB204_6 Depth=1
	v_mov_b32_e32 v12, 0
	v_add_nc_u32_e32 v8, s2, v17
	v_mov_b32_e32 v13, 0
	s_mov_b32 s9, exec_lo
	v_cmpx_gt_u64_e64 s[12:13], v[8:9]
	s_cbranch_execz .LBB204_9
; %bb.8:                                ;   in Loop: Header=BB204_6 Depth=1
	v_lshlrev_b64 v[12:13], 3, v[8:9]
	v_add_co_u32 v12, vcc_lo, v19, v12
	v_add_co_ci_u32_e64 v13, null, v20, v13, vcc_lo
	global_load_dwordx2 v[12:13], v[12:13], off
.LBB204_9:                              ;   in Loop: Header=BB204_6 Depth=1
	s_or_b32 exec_lo, exec_lo, s9
.LBB204_10:                             ;   in Loop: Header=BB204_6 Depth=1
	s_or_b32 exec_lo, exec_lo, s7
	v_add_nc_u32_e32 v8, s2, v16
	v_mov_b32_e32 v14, 0
	v_mov_b32_e32 v15, 0
	s_waitcnt vmcnt(0)
	ds_write_b64 v18, v[12:13]
	v_cmp_gt_u64_e32 vcc_lo, s[12:13], v[8:9]
	s_and_b32 s9, vcc_lo, s1
	s_and_saveexec_b32 s7, s9
	s_cbranch_execz .LBB204_5
; %bb.11:                               ;   in Loop: Header=BB204_6 Depth=1
	v_lshlrev_b64 v[12:13], 3, v[8:9]
	v_add_co_u32 v12, vcc_lo, v22, v12
	v_add_co_ci_u32_e64 v13, null, v23, v13, vcc_lo
	global_load_dwordx2 v[14:15], v[12:13], off
	s_branch .LBB204_5
.LBB204_12:
	v_add_nc_u32_e32 v13, s6, v1
	v_add_nc_u32_e32 v0, s5, v0
	v_cmp_neq_f64_e64 s5, s[36:37], 0
	s_mul_i32 s1, s43, s8
	s_mul_hi_u32 s2, s42, s8
	v_ashrrev_i32_e32 v1, 31, v13
	v_mul_lo_u32 v12, s41, v13
	v_mad_u64_u32 v[8:9], null, s40, v13, 0
	s_mul_i32 s0, s42, s8
	v_mul_lo_u32 v1, s40, v1
	s_add_i32 s1, s2, s1
	v_cmp_le_i32_e32 vcc_lo, v0, v13
	s_lshl_b64 s[2:3], s[0:1], 3
	s_waitcnt lgkmcnt(0)
	v_cmp_gt_i32_e64 s0, s4, v13
	s_add_u32 s2, s38, s2
	s_addc_u32 s3, s39, s3
	v_add3_u32 v9, v9, v1, v12
	v_ashrrev_i32_e32 v1, 31, v0
	s_and_b32 s6, s0, vcc_lo
	v_lshlrev_b64 v[8:9], 3, v[8:9]
	v_cndmask_b32_e64 v12, 0, 1, s5
	v_add_co_u32 v14, s1, s2, v8
	v_add_co_ci_u32_e64 v15, null, s3, v9, s1
	s_and_saveexec_b32 s1, s6
	s_cbranch_execz .LBB204_16
; %bb.13:
	v_mul_f64 v[8:9], s[14:15], v[10:11]
	v_lshlrev_b64 v[10:11], 3, v[0:1]
	v_add_co_u32 v10, vcc_lo, v14, v10
	v_add_co_ci_u32_e64 v11, null, v15, v11, vcc_lo
	s_andn2_b32 vcc_lo, exec_lo, s5
	s_cbranch_vccnz .LBB204_15
; %bb.14:
	global_load_dwordx2 v[16:17], v[10:11], off
	s_waitcnt vmcnt(0)
	v_fma_f64 v[8:9], s[36:37], v[16:17], v[8:9]
.LBB204_15:
	global_store_dwordx2 v[10:11], v[8:9], off
.LBB204_16:
	s_or_b32 exec_lo, exec_lo, s1
	v_add_nc_u32_e32 v8, 16, v0
	v_cmp_le_i32_e32 vcc_lo, v8, v13
	v_ashrrev_i32_e32 v9, 31, v8
	s_and_b32 s0, s0, vcc_lo
	s_and_saveexec_b32 s1, s0
	s_cbranch_execz .LBB204_20
; %bb.17:
	v_mul_f64 v[6:7], s[14:15], v[6:7]
	v_lshlrev_b64 v[10:11], 3, v[8:9]
	v_cmp_ne_u32_e32 vcc_lo, 1, v12
	v_add_co_u32 v10, s0, v14, v10
	v_add_co_ci_u32_e64 v11, null, v15, v11, s0
	s_cbranch_vccnz .LBB204_19
; %bb.18:
	global_load_dwordx2 v[14:15], v[10:11], off
	s_waitcnt vmcnt(0)
	v_fma_f64 v[6:7], s[36:37], v[14:15], v[6:7]
.LBB204_19:
	global_store_dwordx2 v[10:11], v[6:7], off
.LBB204_20:
	s_or_b32 exec_lo, exec_lo, s1
	v_add_nc_u32_e32 v10, 16, v13
	v_ashrrev_i32_e32 v11, 31, v10
	v_mul_lo_u32 v13, s41, v10
	v_mad_u64_u32 v[6:7], null, s40, v10, 0
	v_cmp_gt_i32_e64 s0, s4, v10
	v_mul_lo_u32 v11, s40, v11
	v_cmp_le_i32_e32 vcc_lo, v0, v10
	v_add3_u32 v7, v7, v11, v13
	v_lshlrev_b64 v[6:7], 3, v[6:7]
	v_add_co_u32 v6, s1, s2, v6
	v_add_co_ci_u32_e64 v7, null, s3, v7, s1
	s_and_b32 s1, s0, vcc_lo
	s_and_saveexec_b32 s2, s1
	s_cbranch_execz .LBB204_24
; %bb.21:
	v_mul_f64 v[4:5], s[14:15], v[4:5]
	v_lshlrev_b64 v[0:1], 3, v[0:1]
	v_cmp_ne_u32_e32 vcc_lo, 1, v12
	v_add_co_u32 v0, s1, v6, v0
	v_add_co_ci_u32_e64 v1, null, v7, v1, s1
	s_cbranch_vccnz .LBB204_23
; %bb.22:
	global_load_dwordx2 v[13:14], v[0:1], off
	s_waitcnt vmcnt(0)
	v_fma_f64 v[4:5], s[36:37], v[13:14], v[4:5]
.LBB204_23:
	global_store_dwordx2 v[0:1], v[4:5], off
.LBB204_24:
	s_or_b32 exec_lo, exec_lo, s2
	v_cmp_le_i32_e32 vcc_lo, v8, v10
	s_and_b32 s0, s0, vcc_lo
	s_and_saveexec_b32 s1, s0
	s_cbranch_execz .LBB204_28
; %bb.25:
	v_mul_f64 v[0:1], s[14:15], v[2:3]
	v_lshlrev_b64 v[2:3], 3, v[8:9]
	v_cmp_ne_u32_e32 vcc_lo, 1, v12
	v_add_co_u32 v2, s0, v6, v2
	v_add_co_ci_u32_e64 v3, null, v7, v3, s0
	s_cbranch_vccnz .LBB204_27
; %bb.26:
	global_load_dwordx2 v[4:5], v[2:3], off
	s_waitcnt vmcnt(0)
	v_fma_f64 v[0:1], s[36:37], v[4:5], v[0:1]
.LBB204_27:
	global_store_dwordx2 v[2:3], v[0:1], off
.LBB204_28:
	s_endpgm
	.section	.rodata,"a",@progbits
	.p2align	6, 0x0
	.amdhsa_kernel _ZL29rocblas_internal_gemmt_kernelIlLi16ELi32ELi8ELc67ELc78ELc85ELb0ELb0EddPKdPdEviT_T9_T10_S3_lS5_S3_lS4_T11_S3_li
		.amdhsa_group_segment_fixed_size 4096
		.amdhsa_private_segment_fixed_size 0
		.amdhsa_kernarg_size 108
		.amdhsa_user_sgpr_count 6
		.amdhsa_user_sgpr_private_segment_buffer 1
		.amdhsa_user_sgpr_dispatch_ptr 0
		.amdhsa_user_sgpr_queue_ptr 0
		.amdhsa_user_sgpr_kernarg_segment_ptr 1
		.amdhsa_user_sgpr_dispatch_id 0
		.amdhsa_user_sgpr_flat_scratch_init 0
		.amdhsa_user_sgpr_private_segment_size 0
		.amdhsa_wavefront_size32 1
		.amdhsa_uses_dynamic_stack 0
		.amdhsa_system_sgpr_private_segment_wavefront_offset 0
		.amdhsa_system_sgpr_workgroup_id_x 1
		.amdhsa_system_sgpr_workgroup_id_y 1
		.amdhsa_system_sgpr_workgroup_id_z 1
		.amdhsa_system_sgpr_workgroup_info 0
		.amdhsa_system_vgpr_workitem_id 1
		.amdhsa_next_free_vgpr 46
		.amdhsa_next_free_sgpr 44
		.amdhsa_reserve_vcc 1
		.amdhsa_reserve_flat_scratch 0
		.amdhsa_float_round_mode_32 0
		.amdhsa_float_round_mode_16_64 0
		.amdhsa_float_denorm_mode_32 3
		.amdhsa_float_denorm_mode_16_64 3
		.amdhsa_dx10_clamp 1
		.amdhsa_ieee_mode 1
		.amdhsa_fp16_overflow 0
		.amdhsa_workgroup_processor_mode 1
		.amdhsa_memory_ordered 1
		.amdhsa_forward_progress 1
		.amdhsa_shared_vgpr_count 0
		.amdhsa_exception_fp_ieee_invalid_op 0
		.amdhsa_exception_fp_denorm_src 0
		.amdhsa_exception_fp_ieee_div_zero 0
		.amdhsa_exception_fp_ieee_overflow 0
		.amdhsa_exception_fp_ieee_underflow 0
		.amdhsa_exception_fp_ieee_inexact 0
		.amdhsa_exception_int_div_zero 0
	.end_amdhsa_kernel
	.section	.text._ZL29rocblas_internal_gemmt_kernelIlLi16ELi32ELi8ELc67ELc78ELc85ELb0ELb0EddPKdPdEviT_T9_T10_S3_lS5_S3_lS4_T11_S3_li,"axG",@progbits,_ZL29rocblas_internal_gemmt_kernelIlLi16ELi32ELi8ELc67ELc78ELc85ELb0ELb0EddPKdPdEviT_T9_T10_S3_lS5_S3_lS4_T11_S3_li,comdat
.Lfunc_end204:
	.size	_ZL29rocblas_internal_gemmt_kernelIlLi16ELi32ELi8ELc67ELc78ELc85ELb0ELb0EddPKdPdEviT_T9_T10_S3_lS5_S3_lS4_T11_S3_li, .Lfunc_end204-_ZL29rocblas_internal_gemmt_kernelIlLi16ELi32ELi8ELc67ELc78ELc85ELb0ELb0EddPKdPdEviT_T9_T10_S3_lS5_S3_lS4_T11_S3_li
                                        ; -- End function
	.set _ZL29rocblas_internal_gemmt_kernelIlLi16ELi32ELi8ELc67ELc78ELc85ELb0ELb0EddPKdPdEviT_T9_T10_S3_lS5_S3_lS4_T11_S3_li.num_vgpr, 46
	.set _ZL29rocblas_internal_gemmt_kernelIlLi16ELi32ELi8ELc67ELc78ELc85ELb0ELb0EddPKdPdEviT_T9_T10_S3_lS5_S3_lS4_T11_S3_li.num_agpr, 0
	.set _ZL29rocblas_internal_gemmt_kernelIlLi16ELi32ELi8ELc67ELc78ELc85ELb0ELb0EddPKdPdEviT_T9_T10_S3_lS5_S3_lS4_T11_S3_li.numbered_sgpr, 44
	.set _ZL29rocblas_internal_gemmt_kernelIlLi16ELi32ELi8ELc67ELc78ELc85ELb0ELb0EddPKdPdEviT_T9_T10_S3_lS5_S3_lS4_T11_S3_li.num_named_barrier, 0
	.set _ZL29rocblas_internal_gemmt_kernelIlLi16ELi32ELi8ELc67ELc78ELc85ELb0ELb0EddPKdPdEviT_T9_T10_S3_lS5_S3_lS4_T11_S3_li.private_seg_size, 0
	.set _ZL29rocblas_internal_gemmt_kernelIlLi16ELi32ELi8ELc67ELc78ELc85ELb0ELb0EddPKdPdEviT_T9_T10_S3_lS5_S3_lS4_T11_S3_li.uses_vcc, 1
	.set _ZL29rocblas_internal_gemmt_kernelIlLi16ELi32ELi8ELc67ELc78ELc85ELb0ELb0EddPKdPdEviT_T9_T10_S3_lS5_S3_lS4_T11_S3_li.uses_flat_scratch, 0
	.set _ZL29rocblas_internal_gemmt_kernelIlLi16ELi32ELi8ELc67ELc78ELc85ELb0ELb0EddPKdPdEviT_T9_T10_S3_lS5_S3_lS4_T11_S3_li.has_dyn_sized_stack, 0
	.set _ZL29rocblas_internal_gemmt_kernelIlLi16ELi32ELi8ELc67ELc78ELc85ELb0ELb0EddPKdPdEviT_T9_T10_S3_lS5_S3_lS4_T11_S3_li.has_recursion, 0
	.set _ZL29rocblas_internal_gemmt_kernelIlLi16ELi32ELi8ELc67ELc78ELc85ELb0ELb0EddPKdPdEviT_T9_T10_S3_lS5_S3_lS4_T11_S3_li.has_indirect_call, 0
	.section	.AMDGPU.csdata,"",@progbits
; Kernel info:
; codeLenInByte = 1668
; TotalNumSgprs: 46
; NumVgprs: 46
; ScratchSize: 0
; MemoryBound: 0
; FloatMode: 240
; IeeeMode: 1
; LDSByteSize: 4096 bytes/workgroup (compile time only)
; SGPRBlocks: 0
; VGPRBlocks: 5
; NumSGPRsForWavesPerEU: 46
; NumVGPRsForWavesPerEU: 46
; Occupancy: 16
; WaveLimiterHint : 0
; COMPUTE_PGM_RSRC2:SCRATCH_EN: 0
; COMPUTE_PGM_RSRC2:USER_SGPR: 6
; COMPUTE_PGM_RSRC2:TRAP_HANDLER: 0
; COMPUTE_PGM_RSRC2:TGID_X_EN: 1
; COMPUTE_PGM_RSRC2:TGID_Y_EN: 1
; COMPUTE_PGM_RSRC2:TGID_Z_EN: 1
; COMPUTE_PGM_RSRC2:TIDIG_COMP_CNT: 1
	.section	.text._ZL29rocblas_internal_gemmt_kernelIlLi16ELi32ELi8ELc67ELc84ELc85ELb0ELb0EddPKdPdEviT_T9_T10_S3_lS5_S3_lS4_T11_S3_li,"axG",@progbits,_ZL29rocblas_internal_gemmt_kernelIlLi16ELi32ELi8ELc67ELc84ELc85ELb0ELb0EddPKdPdEviT_T9_T10_S3_lS5_S3_lS4_T11_S3_li,comdat
	.globl	_ZL29rocblas_internal_gemmt_kernelIlLi16ELi32ELi8ELc67ELc84ELc85ELb0ELb0EddPKdPdEviT_T9_T10_S3_lS5_S3_lS4_T11_S3_li ; -- Begin function _ZL29rocblas_internal_gemmt_kernelIlLi16ELi32ELi8ELc67ELc84ELc85ELb0ELb0EddPKdPdEviT_T9_T10_S3_lS5_S3_lS4_T11_S3_li
	.p2align	8
	.type	_ZL29rocblas_internal_gemmt_kernelIlLi16ELi32ELi8ELc67ELc84ELc85ELb0ELb0EddPKdPdEviT_T9_T10_S3_lS5_S3_lS4_T11_S3_li,@function
_ZL29rocblas_internal_gemmt_kernelIlLi16ELi32ELi8ELc67ELc84ELc85ELb0ELb0EddPKdPdEviT_T9_T10_S3_lS5_S3_lS4_T11_S3_li: ; @_ZL29rocblas_internal_gemmt_kernelIlLi16ELi32ELi8ELc67ELc84ELc85ELb0ELb0EddPKdPdEviT_T9_T10_S3_lS5_S3_lS4_T11_S3_li
; %bb.0:
	s_clause 0x1
	s_load_dwordx8 s[36:43], s[4:5], 0x48
	s_load_dwordx16 s[12:27], s[4:5], 0x8
	s_waitcnt lgkmcnt(0)
	v_cmp_neq_f64_e64 s0, s[36:37], 1.0
	s_and_b32 vcc_lo, exec_lo, s0
	s_cbranch_vccnz .LBB205_2
; %bb.1:
	v_cmp_neq_f64_e64 s0, s[14:15], 0
	s_cmp_lg_u64 s[12:13], 0
	s_cselect_b32 s1, -1, 0
	s_and_b32 s0, s1, s0
.LBB205_2:
	s_andn2_b32 vcc_lo, exec_lo, s0
	s_cbranch_vccnz .LBB205_28
; %bb.3:
	v_cmp_eq_f64_e64 s0, s[14:15], 0
	s_load_dword s4, s[4:5], 0x0
	v_cmp_lt_i64_e64 s1, s[12:13], 1
	v_mov_b32_e32 v10, 0
	v_mov_b32_e32 v6, 0
	;; [unrolled: 1-line block ×8, first 2 shown]
	s_lshl_b32 s5, s6, 5
	s_lshl_b32 s6, s7, 5
	s_or_b32 s0, s0, s1
	s_and_b32 vcc_lo, exec_lo, s0
	s_cbranch_vccnz .LBB205_12
; %bb.4:
	v_lshl_add_u32 v5, v1, 4, v0
	s_mul_i32 s1, s27, s8
	s_mul_hi_u32 s2, s26, s8
	s_mul_i32 s0, s26, s8
	s_add_i32 s1, s2, s1
	v_and_b32_e32 v6, 31, v5
	s_lshl_b64 s[0:1], s[0:1], 3
	s_mul_i32 s2, s21, s8
	s_add_u32 s3, s22, s0
	s_addc_u32 s7, s23, s1
	v_or_b32_e32 v7, s5, v6
	s_mul_hi_u32 s1, s20, s8
	s_mul_i32 s0, s20, s8
	s_add_i32 s1, s1, s2
	v_lshrrev_b32_e32 v9, 3, v5
	v_mul_lo_u32 v8, s19, v7
	v_mad_u64_u32 v[2:3], null, s18, v7, 0
	s_lshl_b64 s[0:1], s[0:1], 3
	v_add_nc_u32_e32 v4, s6, v9
	s_add_u32 s2, s16, s0
	s_addc_u32 s1, s17, s1
	s_ashr_i32 s0, s5, 31
	v_and_b32_e32 v16, 7, v0
	s_mul_i32 s0, s18, s0
	v_lshrrev_b32_e32 v17, 5, v5
	v_add3_u32 v3, v3, s0, v8
	v_lshlrev_b32_e32 v6, 3, v6
	v_ashrrev_i32_e32 v5, 31, v4
	v_lshlrev_b32_e32 v8, 3, v16
	s_waitcnt lgkmcnt(0)
	v_cmp_gt_i32_e64 s0, s4, v7
	v_lshlrev_b64 v[2:3], 3, v[2:3]
	v_lshl_or_b32 v18, v17, 8, v6
	v_lshlrev_b64 v[5:6], 3, v[4:5]
	v_lshl_or_b32 v7, v9, 6, v8
	v_mov_b32_e32 v10, 0
	v_lshlrev_b32_e32 v24, 3, v0
	v_add_co_u32 v19, vcc_lo, s2, v2
	v_add_co_ci_u32_e64 v20, null, s1, v3, vcc_lo
	v_add_co_u32 v22, vcc_lo, s3, v5
	v_cmp_gt_i32_e64 s1, s4, v4
	v_add_nc_u32_e32 v21, 0x800, v7
	v_add_co_ci_u32_e64 v23, null, s7, v6, vcc_lo
	v_mov_b32_e32 v2, 0
	v_mov_b32_e32 v4, 0
	;; [unrolled: 1-line block ×3, first 2 shown]
	v_lshl_add_u32 v25, v1, 6, 0x800
	v_mov_b32_e32 v3, 0
	v_mov_b32_e32 v5, 0
	;; [unrolled: 1-line block ×5, first 2 shown]
	s_mov_b64 s[2:3], 0
	s_branch .LBB205_6
.LBB205_5:                              ;   in Loop: Header=BB205_6 Depth=1
	s_or_b32 exec_lo, exec_lo, s7
	s_waitcnt vmcnt(0)
	ds_write_b64 v21, v[14:15]
	s_waitcnt lgkmcnt(0)
	s_barrier
	buffer_gl0_inv
	ds_read_b128 v[12:15], v25
	ds_read2_b64 v[26:29], v24 offset1:16
	ds_read_b128 v[30:33], v25 offset:1024
	ds_read_b128 v[34:37], v25 offset:16
	ds_read2_b64 v[38:41], v24 offset0:32 offset1:48
	ds_read_b128 v[42:45], v25 offset:1040
	s_add_u32 s2, s2, 8
	s_addc_u32 s3, s3, 0
	v_cmp_gt_i64_e64 s7, s[12:13], s[2:3]
	s_and_b32 vcc_lo, exec_lo, s7
	s_waitcnt lgkmcnt(4)
	v_fma_f64 v[10:11], v[26:27], v[12:13], v[10:11]
	v_fma_f64 v[6:7], v[28:29], v[12:13], v[6:7]
	s_waitcnt lgkmcnt(3)
	v_fma_f64 v[12:13], v[26:27], v[30:31], v[4:5]
	v_fma_f64 v[26:27], v[28:29], v[30:31], v[2:3]
	ds_read2_b64 v[2:5], v24 offset0:64 offset1:80
	s_waitcnt lgkmcnt(2)
	v_fma_f64 v[28:29], v[38:39], v[14:15], v[10:11]
	v_fma_f64 v[6:7], v[40:41], v[14:15], v[6:7]
	;; [unrolled: 1-line block ×4, first 2 shown]
	ds_read2_b64 v[10:13], v24 offset0:96 offset1:112
	s_waitcnt lgkmcnt(1)
	v_fma_f64 v[30:31], v[2:3], v[34:35], v[28:29]
	v_fma_f64 v[6:7], v[4:5], v[34:35], v[6:7]
	;; [unrolled: 1-line block ×4, first 2 shown]
	ds_read_b128 v[2:5], v25 offset:32
	ds_read2_b64 v[26:29], v24 offset0:128 offset1:144
	s_waitcnt lgkmcnt(2)
	v_fma_f64 v[42:43], v[10:11], v[36:37], v[30:31]
	v_fma_f64 v[6:7], v[12:13], v[36:37], v[6:7]
	;; [unrolled: 1-line block ×4, first 2 shown]
	ds_read_b128 v[10:13], v25 offset:1056
	ds_read_b128 v[30:33], v25 offset:48
	ds_read2_b64 v[34:37], v24 offset0:160 offset1:176
	ds_read_b128 v[38:41], v25 offset:1072
	s_waitcnt lgkmcnt(4)
	v_fma_f64 v[42:43], v[26:27], v[2:3], v[42:43]
	v_fma_f64 v[2:3], v[28:29], v[2:3], v[6:7]
	s_waitcnt lgkmcnt(3)
	v_fma_f64 v[6:7], v[26:27], v[10:11], v[14:15]
	v_fma_f64 v[10:11], v[28:29], v[10:11], v[44:45]
	ds_read2_b64 v[26:29], v24 offset0:192 offset1:208
	s_waitcnt lgkmcnt(2)
	v_fma_f64 v[42:43], v[34:35], v[4:5], v[42:43]
	v_fma_f64 v[2:3], v[36:37], v[4:5], v[2:3]
	;; [unrolled: 1-line block ×4, first 2 shown]
	ds_read2_b64 v[12:15], v24 offset0:224 offset1:240
	s_waitcnt lgkmcnt(0)
	s_barrier
	buffer_gl0_inv
	v_fma_f64 v[10:11], v[26:27], v[30:31], v[42:43]
	v_fma_f64 v[2:3], v[28:29], v[30:31], v[2:3]
	;; [unrolled: 1-line block ×8, first 2 shown]
	s_cbranch_vccz .LBB205_12
.LBB205_6:                              ; =>This Inner Loop Header: Depth=1
	v_mov_b32_e32 v12, 0
	v_mov_b32_e32 v13, 0
	s_and_saveexec_b32 s7, s0
	s_cbranch_execz .LBB205_10
; %bb.7:                                ;   in Loop: Header=BB205_6 Depth=1
	v_mov_b32_e32 v12, 0
	v_add_nc_u32_e32 v8, s2, v17
	v_mov_b32_e32 v13, 0
	s_mov_b32 s9, exec_lo
	v_cmpx_gt_u64_e64 s[12:13], v[8:9]
	s_cbranch_execz .LBB205_9
; %bb.8:                                ;   in Loop: Header=BB205_6 Depth=1
	v_lshlrev_b64 v[12:13], 3, v[8:9]
	v_add_co_u32 v12, vcc_lo, v19, v12
	v_add_co_ci_u32_e64 v13, null, v20, v13, vcc_lo
	global_load_dwordx2 v[12:13], v[12:13], off
.LBB205_9:                              ;   in Loop: Header=BB205_6 Depth=1
	s_or_b32 exec_lo, exec_lo, s9
.LBB205_10:                             ;   in Loop: Header=BB205_6 Depth=1
	s_or_b32 exec_lo, exec_lo, s7
	v_add_nc_u32_e32 v8, s2, v16
	v_mov_b32_e32 v14, 0
	v_mov_b32_e32 v15, 0
	s_waitcnt vmcnt(0)
	ds_write_b64 v18, v[12:13]
	v_cmp_gt_u64_e32 vcc_lo, s[12:13], v[8:9]
	s_and_b32 s9, vcc_lo, s1
	s_and_saveexec_b32 s7, s9
	s_cbranch_execz .LBB205_5
; %bb.11:                               ;   in Loop: Header=BB205_6 Depth=1
	v_mad_u64_u32 v[12:13], null, s24, v8, 0
	v_mad_u64_u32 v[13:14], null, s25, v8, v[13:14]
	v_lshlrev_b64 v[12:13], 3, v[12:13]
	v_add_co_u32 v12, vcc_lo, v22, v12
	v_add_co_ci_u32_e64 v13, null, v23, v13, vcc_lo
	global_load_dwordx2 v[14:15], v[12:13], off
	s_branch .LBB205_5
.LBB205_12:
	v_add_nc_u32_e32 v13, s6, v1
	v_add_nc_u32_e32 v0, s5, v0
	v_cmp_neq_f64_e64 s5, s[36:37], 0
	s_mul_i32 s1, s43, s8
	s_mul_hi_u32 s2, s42, s8
	v_ashrrev_i32_e32 v1, 31, v13
	v_mul_lo_u32 v12, s41, v13
	v_mad_u64_u32 v[8:9], null, s40, v13, 0
	s_mul_i32 s0, s42, s8
	v_mul_lo_u32 v1, s40, v1
	s_add_i32 s1, s2, s1
	v_cmp_le_i32_e32 vcc_lo, v0, v13
	s_lshl_b64 s[2:3], s[0:1], 3
	s_waitcnt lgkmcnt(0)
	v_cmp_gt_i32_e64 s0, s4, v13
	s_add_u32 s2, s38, s2
	s_addc_u32 s3, s39, s3
	v_add3_u32 v9, v9, v1, v12
	v_ashrrev_i32_e32 v1, 31, v0
	s_and_b32 s6, s0, vcc_lo
	v_lshlrev_b64 v[8:9], 3, v[8:9]
	v_cndmask_b32_e64 v12, 0, 1, s5
	v_add_co_u32 v14, s1, s2, v8
	v_add_co_ci_u32_e64 v15, null, s3, v9, s1
	s_and_saveexec_b32 s1, s6
	s_cbranch_execz .LBB205_16
; %bb.13:
	v_mul_f64 v[8:9], s[14:15], v[10:11]
	v_lshlrev_b64 v[10:11], 3, v[0:1]
	v_add_co_u32 v10, vcc_lo, v14, v10
	v_add_co_ci_u32_e64 v11, null, v15, v11, vcc_lo
	s_andn2_b32 vcc_lo, exec_lo, s5
	s_cbranch_vccnz .LBB205_15
; %bb.14:
	global_load_dwordx2 v[16:17], v[10:11], off
	s_waitcnt vmcnt(0)
	v_fma_f64 v[8:9], s[36:37], v[16:17], v[8:9]
.LBB205_15:
	global_store_dwordx2 v[10:11], v[8:9], off
.LBB205_16:
	s_or_b32 exec_lo, exec_lo, s1
	v_add_nc_u32_e32 v8, 16, v0
	v_cmp_le_i32_e32 vcc_lo, v8, v13
	v_ashrrev_i32_e32 v9, 31, v8
	s_and_b32 s0, s0, vcc_lo
	s_and_saveexec_b32 s1, s0
	s_cbranch_execz .LBB205_20
; %bb.17:
	v_mul_f64 v[6:7], s[14:15], v[6:7]
	v_lshlrev_b64 v[10:11], 3, v[8:9]
	v_cmp_ne_u32_e32 vcc_lo, 1, v12
	v_add_co_u32 v10, s0, v14, v10
	v_add_co_ci_u32_e64 v11, null, v15, v11, s0
	s_cbranch_vccnz .LBB205_19
; %bb.18:
	global_load_dwordx2 v[14:15], v[10:11], off
	s_waitcnt vmcnt(0)
	v_fma_f64 v[6:7], s[36:37], v[14:15], v[6:7]
.LBB205_19:
	global_store_dwordx2 v[10:11], v[6:7], off
.LBB205_20:
	s_or_b32 exec_lo, exec_lo, s1
	v_add_nc_u32_e32 v10, 16, v13
	v_ashrrev_i32_e32 v11, 31, v10
	v_mul_lo_u32 v13, s41, v10
	v_mad_u64_u32 v[6:7], null, s40, v10, 0
	v_cmp_gt_i32_e64 s0, s4, v10
	v_mul_lo_u32 v11, s40, v11
	v_cmp_le_i32_e32 vcc_lo, v0, v10
	v_add3_u32 v7, v7, v11, v13
	v_lshlrev_b64 v[6:7], 3, v[6:7]
	v_add_co_u32 v6, s1, s2, v6
	v_add_co_ci_u32_e64 v7, null, s3, v7, s1
	s_and_b32 s1, s0, vcc_lo
	s_and_saveexec_b32 s2, s1
	s_cbranch_execz .LBB205_24
; %bb.21:
	v_mul_f64 v[4:5], s[14:15], v[4:5]
	v_lshlrev_b64 v[0:1], 3, v[0:1]
	v_cmp_ne_u32_e32 vcc_lo, 1, v12
	v_add_co_u32 v0, s1, v6, v0
	v_add_co_ci_u32_e64 v1, null, v7, v1, s1
	s_cbranch_vccnz .LBB205_23
; %bb.22:
	global_load_dwordx2 v[13:14], v[0:1], off
	s_waitcnt vmcnt(0)
	v_fma_f64 v[4:5], s[36:37], v[13:14], v[4:5]
.LBB205_23:
	global_store_dwordx2 v[0:1], v[4:5], off
.LBB205_24:
	s_or_b32 exec_lo, exec_lo, s2
	v_cmp_le_i32_e32 vcc_lo, v8, v10
	s_and_b32 s0, s0, vcc_lo
	s_and_saveexec_b32 s1, s0
	s_cbranch_execz .LBB205_28
; %bb.25:
	v_mul_f64 v[0:1], s[14:15], v[2:3]
	v_lshlrev_b64 v[2:3], 3, v[8:9]
	v_cmp_ne_u32_e32 vcc_lo, 1, v12
	v_add_co_u32 v2, s0, v6, v2
	v_add_co_ci_u32_e64 v3, null, v7, v3, s0
	s_cbranch_vccnz .LBB205_27
; %bb.26:
	global_load_dwordx2 v[4:5], v[2:3], off
	s_waitcnt vmcnt(0)
	v_fma_f64 v[0:1], s[36:37], v[4:5], v[0:1]
.LBB205_27:
	global_store_dwordx2 v[2:3], v[0:1], off
.LBB205_28:
	s_endpgm
	.section	.rodata,"a",@progbits
	.p2align	6, 0x0
	.amdhsa_kernel _ZL29rocblas_internal_gemmt_kernelIlLi16ELi32ELi8ELc67ELc84ELc85ELb0ELb0EddPKdPdEviT_T9_T10_S3_lS5_S3_lS4_T11_S3_li
		.amdhsa_group_segment_fixed_size 4096
		.amdhsa_private_segment_fixed_size 0
		.amdhsa_kernarg_size 108
		.amdhsa_user_sgpr_count 6
		.amdhsa_user_sgpr_private_segment_buffer 1
		.amdhsa_user_sgpr_dispatch_ptr 0
		.amdhsa_user_sgpr_queue_ptr 0
		.amdhsa_user_sgpr_kernarg_segment_ptr 1
		.amdhsa_user_sgpr_dispatch_id 0
		.amdhsa_user_sgpr_flat_scratch_init 0
		.amdhsa_user_sgpr_private_segment_size 0
		.amdhsa_wavefront_size32 1
		.amdhsa_uses_dynamic_stack 0
		.amdhsa_system_sgpr_private_segment_wavefront_offset 0
		.amdhsa_system_sgpr_workgroup_id_x 1
		.amdhsa_system_sgpr_workgroup_id_y 1
		.amdhsa_system_sgpr_workgroup_id_z 1
		.amdhsa_system_sgpr_workgroup_info 0
		.amdhsa_system_vgpr_workitem_id 1
		.amdhsa_next_free_vgpr 46
		.amdhsa_next_free_sgpr 44
		.amdhsa_reserve_vcc 1
		.amdhsa_reserve_flat_scratch 0
		.amdhsa_float_round_mode_32 0
		.amdhsa_float_round_mode_16_64 0
		.amdhsa_float_denorm_mode_32 3
		.amdhsa_float_denorm_mode_16_64 3
		.amdhsa_dx10_clamp 1
		.amdhsa_ieee_mode 1
		.amdhsa_fp16_overflow 0
		.amdhsa_workgroup_processor_mode 1
		.amdhsa_memory_ordered 1
		.amdhsa_forward_progress 1
		.amdhsa_shared_vgpr_count 0
		.amdhsa_exception_fp_ieee_invalid_op 0
		.amdhsa_exception_fp_denorm_src 0
		.amdhsa_exception_fp_ieee_div_zero 0
		.amdhsa_exception_fp_ieee_overflow 0
		.amdhsa_exception_fp_ieee_underflow 0
		.amdhsa_exception_fp_ieee_inexact 0
		.amdhsa_exception_int_div_zero 0
	.end_amdhsa_kernel
	.section	.text._ZL29rocblas_internal_gemmt_kernelIlLi16ELi32ELi8ELc67ELc84ELc85ELb0ELb0EddPKdPdEviT_T9_T10_S3_lS5_S3_lS4_T11_S3_li,"axG",@progbits,_ZL29rocblas_internal_gemmt_kernelIlLi16ELi32ELi8ELc67ELc84ELc85ELb0ELb0EddPKdPdEviT_T9_T10_S3_lS5_S3_lS4_T11_S3_li,comdat
.Lfunc_end205:
	.size	_ZL29rocblas_internal_gemmt_kernelIlLi16ELi32ELi8ELc67ELc84ELc85ELb0ELb0EddPKdPdEviT_T9_T10_S3_lS5_S3_lS4_T11_S3_li, .Lfunc_end205-_ZL29rocblas_internal_gemmt_kernelIlLi16ELi32ELi8ELc67ELc84ELc85ELb0ELb0EddPKdPdEviT_T9_T10_S3_lS5_S3_lS4_T11_S3_li
                                        ; -- End function
	.set _ZL29rocblas_internal_gemmt_kernelIlLi16ELi32ELi8ELc67ELc84ELc85ELb0ELb0EddPKdPdEviT_T9_T10_S3_lS5_S3_lS4_T11_S3_li.num_vgpr, 46
	.set _ZL29rocblas_internal_gemmt_kernelIlLi16ELi32ELi8ELc67ELc84ELc85ELb0ELb0EddPKdPdEviT_T9_T10_S3_lS5_S3_lS4_T11_S3_li.num_agpr, 0
	.set _ZL29rocblas_internal_gemmt_kernelIlLi16ELi32ELi8ELc67ELc84ELc85ELb0ELb0EddPKdPdEviT_T9_T10_S3_lS5_S3_lS4_T11_S3_li.numbered_sgpr, 44
	.set _ZL29rocblas_internal_gemmt_kernelIlLi16ELi32ELi8ELc67ELc84ELc85ELb0ELb0EddPKdPdEviT_T9_T10_S3_lS5_S3_lS4_T11_S3_li.num_named_barrier, 0
	.set _ZL29rocblas_internal_gemmt_kernelIlLi16ELi32ELi8ELc67ELc84ELc85ELb0ELb0EddPKdPdEviT_T9_T10_S3_lS5_S3_lS4_T11_S3_li.private_seg_size, 0
	.set _ZL29rocblas_internal_gemmt_kernelIlLi16ELi32ELi8ELc67ELc84ELc85ELb0ELb0EddPKdPdEviT_T9_T10_S3_lS5_S3_lS4_T11_S3_li.uses_vcc, 1
	.set _ZL29rocblas_internal_gemmt_kernelIlLi16ELi32ELi8ELc67ELc84ELc85ELb0ELb0EddPKdPdEviT_T9_T10_S3_lS5_S3_lS4_T11_S3_li.uses_flat_scratch, 0
	.set _ZL29rocblas_internal_gemmt_kernelIlLi16ELi32ELi8ELc67ELc84ELc85ELb0ELb0EddPKdPdEviT_T9_T10_S3_lS5_S3_lS4_T11_S3_li.has_dyn_sized_stack, 0
	.set _ZL29rocblas_internal_gemmt_kernelIlLi16ELi32ELi8ELc67ELc84ELc85ELb0ELb0EddPKdPdEviT_T9_T10_S3_lS5_S3_lS4_T11_S3_li.has_recursion, 0
	.set _ZL29rocblas_internal_gemmt_kernelIlLi16ELi32ELi8ELc67ELc84ELc85ELb0ELb0EddPKdPdEviT_T9_T10_S3_lS5_S3_lS4_T11_S3_li.has_indirect_call, 0
	.section	.AMDGPU.csdata,"",@progbits
; Kernel info:
; codeLenInByte = 1652
; TotalNumSgprs: 46
; NumVgprs: 46
; ScratchSize: 0
; MemoryBound: 0
; FloatMode: 240
; IeeeMode: 1
; LDSByteSize: 4096 bytes/workgroup (compile time only)
; SGPRBlocks: 0
; VGPRBlocks: 5
; NumSGPRsForWavesPerEU: 46
; NumVGPRsForWavesPerEU: 46
; Occupancy: 16
; WaveLimiterHint : 0
; COMPUTE_PGM_RSRC2:SCRATCH_EN: 0
; COMPUTE_PGM_RSRC2:USER_SGPR: 6
; COMPUTE_PGM_RSRC2:TRAP_HANDLER: 0
; COMPUTE_PGM_RSRC2:TGID_X_EN: 1
; COMPUTE_PGM_RSRC2:TGID_Y_EN: 1
; COMPUTE_PGM_RSRC2:TGID_Z_EN: 1
; COMPUTE_PGM_RSRC2:TIDIG_COMP_CNT: 1
	.section	.text._ZL29rocblas_internal_gemmt_kernelIlLi16ELi32ELi8ELc67ELc67ELc85ELb0ELb0EddPKdPdEviT_T9_T10_S3_lS5_S3_lS4_T11_S3_li,"axG",@progbits,_ZL29rocblas_internal_gemmt_kernelIlLi16ELi32ELi8ELc67ELc67ELc85ELb0ELb0EddPKdPdEviT_T9_T10_S3_lS5_S3_lS4_T11_S3_li,comdat
	.globl	_ZL29rocblas_internal_gemmt_kernelIlLi16ELi32ELi8ELc67ELc67ELc85ELb0ELb0EddPKdPdEviT_T9_T10_S3_lS5_S3_lS4_T11_S3_li ; -- Begin function _ZL29rocblas_internal_gemmt_kernelIlLi16ELi32ELi8ELc67ELc67ELc85ELb0ELb0EddPKdPdEviT_T9_T10_S3_lS5_S3_lS4_T11_S3_li
	.p2align	8
	.type	_ZL29rocblas_internal_gemmt_kernelIlLi16ELi32ELi8ELc67ELc67ELc85ELb0ELb0EddPKdPdEviT_T9_T10_S3_lS5_S3_lS4_T11_S3_li,@function
_ZL29rocblas_internal_gemmt_kernelIlLi16ELi32ELi8ELc67ELc67ELc85ELb0ELb0EddPKdPdEviT_T9_T10_S3_lS5_S3_lS4_T11_S3_li: ; @_ZL29rocblas_internal_gemmt_kernelIlLi16ELi32ELi8ELc67ELc67ELc85ELb0ELb0EddPKdPdEviT_T9_T10_S3_lS5_S3_lS4_T11_S3_li
; %bb.0:
	s_clause 0x1
	s_load_dwordx8 s[36:43], s[4:5], 0x48
	s_load_dwordx16 s[12:27], s[4:5], 0x8
	s_waitcnt lgkmcnt(0)
	v_cmp_neq_f64_e64 s0, s[36:37], 1.0
	s_and_b32 vcc_lo, exec_lo, s0
	s_cbranch_vccnz .LBB206_2
; %bb.1:
	v_cmp_neq_f64_e64 s0, s[14:15], 0
	s_cmp_lg_u64 s[12:13], 0
	s_cselect_b32 s1, -1, 0
	s_and_b32 s0, s1, s0
.LBB206_2:
	s_andn2_b32 vcc_lo, exec_lo, s0
	s_cbranch_vccnz .LBB206_28
; %bb.3:
	v_cmp_eq_f64_e64 s0, s[14:15], 0
	s_load_dword s4, s[4:5], 0x0
	v_cmp_lt_i64_e64 s1, s[12:13], 1
	v_mov_b32_e32 v10, 0
	v_mov_b32_e32 v6, 0
	v_mov_b32_e32 v4, 0
	v_mov_b32_e32 v2, 0
	v_mov_b32_e32 v11, 0
	v_mov_b32_e32 v7, 0
	v_mov_b32_e32 v5, 0
	v_mov_b32_e32 v3, 0
	s_lshl_b32 s5, s6, 5
	s_lshl_b32 s6, s7, 5
	s_or_b32 s0, s0, s1
	s_and_b32 vcc_lo, exec_lo, s0
	s_cbranch_vccnz .LBB206_12
; %bb.4:
	v_lshl_add_u32 v5, v1, 4, v0
	s_mul_i32 s1, s27, s8
	s_mul_hi_u32 s2, s26, s8
	s_mul_i32 s0, s26, s8
	s_add_i32 s1, s2, s1
	v_and_b32_e32 v6, 31, v5
	s_lshl_b64 s[0:1], s[0:1], 3
	s_mul_i32 s2, s21, s8
	s_add_u32 s3, s22, s0
	s_addc_u32 s7, s23, s1
	v_or_b32_e32 v7, s5, v6
	s_mul_hi_u32 s1, s20, s8
	s_mul_i32 s0, s20, s8
	s_add_i32 s1, s1, s2
	v_lshrrev_b32_e32 v9, 3, v5
	v_mul_lo_u32 v8, s19, v7
	v_mad_u64_u32 v[2:3], null, s18, v7, 0
	s_lshl_b64 s[0:1], s[0:1], 3
	v_add_nc_u32_e32 v4, s6, v9
	s_add_u32 s2, s16, s0
	s_addc_u32 s1, s17, s1
	s_ashr_i32 s0, s5, 31
	v_and_b32_e32 v16, 7, v0
	s_mul_i32 s0, s18, s0
	v_lshrrev_b32_e32 v17, 5, v5
	v_add3_u32 v3, v3, s0, v8
	v_lshlrev_b32_e32 v6, 3, v6
	v_ashrrev_i32_e32 v5, 31, v4
	v_lshlrev_b32_e32 v8, 3, v16
	s_waitcnt lgkmcnt(0)
	v_cmp_gt_i32_e64 s0, s4, v7
	v_lshlrev_b64 v[2:3], 3, v[2:3]
	v_lshl_or_b32 v18, v17, 8, v6
	v_lshlrev_b64 v[5:6], 3, v[4:5]
	v_lshl_or_b32 v7, v9, 6, v8
	v_mov_b32_e32 v10, 0
	v_lshlrev_b32_e32 v24, 3, v0
	v_add_co_u32 v19, vcc_lo, s2, v2
	v_add_co_ci_u32_e64 v20, null, s1, v3, vcc_lo
	v_add_co_u32 v22, vcc_lo, s3, v5
	v_cmp_gt_i32_e64 s1, s4, v4
	v_add_nc_u32_e32 v21, 0x800, v7
	v_add_co_ci_u32_e64 v23, null, s7, v6, vcc_lo
	v_mov_b32_e32 v2, 0
	v_mov_b32_e32 v4, 0
	;; [unrolled: 1-line block ×3, first 2 shown]
	v_lshl_add_u32 v25, v1, 6, 0x800
	v_mov_b32_e32 v3, 0
	v_mov_b32_e32 v5, 0
	;; [unrolled: 1-line block ×5, first 2 shown]
	s_mov_b64 s[2:3], 0
	s_branch .LBB206_6
.LBB206_5:                              ;   in Loop: Header=BB206_6 Depth=1
	s_or_b32 exec_lo, exec_lo, s7
	s_waitcnt vmcnt(0)
	ds_write_b64 v21, v[14:15]
	s_waitcnt lgkmcnt(0)
	s_barrier
	buffer_gl0_inv
	ds_read_b128 v[12:15], v25
	ds_read2_b64 v[26:29], v24 offset1:16
	ds_read_b128 v[30:33], v25 offset:1024
	ds_read_b128 v[34:37], v25 offset:16
	ds_read2_b64 v[38:41], v24 offset0:32 offset1:48
	ds_read_b128 v[42:45], v25 offset:1040
	s_add_u32 s2, s2, 8
	s_addc_u32 s3, s3, 0
	v_cmp_gt_i64_e64 s7, s[12:13], s[2:3]
	s_and_b32 vcc_lo, exec_lo, s7
	s_waitcnt lgkmcnt(4)
	v_fma_f64 v[10:11], v[26:27], v[12:13], v[10:11]
	v_fma_f64 v[6:7], v[28:29], v[12:13], v[6:7]
	s_waitcnt lgkmcnt(3)
	v_fma_f64 v[12:13], v[26:27], v[30:31], v[4:5]
	v_fma_f64 v[26:27], v[28:29], v[30:31], v[2:3]
	ds_read2_b64 v[2:5], v24 offset0:64 offset1:80
	s_waitcnt lgkmcnt(2)
	v_fma_f64 v[28:29], v[38:39], v[14:15], v[10:11]
	v_fma_f64 v[6:7], v[40:41], v[14:15], v[6:7]
	;; [unrolled: 1-line block ×4, first 2 shown]
	ds_read2_b64 v[10:13], v24 offset0:96 offset1:112
	s_waitcnt lgkmcnt(1)
	v_fma_f64 v[30:31], v[2:3], v[34:35], v[28:29]
	v_fma_f64 v[6:7], v[4:5], v[34:35], v[6:7]
	;; [unrolled: 1-line block ×4, first 2 shown]
	ds_read_b128 v[2:5], v25 offset:32
	ds_read2_b64 v[26:29], v24 offset0:128 offset1:144
	s_waitcnt lgkmcnt(2)
	v_fma_f64 v[42:43], v[10:11], v[36:37], v[30:31]
	v_fma_f64 v[6:7], v[12:13], v[36:37], v[6:7]
	;; [unrolled: 1-line block ×4, first 2 shown]
	ds_read_b128 v[10:13], v25 offset:1056
	ds_read_b128 v[30:33], v25 offset:48
	ds_read2_b64 v[34:37], v24 offset0:160 offset1:176
	ds_read_b128 v[38:41], v25 offset:1072
	s_waitcnt lgkmcnt(4)
	v_fma_f64 v[42:43], v[26:27], v[2:3], v[42:43]
	v_fma_f64 v[2:3], v[28:29], v[2:3], v[6:7]
	s_waitcnt lgkmcnt(3)
	v_fma_f64 v[6:7], v[26:27], v[10:11], v[14:15]
	v_fma_f64 v[10:11], v[28:29], v[10:11], v[44:45]
	ds_read2_b64 v[26:29], v24 offset0:192 offset1:208
	s_waitcnt lgkmcnt(2)
	v_fma_f64 v[42:43], v[34:35], v[4:5], v[42:43]
	v_fma_f64 v[2:3], v[36:37], v[4:5], v[2:3]
	;; [unrolled: 1-line block ×4, first 2 shown]
	ds_read2_b64 v[12:15], v24 offset0:224 offset1:240
	s_waitcnt lgkmcnt(0)
	s_barrier
	buffer_gl0_inv
	v_fma_f64 v[10:11], v[26:27], v[30:31], v[42:43]
	v_fma_f64 v[2:3], v[28:29], v[30:31], v[2:3]
	;; [unrolled: 1-line block ×8, first 2 shown]
	s_cbranch_vccz .LBB206_12
.LBB206_6:                              ; =>This Inner Loop Header: Depth=1
	v_mov_b32_e32 v12, 0
	v_mov_b32_e32 v13, 0
	s_and_saveexec_b32 s7, s0
	s_cbranch_execz .LBB206_10
; %bb.7:                                ;   in Loop: Header=BB206_6 Depth=1
	v_mov_b32_e32 v12, 0
	v_add_nc_u32_e32 v8, s2, v17
	v_mov_b32_e32 v13, 0
	s_mov_b32 s9, exec_lo
	v_cmpx_gt_u64_e64 s[12:13], v[8:9]
	s_cbranch_execz .LBB206_9
; %bb.8:                                ;   in Loop: Header=BB206_6 Depth=1
	v_lshlrev_b64 v[12:13], 3, v[8:9]
	v_add_co_u32 v12, vcc_lo, v19, v12
	v_add_co_ci_u32_e64 v13, null, v20, v13, vcc_lo
	global_load_dwordx2 v[12:13], v[12:13], off
.LBB206_9:                              ;   in Loop: Header=BB206_6 Depth=1
	s_or_b32 exec_lo, exec_lo, s9
.LBB206_10:                             ;   in Loop: Header=BB206_6 Depth=1
	s_or_b32 exec_lo, exec_lo, s7
	v_add_nc_u32_e32 v8, s2, v16
	v_mov_b32_e32 v14, 0
	v_mov_b32_e32 v15, 0
	s_waitcnt vmcnt(0)
	ds_write_b64 v18, v[12:13]
	v_cmp_gt_u64_e32 vcc_lo, s[12:13], v[8:9]
	s_and_b32 s9, vcc_lo, s1
	s_and_saveexec_b32 s7, s9
	s_cbranch_execz .LBB206_5
; %bb.11:                               ;   in Loop: Header=BB206_6 Depth=1
	v_mad_u64_u32 v[12:13], null, s24, v8, 0
	v_mad_u64_u32 v[13:14], null, s25, v8, v[13:14]
	v_lshlrev_b64 v[12:13], 3, v[12:13]
	v_add_co_u32 v12, vcc_lo, v22, v12
	v_add_co_ci_u32_e64 v13, null, v23, v13, vcc_lo
	global_load_dwordx2 v[14:15], v[12:13], off
	s_branch .LBB206_5
.LBB206_12:
	v_add_nc_u32_e32 v13, s6, v1
	v_add_nc_u32_e32 v0, s5, v0
	v_cmp_neq_f64_e64 s5, s[36:37], 0
	s_mul_i32 s1, s43, s8
	s_mul_hi_u32 s2, s42, s8
	v_ashrrev_i32_e32 v1, 31, v13
	v_mul_lo_u32 v12, s41, v13
	v_mad_u64_u32 v[8:9], null, s40, v13, 0
	s_mul_i32 s0, s42, s8
	v_mul_lo_u32 v1, s40, v1
	s_add_i32 s1, s2, s1
	v_cmp_le_i32_e32 vcc_lo, v0, v13
	s_lshl_b64 s[2:3], s[0:1], 3
	s_waitcnt lgkmcnt(0)
	v_cmp_gt_i32_e64 s0, s4, v13
	s_add_u32 s2, s38, s2
	s_addc_u32 s3, s39, s3
	v_add3_u32 v9, v9, v1, v12
	v_ashrrev_i32_e32 v1, 31, v0
	s_and_b32 s6, s0, vcc_lo
	v_lshlrev_b64 v[8:9], 3, v[8:9]
	v_cndmask_b32_e64 v12, 0, 1, s5
	v_add_co_u32 v14, s1, s2, v8
	v_add_co_ci_u32_e64 v15, null, s3, v9, s1
	s_and_saveexec_b32 s1, s6
	s_cbranch_execz .LBB206_16
; %bb.13:
	v_mul_f64 v[8:9], s[14:15], v[10:11]
	v_lshlrev_b64 v[10:11], 3, v[0:1]
	v_add_co_u32 v10, vcc_lo, v14, v10
	v_add_co_ci_u32_e64 v11, null, v15, v11, vcc_lo
	s_andn2_b32 vcc_lo, exec_lo, s5
	s_cbranch_vccnz .LBB206_15
; %bb.14:
	global_load_dwordx2 v[16:17], v[10:11], off
	s_waitcnt vmcnt(0)
	v_fma_f64 v[8:9], s[36:37], v[16:17], v[8:9]
.LBB206_15:
	global_store_dwordx2 v[10:11], v[8:9], off
.LBB206_16:
	s_or_b32 exec_lo, exec_lo, s1
	v_add_nc_u32_e32 v8, 16, v0
	v_cmp_le_i32_e32 vcc_lo, v8, v13
	v_ashrrev_i32_e32 v9, 31, v8
	s_and_b32 s0, s0, vcc_lo
	s_and_saveexec_b32 s1, s0
	s_cbranch_execz .LBB206_20
; %bb.17:
	v_mul_f64 v[6:7], s[14:15], v[6:7]
	v_lshlrev_b64 v[10:11], 3, v[8:9]
	v_cmp_ne_u32_e32 vcc_lo, 1, v12
	v_add_co_u32 v10, s0, v14, v10
	v_add_co_ci_u32_e64 v11, null, v15, v11, s0
	s_cbranch_vccnz .LBB206_19
; %bb.18:
	global_load_dwordx2 v[14:15], v[10:11], off
	s_waitcnt vmcnt(0)
	v_fma_f64 v[6:7], s[36:37], v[14:15], v[6:7]
.LBB206_19:
	global_store_dwordx2 v[10:11], v[6:7], off
.LBB206_20:
	s_or_b32 exec_lo, exec_lo, s1
	v_add_nc_u32_e32 v10, 16, v13
	v_ashrrev_i32_e32 v11, 31, v10
	v_mul_lo_u32 v13, s41, v10
	v_mad_u64_u32 v[6:7], null, s40, v10, 0
	v_cmp_gt_i32_e64 s0, s4, v10
	v_mul_lo_u32 v11, s40, v11
	v_cmp_le_i32_e32 vcc_lo, v0, v10
	v_add3_u32 v7, v7, v11, v13
	v_lshlrev_b64 v[6:7], 3, v[6:7]
	v_add_co_u32 v6, s1, s2, v6
	v_add_co_ci_u32_e64 v7, null, s3, v7, s1
	s_and_b32 s1, s0, vcc_lo
	s_and_saveexec_b32 s2, s1
	s_cbranch_execz .LBB206_24
; %bb.21:
	v_mul_f64 v[4:5], s[14:15], v[4:5]
	v_lshlrev_b64 v[0:1], 3, v[0:1]
	v_cmp_ne_u32_e32 vcc_lo, 1, v12
	v_add_co_u32 v0, s1, v6, v0
	v_add_co_ci_u32_e64 v1, null, v7, v1, s1
	s_cbranch_vccnz .LBB206_23
; %bb.22:
	global_load_dwordx2 v[13:14], v[0:1], off
	s_waitcnt vmcnt(0)
	v_fma_f64 v[4:5], s[36:37], v[13:14], v[4:5]
.LBB206_23:
	global_store_dwordx2 v[0:1], v[4:5], off
.LBB206_24:
	s_or_b32 exec_lo, exec_lo, s2
	v_cmp_le_i32_e32 vcc_lo, v8, v10
	s_and_b32 s0, s0, vcc_lo
	s_and_saveexec_b32 s1, s0
	s_cbranch_execz .LBB206_28
; %bb.25:
	v_mul_f64 v[0:1], s[14:15], v[2:3]
	v_lshlrev_b64 v[2:3], 3, v[8:9]
	v_cmp_ne_u32_e32 vcc_lo, 1, v12
	v_add_co_u32 v2, s0, v6, v2
	v_add_co_ci_u32_e64 v3, null, v7, v3, s0
	s_cbranch_vccnz .LBB206_27
; %bb.26:
	global_load_dwordx2 v[4:5], v[2:3], off
	s_waitcnt vmcnt(0)
	v_fma_f64 v[0:1], s[36:37], v[4:5], v[0:1]
.LBB206_27:
	global_store_dwordx2 v[2:3], v[0:1], off
.LBB206_28:
	s_endpgm
	.section	.rodata,"a",@progbits
	.p2align	6, 0x0
	.amdhsa_kernel _ZL29rocblas_internal_gemmt_kernelIlLi16ELi32ELi8ELc67ELc67ELc85ELb0ELb0EddPKdPdEviT_T9_T10_S3_lS5_S3_lS4_T11_S3_li
		.amdhsa_group_segment_fixed_size 4096
		.amdhsa_private_segment_fixed_size 0
		.amdhsa_kernarg_size 108
		.amdhsa_user_sgpr_count 6
		.amdhsa_user_sgpr_private_segment_buffer 1
		.amdhsa_user_sgpr_dispatch_ptr 0
		.amdhsa_user_sgpr_queue_ptr 0
		.amdhsa_user_sgpr_kernarg_segment_ptr 1
		.amdhsa_user_sgpr_dispatch_id 0
		.amdhsa_user_sgpr_flat_scratch_init 0
		.amdhsa_user_sgpr_private_segment_size 0
		.amdhsa_wavefront_size32 1
		.amdhsa_uses_dynamic_stack 0
		.amdhsa_system_sgpr_private_segment_wavefront_offset 0
		.amdhsa_system_sgpr_workgroup_id_x 1
		.amdhsa_system_sgpr_workgroup_id_y 1
		.amdhsa_system_sgpr_workgroup_id_z 1
		.amdhsa_system_sgpr_workgroup_info 0
		.amdhsa_system_vgpr_workitem_id 1
		.amdhsa_next_free_vgpr 46
		.amdhsa_next_free_sgpr 44
		.amdhsa_reserve_vcc 1
		.amdhsa_reserve_flat_scratch 0
		.amdhsa_float_round_mode_32 0
		.amdhsa_float_round_mode_16_64 0
		.amdhsa_float_denorm_mode_32 3
		.amdhsa_float_denorm_mode_16_64 3
		.amdhsa_dx10_clamp 1
		.amdhsa_ieee_mode 1
		.amdhsa_fp16_overflow 0
		.amdhsa_workgroup_processor_mode 1
		.amdhsa_memory_ordered 1
		.amdhsa_forward_progress 1
		.amdhsa_shared_vgpr_count 0
		.amdhsa_exception_fp_ieee_invalid_op 0
		.amdhsa_exception_fp_denorm_src 0
		.amdhsa_exception_fp_ieee_div_zero 0
		.amdhsa_exception_fp_ieee_overflow 0
		.amdhsa_exception_fp_ieee_underflow 0
		.amdhsa_exception_fp_ieee_inexact 0
		.amdhsa_exception_int_div_zero 0
	.end_amdhsa_kernel
	.section	.text._ZL29rocblas_internal_gemmt_kernelIlLi16ELi32ELi8ELc67ELc67ELc85ELb0ELb0EddPKdPdEviT_T9_T10_S3_lS5_S3_lS4_T11_S3_li,"axG",@progbits,_ZL29rocblas_internal_gemmt_kernelIlLi16ELi32ELi8ELc67ELc67ELc85ELb0ELb0EddPKdPdEviT_T9_T10_S3_lS5_S3_lS4_T11_S3_li,comdat
.Lfunc_end206:
	.size	_ZL29rocblas_internal_gemmt_kernelIlLi16ELi32ELi8ELc67ELc67ELc85ELb0ELb0EddPKdPdEviT_T9_T10_S3_lS5_S3_lS4_T11_S3_li, .Lfunc_end206-_ZL29rocblas_internal_gemmt_kernelIlLi16ELi32ELi8ELc67ELc67ELc85ELb0ELb0EddPKdPdEviT_T9_T10_S3_lS5_S3_lS4_T11_S3_li
                                        ; -- End function
	.set _ZL29rocblas_internal_gemmt_kernelIlLi16ELi32ELi8ELc67ELc67ELc85ELb0ELb0EddPKdPdEviT_T9_T10_S3_lS5_S3_lS4_T11_S3_li.num_vgpr, 46
	.set _ZL29rocblas_internal_gemmt_kernelIlLi16ELi32ELi8ELc67ELc67ELc85ELb0ELb0EddPKdPdEviT_T9_T10_S3_lS5_S3_lS4_T11_S3_li.num_agpr, 0
	.set _ZL29rocblas_internal_gemmt_kernelIlLi16ELi32ELi8ELc67ELc67ELc85ELb0ELb0EddPKdPdEviT_T9_T10_S3_lS5_S3_lS4_T11_S3_li.numbered_sgpr, 44
	.set _ZL29rocblas_internal_gemmt_kernelIlLi16ELi32ELi8ELc67ELc67ELc85ELb0ELb0EddPKdPdEviT_T9_T10_S3_lS5_S3_lS4_T11_S3_li.num_named_barrier, 0
	.set _ZL29rocblas_internal_gemmt_kernelIlLi16ELi32ELi8ELc67ELc67ELc85ELb0ELb0EddPKdPdEviT_T9_T10_S3_lS5_S3_lS4_T11_S3_li.private_seg_size, 0
	.set _ZL29rocblas_internal_gemmt_kernelIlLi16ELi32ELi8ELc67ELc67ELc85ELb0ELb0EddPKdPdEviT_T9_T10_S3_lS5_S3_lS4_T11_S3_li.uses_vcc, 1
	.set _ZL29rocblas_internal_gemmt_kernelIlLi16ELi32ELi8ELc67ELc67ELc85ELb0ELb0EddPKdPdEviT_T9_T10_S3_lS5_S3_lS4_T11_S3_li.uses_flat_scratch, 0
	.set _ZL29rocblas_internal_gemmt_kernelIlLi16ELi32ELi8ELc67ELc67ELc85ELb0ELb0EddPKdPdEviT_T9_T10_S3_lS5_S3_lS4_T11_S3_li.has_dyn_sized_stack, 0
	.set _ZL29rocblas_internal_gemmt_kernelIlLi16ELi32ELi8ELc67ELc67ELc85ELb0ELb0EddPKdPdEviT_T9_T10_S3_lS5_S3_lS4_T11_S3_li.has_recursion, 0
	.set _ZL29rocblas_internal_gemmt_kernelIlLi16ELi32ELi8ELc67ELc67ELc85ELb0ELb0EddPKdPdEviT_T9_T10_S3_lS5_S3_lS4_T11_S3_li.has_indirect_call, 0
	.section	.AMDGPU.csdata,"",@progbits
; Kernel info:
; codeLenInByte = 1652
; TotalNumSgprs: 46
; NumVgprs: 46
; ScratchSize: 0
; MemoryBound: 0
; FloatMode: 240
; IeeeMode: 1
; LDSByteSize: 4096 bytes/workgroup (compile time only)
; SGPRBlocks: 0
; VGPRBlocks: 5
; NumSGPRsForWavesPerEU: 46
; NumVGPRsForWavesPerEU: 46
; Occupancy: 16
; WaveLimiterHint : 0
; COMPUTE_PGM_RSRC2:SCRATCH_EN: 0
; COMPUTE_PGM_RSRC2:USER_SGPR: 6
; COMPUTE_PGM_RSRC2:TRAP_HANDLER: 0
; COMPUTE_PGM_RSRC2:TGID_X_EN: 1
; COMPUTE_PGM_RSRC2:TGID_Y_EN: 1
; COMPUTE_PGM_RSRC2:TGID_Z_EN: 1
; COMPUTE_PGM_RSRC2:TIDIG_COMP_CNT: 1
	.section	.text._ZL29rocblas_internal_gemmt_kernelIlLi16ELi32ELi8ELc78ELc78ELc76ELb0ELb0EddPKdPdEviT_T9_T10_S3_lS5_S3_lS4_T11_S3_li,"axG",@progbits,_ZL29rocblas_internal_gemmt_kernelIlLi16ELi32ELi8ELc78ELc78ELc76ELb0ELb0EddPKdPdEviT_T9_T10_S3_lS5_S3_lS4_T11_S3_li,comdat
	.globl	_ZL29rocblas_internal_gemmt_kernelIlLi16ELi32ELi8ELc78ELc78ELc76ELb0ELb0EddPKdPdEviT_T9_T10_S3_lS5_S3_lS4_T11_S3_li ; -- Begin function _ZL29rocblas_internal_gemmt_kernelIlLi16ELi32ELi8ELc78ELc78ELc76ELb0ELb0EddPKdPdEviT_T9_T10_S3_lS5_S3_lS4_T11_S3_li
	.p2align	8
	.type	_ZL29rocblas_internal_gemmt_kernelIlLi16ELi32ELi8ELc78ELc78ELc76ELb0ELb0EddPKdPdEviT_T9_T10_S3_lS5_S3_lS4_T11_S3_li,@function
_ZL29rocblas_internal_gemmt_kernelIlLi16ELi32ELi8ELc78ELc78ELc76ELb0ELb0EddPKdPdEviT_T9_T10_S3_lS5_S3_lS4_T11_S3_li: ; @_ZL29rocblas_internal_gemmt_kernelIlLi16ELi32ELi8ELc78ELc78ELc76ELb0ELb0EddPKdPdEviT_T9_T10_S3_lS5_S3_lS4_T11_S3_li
; %bb.0:
	s_clause 0x1
	s_load_dwordx8 s[36:43], s[4:5], 0x48
	s_load_dwordx16 s[12:27], s[4:5], 0x8
	s_waitcnt lgkmcnt(0)
	v_cmp_neq_f64_e64 s0, s[36:37], 1.0
	s_and_b32 vcc_lo, exec_lo, s0
	s_cbranch_vccnz .LBB207_2
; %bb.1:
	v_cmp_neq_f64_e64 s0, s[14:15], 0
	s_cmp_lg_u64 s[12:13], 0
	s_cselect_b32 s1, -1, 0
	s_and_b32 s0, s1, s0
.LBB207_2:
	s_andn2_b32 vcc_lo, exec_lo, s0
	s_cbranch_vccnz .LBB207_28
; %bb.3:
	v_cmp_eq_f64_e64 s0, s[14:15], 0
	s_load_dword s4, s[4:5], 0x0
	v_cmp_lt_i64_e64 s1, s[12:13], 1
	v_mov_b32_e32 v10, 0
	v_mov_b32_e32 v6, 0
	;; [unrolled: 1-line block ×8, first 2 shown]
	s_lshl_b32 s5, s6, 5
	s_lshl_b32 s6, s7, 5
	s_or_b32 s0, s0, s1
	s_and_b32 vcc_lo, exec_lo, s0
	s_cbranch_vccnz .LBB207_12
; %bb.4:
	v_lshl_add_u32 v3, v1, 4, v0
	s_mul_i32 s1, s27, s8
	s_mul_hi_u32 s2, s26, s8
	s_mul_i32 s0, s26, s8
	s_add_i32 s1, s2, s1
	v_lshrrev_b32_e32 v8, 3, v3
	v_and_b32_e32 v6, 31, v3
	s_lshl_b64 s[0:1], s[0:1], 3
	v_lshrrev_b32_e32 v17, 5, v3
	v_and_b32_e32 v16, 7, v0
	v_add_nc_u32_e32 v9, s6, v8
	v_or_b32_e32 v2, s5, v6
	s_mul_i32 s3, s21, s8
	s_mul_hi_u32 s7, s20, s8
	s_add_u32 s9, s22, s0
	v_ashrrev_i32_e32 v4, 31, v9
	v_mul_lo_u32 v7, s25, v9
	v_ashrrev_i32_e32 v3, 31, v2
	s_mul_i32 s2, s20, s8
	s_addc_u32 s10, s23, s1
	v_mul_lo_u32 v10, s24, v4
	v_mad_u64_u32 v[4:5], null, s24, v9, 0
	s_add_i32 s3, s7, s3
	v_lshlrev_b32_e32 v11, 3, v6
	s_lshl_b64 s[0:1], s[2:3], 3
	v_lshlrev_b32_e32 v12, 3, v16
	s_add_u32 s2, s16, s0
	s_waitcnt lgkmcnt(0)
	v_cmp_gt_i32_e64 s0, s4, v2
	v_add3_u32 v5, v5, v10, v7
	v_lshlrev_b64 v[6:7], 3, v[2:3]
	s_addc_u32 s1, s17, s1
	v_lshl_or_b32 v8, v8, 6, v12
	v_lshl_or_b32 v18, v17, 8, v11
	v_lshlrev_b64 v[2:3], 3, v[4:5]
	v_mov_b32_e32 v4, 0
	v_add_co_u32 v19, vcc_lo, s2, v6
	v_add_co_ci_u32_e64 v20, null, s1, v7, vcc_lo
	v_add_co_u32 v22, vcc_lo, s9, v2
	v_add_co_ci_u32_e64 v23, null, s10, v3, vcc_lo
	v_mov_b32_e32 v2, 0
	v_mov_b32_e32 v6, 0
	;; [unrolled: 1-line block ×3, first 2 shown]
	v_cmp_gt_i32_e64 s1, s4, v9
	v_add_nc_u32_e32 v21, 0x800, v8
	v_lshlrev_b32_e32 v24, 3, v0
	v_lshl_add_u32 v25, v1, 6, 0x800
	v_mov_b32_e32 v3, 0
	v_mov_b32_e32 v5, 0
	;; [unrolled: 1-line block ×5, first 2 shown]
	s_mov_b64 s[2:3], 0
	s_branch .LBB207_6
.LBB207_5:                              ;   in Loop: Header=BB207_6 Depth=1
	s_or_b32 exec_lo, exec_lo, s7
	s_waitcnt vmcnt(0)
	ds_write_b64 v21, v[14:15]
	s_waitcnt lgkmcnt(0)
	s_barrier
	buffer_gl0_inv
	ds_read_b128 v[12:15], v25
	ds_read2_b64 v[26:29], v24 offset1:16
	ds_read_b128 v[30:33], v25 offset:1024
	ds_read_b128 v[34:37], v25 offset:16
	ds_read2_b64 v[38:41], v24 offset0:32 offset1:48
	ds_read_b128 v[42:45], v25 offset:1040
	s_add_u32 s2, s2, 8
	s_addc_u32 s3, s3, 0
	v_cmp_gt_i64_e64 s7, s[12:13], s[2:3]
	s_and_b32 vcc_lo, exec_lo, s7
	s_waitcnt lgkmcnt(4)
	v_fma_f64 v[10:11], v[26:27], v[12:13], v[10:11]
	v_fma_f64 v[6:7], v[28:29], v[12:13], v[6:7]
	s_waitcnt lgkmcnt(3)
	v_fma_f64 v[12:13], v[26:27], v[30:31], v[4:5]
	v_fma_f64 v[26:27], v[28:29], v[30:31], v[2:3]
	ds_read2_b64 v[2:5], v24 offset0:64 offset1:80
	s_waitcnt lgkmcnt(2)
	v_fma_f64 v[28:29], v[38:39], v[14:15], v[10:11]
	v_fma_f64 v[6:7], v[40:41], v[14:15], v[6:7]
	;; [unrolled: 1-line block ×4, first 2 shown]
	ds_read2_b64 v[10:13], v24 offset0:96 offset1:112
	s_waitcnt lgkmcnt(1)
	v_fma_f64 v[30:31], v[2:3], v[34:35], v[28:29]
	v_fma_f64 v[6:7], v[4:5], v[34:35], v[6:7]
	;; [unrolled: 1-line block ×4, first 2 shown]
	ds_read_b128 v[2:5], v25 offset:32
	ds_read2_b64 v[26:29], v24 offset0:128 offset1:144
	s_waitcnt lgkmcnt(2)
	v_fma_f64 v[42:43], v[10:11], v[36:37], v[30:31]
	v_fma_f64 v[6:7], v[12:13], v[36:37], v[6:7]
	;; [unrolled: 1-line block ×4, first 2 shown]
	ds_read_b128 v[10:13], v25 offset:1056
	ds_read_b128 v[30:33], v25 offset:48
	ds_read2_b64 v[34:37], v24 offset0:160 offset1:176
	ds_read_b128 v[38:41], v25 offset:1072
	s_waitcnt lgkmcnt(4)
	v_fma_f64 v[42:43], v[26:27], v[2:3], v[42:43]
	v_fma_f64 v[2:3], v[28:29], v[2:3], v[6:7]
	s_waitcnt lgkmcnt(3)
	v_fma_f64 v[6:7], v[26:27], v[10:11], v[14:15]
	v_fma_f64 v[10:11], v[28:29], v[10:11], v[44:45]
	ds_read2_b64 v[26:29], v24 offset0:192 offset1:208
	s_waitcnt lgkmcnt(2)
	v_fma_f64 v[42:43], v[34:35], v[4:5], v[42:43]
	v_fma_f64 v[2:3], v[36:37], v[4:5], v[2:3]
	;; [unrolled: 1-line block ×4, first 2 shown]
	ds_read2_b64 v[12:15], v24 offset0:224 offset1:240
	s_waitcnt lgkmcnt(0)
	s_barrier
	buffer_gl0_inv
	v_fma_f64 v[10:11], v[26:27], v[30:31], v[42:43]
	v_fma_f64 v[2:3], v[28:29], v[30:31], v[2:3]
	;; [unrolled: 1-line block ×8, first 2 shown]
	s_cbranch_vccz .LBB207_12
.LBB207_6:                              ; =>This Inner Loop Header: Depth=1
	v_mov_b32_e32 v12, 0
	v_mov_b32_e32 v13, 0
	s_and_saveexec_b32 s7, s0
	s_cbranch_execz .LBB207_10
; %bb.7:                                ;   in Loop: Header=BB207_6 Depth=1
	v_mov_b32_e32 v12, 0
	v_add_nc_u32_e32 v8, s2, v17
	v_mov_b32_e32 v13, 0
	s_mov_b32 s9, exec_lo
	v_cmpx_gt_u64_e64 s[12:13], v[8:9]
	s_cbranch_execz .LBB207_9
; %bb.8:                                ;   in Loop: Header=BB207_6 Depth=1
	v_mad_u64_u32 v[12:13], null, s18, v8, 0
	v_mad_u64_u32 v[13:14], null, s19, v8, v[13:14]
	v_lshlrev_b64 v[12:13], 3, v[12:13]
	v_add_co_u32 v12, vcc_lo, v19, v12
	v_add_co_ci_u32_e64 v13, null, v20, v13, vcc_lo
	global_load_dwordx2 v[12:13], v[12:13], off
.LBB207_9:                              ;   in Loop: Header=BB207_6 Depth=1
	s_or_b32 exec_lo, exec_lo, s9
.LBB207_10:                             ;   in Loop: Header=BB207_6 Depth=1
	s_or_b32 exec_lo, exec_lo, s7
	v_add_nc_u32_e32 v8, s2, v16
	v_mov_b32_e32 v14, 0
	v_mov_b32_e32 v15, 0
	s_waitcnt vmcnt(0)
	ds_write_b64 v18, v[12:13]
	v_cmp_gt_u64_e32 vcc_lo, s[12:13], v[8:9]
	s_and_b32 s9, vcc_lo, s1
	s_and_saveexec_b32 s7, s9
	s_cbranch_execz .LBB207_5
; %bb.11:                               ;   in Loop: Header=BB207_6 Depth=1
	v_lshlrev_b64 v[12:13], 3, v[8:9]
	v_add_co_u32 v12, vcc_lo, v22, v12
	v_add_co_ci_u32_e64 v13, null, v23, v13, vcc_lo
	global_load_dwordx2 v[14:15], v[12:13], off
	s_branch .LBB207_5
.LBB207_12:
	v_add_nc_u32_e32 v13, s6, v1
	s_mul_i32 s1, s43, s8
	s_mul_hi_u32 s2, s42, s8
	s_mul_i32 s0, s42, s8
	s_add_i32 s1, s2, s1
	v_ashrrev_i32_e32 v1, 31, v13
	v_cmp_neq_f64_e64 s2, s[36:37], 0
	v_mul_lo_u32 v12, s41, v13
	v_mad_u64_u32 v[8:9], null, s40, v13, 0
	v_mul_lo_u32 v1, s40, v1
	v_add_nc_u32_e32 v0, s5, v0
	s_lshl_b64 s[6:7], s[0:1], 3
	s_add_u32 s3, s38, s6
	s_addc_u32 s5, s39, s7
	v_cmp_le_i32_e32 vcc_lo, v13, v0
	s_waitcnt lgkmcnt(0)
	v_cmp_gt_i32_e64 s0, s4, v0
	v_add3_u32 v9, v9, v1, v12
	v_ashrrev_i32_e32 v1, 31, v0
	s_and_b32 s6, vcc_lo, s0
	v_lshlrev_b64 v[8:9], 3, v[8:9]
	v_cndmask_b32_e64 v12, 0, 1, s2
	v_add_co_u32 v14, s1, s3, v8
	v_add_co_ci_u32_e64 v15, null, s5, v9, s1
	s_and_saveexec_b32 s1, s6
	s_cbranch_execz .LBB207_16
; %bb.13:
	v_mul_f64 v[8:9], s[14:15], v[10:11]
	v_lshlrev_b64 v[10:11], 3, v[0:1]
	v_add_co_u32 v10, vcc_lo, v14, v10
	v_add_co_ci_u32_e64 v11, null, v15, v11, vcc_lo
	s_andn2_b32 vcc_lo, exec_lo, s2
	s_cbranch_vccnz .LBB207_15
; %bb.14:
	global_load_dwordx2 v[16:17], v[10:11], off
	s_waitcnt vmcnt(0)
	v_fma_f64 v[8:9], s[36:37], v[16:17], v[8:9]
.LBB207_15:
	global_store_dwordx2 v[10:11], v[8:9], off
.LBB207_16:
	s_or_b32 exec_lo, exec_lo, s1
	v_add_nc_u32_e32 v8, 16, v0
	v_cmp_le_i32_e32 vcc_lo, v13, v8
	v_cmp_gt_i32_e64 s1, s4, v8
	v_ashrrev_i32_e32 v9, 31, v8
	s_and_b32 s2, vcc_lo, s1
	s_and_saveexec_b32 s4, s2
	s_cbranch_execz .LBB207_20
; %bb.17:
	v_mul_f64 v[6:7], s[14:15], v[6:7]
	v_lshlrev_b64 v[10:11], 3, v[8:9]
	v_cmp_ne_u32_e32 vcc_lo, 1, v12
	v_add_co_u32 v10, s2, v14, v10
	v_add_co_ci_u32_e64 v11, null, v15, v11, s2
	s_cbranch_vccnz .LBB207_19
; %bb.18:
	global_load_dwordx2 v[14:15], v[10:11], off
	s_waitcnt vmcnt(0)
	v_fma_f64 v[6:7], s[36:37], v[14:15], v[6:7]
.LBB207_19:
	global_store_dwordx2 v[10:11], v[6:7], off
.LBB207_20:
	s_or_b32 exec_lo, exec_lo, s4
	v_add_nc_u32_e32 v10, 16, v13
	v_ashrrev_i32_e32 v11, 31, v10
	v_mul_lo_u32 v13, s41, v10
	v_mad_u64_u32 v[6:7], null, s40, v10, 0
	v_cmp_le_i32_e32 vcc_lo, v10, v0
	v_mul_lo_u32 v11, s40, v11
	s_and_b32 s0, vcc_lo, s0
	v_add3_u32 v7, v7, v11, v13
	v_lshlrev_b64 v[6:7], 3, v[6:7]
	v_add_co_u32 v6, s2, s3, v6
	v_add_co_ci_u32_e64 v7, null, s5, v7, s2
	s_and_saveexec_b32 s2, s0
	s_cbranch_execz .LBB207_24
; %bb.21:
	v_mul_f64 v[4:5], s[14:15], v[4:5]
	v_lshlrev_b64 v[0:1], 3, v[0:1]
	v_cmp_ne_u32_e32 vcc_lo, 1, v12
	v_add_co_u32 v0, s0, v6, v0
	v_add_co_ci_u32_e64 v1, null, v7, v1, s0
	s_cbranch_vccnz .LBB207_23
; %bb.22:
	global_load_dwordx2 v[13:14], v[0:1], off
	s_waitcnt vmcnt(0)
	v_fma_f64 v[4:5], s[36:37], v[13:14], v[4:5]
.LBB207_23:
	global_store_dwordx2 v[0:1], v[4:5], off
.LBB207_24:
	s_or_b32 exec_lo, exec_lo, s2
	v_cmp_le_i32_e32 vcc_lo, v10, v8
	s_and_b32 s0, vcc_lo, s1
	s_and_saveexec_b32 s1, s0
	s_cbranch_execz .LBB207_28
; %bb.25:
	v_mul_f64 v[0:1], s[14:15], v[2:3]
	v_lshlrev_b64 v[2:3], 3, v[8:9]
	v_cmp_ne_u32_e32 vcc_lo, 1, v12
	v_add_co_u32 v2, s0, v6, v2
	v_add_co_ci_u32_e64 v3, null, v7, v3, s0
	s_cbranch_vccnz .LBB207_27
; %bb.26:
	global_load_dwordx2 v[4:5], v[2:3], off
	s_waitcnt vmcnt(0)
	v_fma_f64 v[0:1], s[36:37], v[4:5], v[0:1]
.LBB207_27:
	global_store_dwordx2 v[2:3], v[0:1], off
.LBB207_28:
	s_endpgm
	.section	.rodata,"a",@progbits
	.p2align	6, 0x0
	.amdhsa_kernel _ZL29rocblas_internal_gemmt_kernelIlLi16ELi32ELi8ELc78ELc78ELc76ELb0ELb0EddPKdPdEviT_T9_T10_S3_lS5_S3_lS4_T11_S3_li
		.amdhsa_group_segment_fixed_size 4096
		.amdhsa_private_segment_fixed_size 0
		.amdhsa_kernarg_size 108
		.amdhsa_user_sgpr_count 6
		.amdhsa_user_sgpr_private_segment_buffer 1
		.amdhsa_user_sgpr_dispatch_ptr 0
		.amdhsa_user_sgpr_queue_ptr 0
		.amdhsa_user_sgpr_kernarg_segment_ptr 1
		.amdhsa_user_sgpr_dispatch_id 0
		.amdhsa_user_sgpr_flat_scratch_init 0
		.amdhsa_user_sgpr_private_segment_size 0
		.amdhsa_wavefront_size32 1
		.amdhsa_uses_dynamic_stack 0
		.amdhsa_system_sgpr_private_segment_wavefront_offset 0
		.amdhsa_system_sgpr_workgroup_id_x 1
		.amdhsa_system_sgpr_workgroup_id_y 1
		.amdhsa_system_sgpr_workgroup_id_z 1
		.amdhsa_system_sgpr_workgroup_info 0
		.amdhsa_system_vgpr_workitem_id 1
		.amdhsa_next_free_vgpr 46
		.amdhsa_next_free_sgpr 44
		.amdhsa_reserve_vcc 1
		.amdhsa_reserve_flat_scratch 0
		.amdhsa_float_round_mode_32 0
		.amdhsa_float_round_mode_16_64 0
		.amdhsa_float_denorm_mode_32 3
		.amdhsa_float_denorm_mode_16_64 3
		.amdhsa_dx10_clamp 1
		.amdhsa_ieee_mode 1
		.amdhsa_fp16_overflow 0
		.amdhsa_workgroup_processor_mode 1
		.amdhsa_memory_ordered 1
		.amdhsa_forward_progress 1
		.amdhsa_shared_vgpr_count 0
		.amdhsa_exception_fp_ieee_invalid_op 0
		.amdhsa_exception_fp_denorm_src 0
		.amdhsa_exception_fp_ieee_div_zero 0
		.amdhsa_exception_fp_ieee_overflow 0
		.amdhsa_exception_fp_ieee_underflow 0
		.amdhsa_exception_fp_ieee_inexact 0
		.amdhsa_exception_int_div_zero 0
	.end_amdhsa_kernel
	.section	.text._ZL29rocblas_internal_gemmt_kernelIlLi16ELi32ELi8ELc78ELc78ELc76ELb0ELb0EddPKdPdEviT_T9_T10_S3_lS5_S3_lS4_T11_S3_li,"axG",@progbits,_ZL29rocblas_internal_gemmt_kernelIlLi16ELi32ELi8ELc78ELc78ELc76ELb0ELb0EddPKdPdEviT_T9_T10_S3_lS5_S3_lS4_T11_S3_li,comdat
.Lfunc_end207:
	.size	_ZL29rocblas_internal_gemmt_kernelIlLi16ELi32ELi8ELc78ELc78ELc76ELb0ELb0EddPKdPdEviT_T9_T10_S3_lS5_S3_lS4_T11_S3_li, .Lfunc_end207-_ZL29rocblas_internal_gemmt_kernelIlLi16ELi32ELi8ELc78ELc78ELc76ELb0ELb0EddPKdPdEviT_T9_T10_S3_lS5_S3_lS4_T11_S3_li
                                        ; -- End function
	.set _ZL29rocblas_internal_gemmt_kernelIlLi16ELi32ELi8ELc78ELc78ELc76ELb0ELb0EddPKdPdEviT_T9_T10_S3_lS5_S3_lS4_T11_S3_li.num_vgpr, 46
	.set _ZL29rocblas_internal_gemmt_kernelIlLi16ELi32ELi8ELc78ELc78ELc76ELb0ELb0EddPKdPdEviT_T9_T10_S3_lS5_S3_lS4_T11_S3_li.num_agpr, 0
	.set _ZL29rocblas_internal_gemmt_kernelIlLi16ELi32ELi8ELc78ELc78ELc76ELb0ELb0EddPKdPdEviT_T9_T10_S3_lS5_S3_lS4_T11_S3_li.numbered_sgpr, 44
	.set _ZL29rocblas_internal_gemmt_kernelIlLi16ELi32ELi8ELc78ELc78ELc76ELb0ELb0EddPKdPdEviT_T9_T10_S3_lS5_S3_lS4_T11_S3_li.num_named_barrier, 0
	.set _ZL29rocblas_internal_gemmt_kernelIlLi16ELi32ELi8ELc78ELc78ELc76ELb0ELb0EddPKdPdEviT_T9_T10_S3_lS5_S3_lS4_T11_S3_li.private_seg_size, 0
	.set _ZL29rocblas_internal_gemmt_kernelIlLi16ELi32ELi8ELc78ELc78ELc76ELb0ELb0EddPKdPdEviT_T9_T10_S3_lS5_S3_lS4_T11_S3_li.uses_vcc, 1
	.set _ZL29rocblas_internal_gemmt_kernelIlLi16ELi32ELi8ELc78ELc78ELc76ELb0ELb0EddPKdPdEviT_T9_T10_S3_lS5_S3_lS4_T11_S3_li.uses_flat_scratch, 0
	.set _ZL29rocblas_internal_gemmt_kernelIlLi16ELi32ELi8ELc78ELc78ELc76ELb0ELb0EddPKdPdEviT_T9_T10_S3_lS5_S3_lS4_T11_S3_li.has_dyn_sized_stack, 0
	.set _ZL29rocblas_internal_gemmt_kernelIlLi16ELi32ELi8ELc78ELc78ELc76ELb0ELb0EddPKdPdEviT_T9_T10_S3_lS5_S3_lS4_T11_S3_li.has_recursion, 0
	.set _ZL29rocblas_internal_gemmt_kernelIlLi16ELi32ELi8ELc78ELc78ELc76ELb0ELb0EddPKdPdEviT_T9_T10_S3_lS5_S3_lS4_T11_S3_li.has_indirect_call, 0
	.section	.AMDGPU.csdata,"",@progbits
; Kernel info:
; codeLenInByte = 1656
; TotalNumSgprs: 46
; NumVgprs: 46
; ScratchSize: 0
; MemoryBound: 0
; FloatMode: 240
; IeeeMode: 1
; LDSByteSize: 4096 bytes/workgroup (compile time only)
; SGPRBlocks: 0
; VGPRBlocks: 5
; NumSGPRsForWavesPerEU: 46
; NumVGPRsForWavesPerEU: 46
; Occupancy: 16
; WaveLimiterHint : 0
; COMPUTE_PGM_RSRC2:SCRATCH_EN: 0
; COMPUTE_PGM_RSRC2:USER_SGPR: 6
; COMPUTE_PGM_RSRC2:TRAP_HANDLER: 0
; COMPUTE_PGM_RSRC2:TGID_X_EN: 1
; COMPUTE_PGM_RSRC2:TGID_Y_EN: 1
; COMPUTE_PGM_RSRC2:TGID_Z_EN: 1
; COMPUTE_PGM_RSRC2:TIDIG_COMP_CNT: 1
	.section	.text._ZL29rocblas_internal_gemmt_kernelIlLi16ELi32ELi8ELc78ELc84ELc76ELb0ELb0EddPKdPdEviT_T9_T10_S3_lS5_S3_lS4_T11_S3_li,"axG",@progbits,_ZL29rocblas_internal_gemmt_kernelIlLi16ELi32ELi8ELc78ELc84ELc76ELb0ELb0EddPKdPdEviT_T9_T10_S3_lS5_S3_lS4_T11_S3_li,comdat
	.globl	_ZL29rocblas_internal_gemmt_kernelIlLi16ELi32ELi8ELc78ELc84ELc76ELb0ELb0EddPKdPdEviT_T9_T10_S3_lS5_S3_lS4_T11_S3_li ; -- Begin function _ZL29rocblas_internal_gemmt_kernelIlLi16ELi32ELi8ELc78ELc84ELc76ELb0ELb0EddPKdPdEviT_T9_T10_S3_lS5_S3_lS4_T11_S3_li
	.p2align	8
	.type	_ZL29rocblas_internal_gemmt_kernelIlLi16ELi32ELi8ELc78ELc84ELc76ELb0ELb0EddPKdPdEviT_T9_T10_S3_lS5_S3_lS4_T11_S3_li,@function
_ZL29rocblas_internal_gemmt_kernelIlLi16ELi32ELi8ELc78ELc84ELc76ELb0ELb0EddPKdPdEviT_T9_T10_S3_lS5_S3_lS4_T11_S3_li: ; @_ZL29rocblas_internal_gemmt_kernelIlLi16ELi32ELi8ELc78ELc84ELc76ELb0ELb0EddPKdPdEviT_T9_T10_S3_lS5_S3_lS4_T11_S3_li
; %bb.0:
	s_clause 0x1
	s_load_dwordx8 s[36:43], s[4:5], 0x48
	s_load_dwordx16 s[12:27], s[4:5], 0x8
	s_waitcnt lgkmcnt(0)
	v_cmp_neq_f64_e64 s0, s[36:37], 1.0
	s_and_b32 vcc_lo, exec_lo, s0
	s_cbranch_vccnz .LBB208_2
; %bb.1:
	v_cmp_neq_f64_e64 s0, s[14:15], 0
	s_cmp_lg_u64 s[12:13], 0
	s_cselect_b32 s1, -1, 0
	s_and_b32 s0, s1, s0
.LBB208_2:
	s_andn2_b32 vcc_lo, exec_lo, s0
	s_cbranch_vccnz .LBB208_28
; %bb.3:
	v_cmp_eq_f64_e64 s0, s[14:15], 0
	s_load_dword s4, s[4:5], 0x0
	v_cmp_lt_i64_e64 s1, s[12:13], 1
	v_mov_b32_e32 v10, 0
	v_mov_b32_e32 v6, 0
	;; [unrolled: 1-line block ×8, first 2 shown]
	s_lshl_b32 s5, s6, 5
	s_lshl_b32 s6, s7, 5
	s_or_b32 s0, s0, s1
	s_and_b32 vcc_lo, exec_lo, s0
	s_cbranch_vccnz .LBB208_12
; %bb.4:
	v_lshl_add_u32 v3, v1, 4, v0
	s_mul_i32 s1, s27, s8
	s_mul_hi_u32 s2, s26, s8
	s_mul_i32 s0, s26, s8
	s_add_i32 s1, s2, s1
	v_and_b32_e32 v5, 31, v3
	v_lshrrev_b32_e32 v8, 3, v3
	s_lshl_b64 s[0:1], s[0:1], 3
	v_lshrrev_b32_e32 v17, 5, v3
	v_and_b32_e32 v16, 7, v0
	v_or_b32_e32 v2, s5, v5
	v_add_nc_u32_e32 v4, s6, v8
	s_add_u32 s2, s22, s0
	s_mul_i32 s0, s21, s8
	s_mul_hi_u32 s3, s20, s8
	v_ashrrev_i32_e32 v3, 31, v2
	v_lshlrev_b32_e32 v9, 3, v5
	v_ashrrev_i32_e32 v5, 31, v4
	s_addc_u32 s7, s23, s1
	s_add_i32 s1, s3, s0
	s_mul_i32 s0, s20, s8
	v_lshlrev_b64 v[6:7], 3, v[2:3]
	s_lshl_b64 s[0:1], s[0:1], 3
	v_lshlrev_b32_e32 v10, 3, v16
	s_add_u32 s3, s16, s0
	s_waitcnt lgkmcnt(0)
	v_cmp_gt_i32_e64 s0, s4, v2
	v_lshlrev_b64 v[2:3], 3, v[4:5]
	s_addc_u32 s1, s17, s1
	v_lshl_or_b32 v8, v8, 6, v10
	v_add_co_u32 v19, vcc_lo, s3, v6
	v_add_co_ci_u32_e64 v20, null, s1, v7, vcc_lo
	v_add_co_u32 v22, vcc_lo, s2, v2
	v_cmp_gt_i32_e64 s1, s4, v4
	v_add_co_ci_u32_e64 v23, null, s7, v3, vcc_lo
	v_mov_b32_e32 v2, 0
	v_mov_b32_e32 v4, 0
	;; [unrolled: 1-line block ×4, first 2 shown]
	v_lshl_or_b32 v18, v17, 8, v9
	v_add_nc_u32_e32 v21, 0x800, v8
	v_lshlrev_b32_e32 v24, 3, v0
	v_lshl_add_u32 v25, v1, 6, 0x800
	v_mov_b32_e32 v3, 0
	v_mov_b32_e32 v5, 0
	;; [unrolled: 1-line block ×5, first 2 shown]
	s_mov_b64 s[2:3], 0
	s_branch .LBB208_6
.LBB208_5:                              ;   in Loop: Header=BB208_6 Depth=1
	s_or_b32 exec_lo, exec_lo, s7
	s_waitcnt vmcnt(0)
	ds_write_b64 v21, v[14:15]
	s_waitcnt lgkmcnt(0)
	s_barrier
	buffer_gl0_inv
	ds_read_b128 v[12:15], v25
	ds_read2_b64 v[26:29], v24 offset1:16
	ds_read_b128 v[30:33], v25 offset:1024
	ds_read_b128 v[34:37], v25 offset:16
	ds_read2_b64 v[38:41], v24 offset0:32 offset1:48
	ds_read_b128 v[42:45], v25 offset:1040
	s_add_u32 s2, s2, 8
	s_addc_u32 s3, s3, 0
	v_cmp_gt_i64_e64 s7, s[12:13], s[2:3]
	s_and_b32 vcc_lo, exec_lo, s7
	s_waitcnt lgkmcnt(4)
	v_fma_f64 v[10:11], v[26:27], v[12:13], v[10:11]
	v_fma_f64 v[6:7], v[28:29], v[12:13], v[6:7]
	s_waitcnt lgkmcnt(3)
	v_fma_f64 v[12:13], v[26:27], v[30:31], v[4:5]
	v_fma_f64 v[26:27], v[28:29], v[30:31], v[2:3]
	ds_read2_b64 v[2:5], v24 offset0:64 offset1:80
	s_waitcnt lgkmcnt(2)
	v_fma_f64 v[28:29], v[38:39], v[14:15], v[10:11]
	v_fma_f64 v[6:7], v[40:41], v[14:15], v[6:7]
	;; [unrolled: 1-line block ×4, first 2 shown]
	ds_read2_b64 v[10:13], v24 offset0:96 offset1:112
	s_waitcnt lgkmcnt(1)
	v_fma_f64 v[30:31], v[2:3], v[34:35], v[28:29]
	v_fma_f64 v[6:7], v[4:5], v[34:35], v[6:7]
	;; [unrolled: 1-line block ×4, first 2 shown]
	ds_read_b128 v[2:5], v25 offset:32
	ds_read2_b64 v[26:29], v24 offset0:128 offset1:144
	s_waitcnt lgkmcnt(2)
	v_fma_f64 v[42:43], v[10:11], v[36:37], v[30:31]
	v_fma_f64 v[6:7], v[12:13], v[36:37], v[6:7]
	;; [unrolled: 1-line block ×4, first 2 shown]
	ds_read_b128 v[10:13], v25 offset:1056
	ds_read_b128 v[30:33], v25 offset:48
	ds_read2_b64 v[34:37], v24 offset0:160 offset1:176
	ds_read_b128 v[38:41], v25 offset:1072
	s_waitcnt lgkmcnt(4)
	v_fma_f64 v[42:43], v[26:27], v[2:3], v[42:43]
	v_fma_f64 v[2:3], v[28:29], v[2:3], v[6:7]
	s_waitcnt lgkmcnt(3)
	v_fma_f64 v[6:7], v[26:27], v[10:11], v[14:15]
	v_fma_f64 v[10:11], v[28:29], v[10:11], v[44:45]
	ds_read2_b64 v[26:29], v24 offset0:192 offset1:208
	s_waitcnt lgkmcnt(2)
	v_fma_f64 v[42:43], v[34:35], v[4:5], v[42:43]
	v_fma_f64 v[2:3], v[36:37], v[4:5], v[2:3]
	;; [unrolled: 1-line block ×4, first 2 shown]
	ds_read2_b64 v[12:15], v24 offset0:224 offset1:240
	s_waitcnt lgkmcnt(0)
	s_barrier
	buffer_gl0_inv
	v_fma_f64 v[10:11], v[26:27], v[30:31], v[42:43]
	v_fma_f64 v[2:3], v[28:29], v[30:31], v[2:3]
	;; [unrolled: 1-line block ×8, first 2 shown]
	s_cbranch_vccz .LBB208_12
.LBB208_6:                              ; =>This Inner Loop Header: Depth=1
	v_mov_b32_e32 v12, 0
	v_mov_b32_e32 v13, 0
	s_and_saveexec_b32 s7, s0
	s_cbranch_execz .LBB208_10
; %bb.7:                                ;   in Loop: Header=BB208_6 Depth=1
	v_mov_b32_e32 v12, 0
	v_add_nc_u32_e32 v8, s2, v17
	v_mov_b32_e32 v13, 0
	s_mov_b32 s9, exec_lo
	v_cmpx_gt_u64_e64 s[12:13], v[8:9]
	s_cbranch_execz .LBB208_9
; %bb.8:                                ;   in Loop: Header=BB208_6 Depth=1
	v_mad_u64_u32 v[12:13], null, s18, v8, 0
	v_mad_u64_u32 v[13:14], null, s19, v8, v[13:14]
	v_lshlrev_b64 v[12:13], 3, v[12:13]
	v_add_co_u32 v12, vcc_lo, v19, v12
	v_add_co_ci_u32_e64 v13, null, v20, v13, vcc_lo
	global_load_dwordx2 v[12:13], v[12:13], off
.LBB208_9:                              ;   in Loop: Header=BB208_6 Depth=1
	s_or_b32 exec_lo, exec_lo, s9
.LBB208_10:                             ;   in Loop: Header=BB208_6 Depth=1
	s_or_b32 exec_lo, exec_lo, s7
	v_add_nc_u32_e32 v8, s2, v16
	v_mov_b32_e32 v14, 0
	v_mov_b32_e32 v15, 0
	s_waitcnt vmcnt(0)
	ds_write_b64 v18, v[12:13]
	v_cmp_gt_u64_e32 vcc_lo, s[12:13], v[8:9]
	s_and_b32 s9, vcc_lo, s1
	s_and_saveexec_b32 s7, s9
	s_cbranch_execz .LBB208_5
; %bb.11:                               ;   in Loop: Header=BB208_6 Depth=1
	v_mad_u64_u32 v[12:13], null, s24, v8, 0
	v_mad_u64_u32 v[13:14], null, s25, v8, v[13:14]
	v_lshlrev_b64 v[12:13], 3, v[12:13]
	v_add_co_u32 v12, vcc_lo, v22, v12
	v_add_co_ci_u32_e64 v13, null, v23, v13, vcc_lo
	global_load_dwordx2 v[14:15], v[12:13], off
	s_branch .LBB208_5
.LBB208_12:
	v_add_nc_u32_e32 v13, s6, v1
	s_mul_i32 s1, s43, s8
	s_mul_hi_u32 s2, s42, s8
	s_mul_i32 s0, s42, s8
	s_add_i32 s1, s2, s1
	v_ashrrev_i32_e32 v1, 31, v13
	v_cmp_neq_f64_e64 s2, s[36:37], 0
	v_mul_lo_u32 v12, s41, v13
	v_mad_u64_u32 v[8:9], null, s40, v13, 0
	v_mul_lo_u32 v1, s40, v1
	v_add_nc_u32_e32 v0, s5, v0
	s_lshl_b64 s[6:7], s[0:1], 3
	s_add_u32 s3, s38, s6
	s_addc_u32 s5, s39, s7
	v_cmp_le_i32_e32 vcc_lo, v13, v0
	s_waitcnt lgkmcnt(0)
	v_cmp_gt_i32_e64 s0, s4, v0
	v_add3_u32 v9, v9, v1, v12
	v_ashrrev_i32_e32 v1, 31, v0
	s_and_b32 s6, vcc_lo, s0
	v_lshlrev_b64 v[8:9], 3, v[8:9]
	v_cndmask_b32_e64 v12, 0, 1, s2
	v_add_co_u32 v14, s1, s3, v8
	v_add_co_ci_u32_e64 v15, null, s5, v9, s1
	s_and_saveexec_b32 s1, s6
	s_cbranch_execz .LBB208_16
; %bb.13:
	v_mul_f64 v[8:9], s[14:15], v[10:11]
	v_lshlrev_b64 v[10:11], 3, v[0:1]
	v_add_co_u32 v10, vcc_lo, v14, v10
	v_add_co_ci_u32_e64 v11, null, v15, v11, vcc_lo
	s_andn2_b32 vcc_lo, exec_lo, s2
	s_cbranch_vccnz .LBB208_15
; %bb.14:
	global_load_dwordx2 v[16:17], v[10:11], off
	s_waitcnt vmcnt(0)
	v_fma_f64 v[8:9], s[36:37], v[16:17], v[8:9]
.LBB208_15:
	global_store_dwordx2 v[10:11], v[8:9], off
.LBB208_16:
	s_or_b32 exec_lo, exec_lo, s1
	v_add_nc_u32_e32 v8, 16, v0
	v_cmp_le_i32_e32 vcc_lo, v13, v8
	v_cmp_gt_i32_e64 s1, s4, v8
	v_ashrrev_i32_e32 v9, 31, v8
	s_and_b32 s2, vcc_lo, s1
	s_and_saveexec_b32 s4, s2
	s_cbranch_execz .LBB208_20
; %bb.17:
	v_mul_f64 v[6:7], s[14:15], v[6:7]
	v_lshlrev_b64 v[10:11], 3, v[8:9]
	v_cmp_ne_u32_e32 vcc_lo, 1, v12
	v_add_co_u32 v10, s2, v14, v10
	v_add_co_ci_u32_e64 v11, null, v15, v11, s2
	s_cbranch_vccnz .LBB208_19
; %bb.18:
	global_load_dwordx2 v[14:15], v[10:11], off
	s_waitcnt vmcnt(0)
	v_fma_f64 v[6:7], s[36:37], v[14:15], v[6:7]
.LBB208_19:
	global_store_dwordx2 v[10:11], v[6:7], off
.LBB208_20:
	s_or_b32 exec_lo, exec_lo, s4
	v_add_nc_u32_e32 v10, 16, v13
	v_ashrrev_i32_e32 v11, 31, v10
	v_mul_lo_u32 v13, s41, v10
	v_mad_u64_u32 v[6:7], null, s40, v10, 0
	v_cmp_le_i32_e32 vcc_lo, v10, v0
	v_mul_lo_u32 v11, s40, v11
	s_and_b32 s0, vcc_lo, s0
	v_add3_u32 v7, v7, v11, v13
	v_lshlrev_b64 v[6:7], 3, v[6:7]
	v_add_co_u32 v6, s2, s3, v6
	v_add_co_ci_u32_e64 v7, null, s5, v7, s2
	s_and_saveexec_b32 s2, s0
	s_cbranch_execz .LBB208_24
; %bb.21:
	v_mul_f64 v[4:5], s[14:15], v[4:5]
	v_lshlrev_b64 v[0:1], 3, v[0:1]
	v_cmp_ne_u32_e32 vcc_lo, 1, v12
	v_add_co_u32 v0, s0, v6, v0
	v_add_co_ci_u32_e64 v1, null, v7, v1, s0
	s_cbranch_vccnz .LBB208_23
; %bb.22:
	global_load_dwordx2 v[13:14], v[0:1], off
	s_waitcnt vmcnt(0)
	v_fma_f64 v[4:5], s[36:37], v[13:14], v[4:5]
.LBB208_23:
	global_store_dwordx2 v[0:1], v[4:5], off
.LBB208_24:
	s_or_b32 exec_lo, exec_lo, s2
	v_cmp_le_i32_e32 vcc_lo, v10, v8
	s_and_b32 s0, vcc_lo, s1
	s_and_saveexec_b32 s1, s0
	s_cbranch_execz .LBB208_28
; %bb.25:
	v_mul_f64 v[0:1], s[14:15], v[2:3]
	v_lshlrev_b64 v[2:3], 3, v[8:9]
	v_cmp_ne_u32_e32 vcc_lo, 1, v12
	v_add_co_u32 v2, s0, v6, v2
	v_add_co_ci_u32_e64 v3, null, v7, v3, s0
	s_cbranch_vccnz .LBB208_27
; %bb.26:
	global_load_dwordx2 v[4:5], v[2:3], off
	s_waitcnt vmcnt(0)
	v_fma_f64 v[0:1], s[36:37], v[4:5], v[0:1]
.LBB208_27:
	global_store_dwordx2 v[2:3], v[0:1], off
.LBB208_28:
	s_endpgm
	.section	.rodata,"a",@progbits
	.p2align	6, 0x0
	.amdhsa_kernel _ZL29rocblas_internal_gemmt_kernelIlLi16ELi32ELi8ELc78ELc84ELc76ELb0ELb0EddPKdPdEviT_T9_T10_S3_lS5_S3_lS4_T11_S3_li
		.amdhsa_group_segment_fixed_size 4096
		.amdhsa_private_segment_fixed_size 0
		.amdhsa_kernarg_size 108
		.amdhsa_user_sgpr_count 6
		.amdhsa_user_sgpr_private_segment_buffer 1
		.amdhsa_user_sgpr_dispatch_ptr 0
		.amdhsa_user_sgpr_queue_ptr 0
		.amdhsa_user_sgpr_kernarg_segment_ptr 1
		.amdhsa_user_sgpr_dispatch_id 0
		.amdhsa_user_sgpr_flat_scratch_init 0
		.amdhsa_user_sgpr_private_segment_size 0
		.amdhsa_wavefront_size32 1
		.amdhsa_uses_dynamic_stack 0
		.amdhsa_system_sgpr_private_segment_wavefront_offset 0
		.amdhsa_system_sgpr_workgroup_id_x 1
		.amdhsa_system_sgpr_workgroup_id_y 1
		.amdhsa_system_sgpr_workgroup_id_z 1
		.amdhsa_system_sgpr_workgroup_info 0
		.amdhsa_system_vgpr_workitem_id 1
		.amdhsa_next_free_vgpr 46
		.amdhsa_next_free_sgpr 44
		.amdhsa_reserve_vcc 1
		.amdhsa_reserve_flat_scratch 0
		.amdhsa_float_round_mode_32 0
		.amdhsa_float_round_mode_16_64 0
		.amdhsa_float_denorm_mode_32 3
		.amdhsa_float_denorm_mode_16_64 3
		.amdhsa_dx10_clamp 1
		.amdhsa_ieee_mode 1
		.amdhsa_fp16_overflow 0
		.amdhsa_workgroup_processor_mode 1
		.amdhsa_memory_ordered 1
		.amdhsa_forward_progress 1
		.amdhsa_shared_vgpr_count 0
		.amdhsa_exception_fp_ieee_invalid_op 0
		.amdhsa_exception_fp_denorm_src 0
		.amdhsa_exception_fp_ieee_div_zero 0
		.amdhsa_exception_fp_ieee_overflow 0
		.amdhsa_exception_fp_ieee_underflow 0
		.amdhsa_exception_fp_ieee_inexact 0
		.amdhsa_exception_int_div_zero 0
	.end_amdhsa_kernel
	.section	.text._ZL29rocblas_internal_gemmt_kernelIlLi16ELi32ELi8ELc78ELc84ELc76ELb0ELb0EddPKdPdEviT_T9_T10_S3_lS5_S3_lS4_T11_S3_li,"axG",@progbits,_ZL29rocblas_internal_gemmt_kernelIlLi16ELi32ELi8ELc78ELc84ELc76ELb0ELb0EddPKdPdEviT_T9_T10_S3_lS5_S3_lS4_T11_S3_li,comdat
.Lfunc_end208:
	.size	_ZL29rocblas_internal_gemmt_kernelIlLi16ELi32ELi8ELc78ELc84ELc76ELb0ELb0EddPKdPdEviT_T9_T10_S3_lS5_S3_lS4_T11_S3_li, .Lfunc_end208-_ZL29rocblas_internal_gemmt_kernelIlLi16ELi32ELi8ELc78ELc84ELc76ELb0ELb0EddPKdPdEviT_T9_T10_S3_lS5_S3_lS4_T11_S3_li
                                        ; -- End function
	.set _ZL29rocblas_internal_gemmt_kernelIlLi16ELi32ELi8ELc78ELc84ELc76ELb0ELb0EddPKdPdEviT_T9_T10_S3_lS5_S3_lS4_T11_S3_li.num_vgpr, 46
	.set _ZL29rocblas_internal_gemmt_kernelIlLi16ELi32ELi8ELc78ELc84ELc76ELb0ELb0EddPKdPdEviT_T9_T10_S3_lS5_S3_lS4_T11_S3_li.num_agpr, 0
	.set _ZL29rocblas_internal_gemmt_kernelIlLi16ELi32ELi8ELc78ELc84ELc76ELb0ELb0EddPKdPdEviT_T9_T10_S3_lS5_S3_lS4_T11_S3_li.numbered_sgpr, 44
	.set _ZL29rocblas_internal_gemmt_kernelIlLi16ELi32ELi8ELc78ELc84ELc76ELb0ELb0EddPKdPdEviT_T9_T10_S3_lS5_S3_lS4_T11_S3_li.num_named_barrier, 0
	.set _ZL29rocblas_internal_gemmt_kernelIlLi16ELi32ELi8ELc78ELc84ELc76ELb0ELb0EddPKdPdEviT_T9_T10_S3_lS5_S3_lS4_T11_S3_li.private_seg_size, 0
	.set _ZL29rocblas_internal_gemmt_kernelIlLi16ELi32ELi8ELc78ELc84ELc76ELb0ELb0EddPKdPdEviT_T9_T10_S3_lS5_S3_lS4_T11_S3_li.uses_vcc, 1
	.set _ZL29rocblas_internal_gemmt_kernelIlLi16ELi32ELi8ELc78ELc84ELc76ELb0ELb0EddPKdPdEviT_T9_T10_S3_lS5_S3_lS4_T11_S3_li.uses_flat_scratch, 0
	.set _ZL29rocblas_internal_gemmt_kernelIlLi16ELi32ELi8ELc78ELc84ELc76ELb0ELb0EddPKdPdEviT_T9_T10_S3_lS5_S3_lS4_T11_S3_li.has_dyn_sized_stack, 0
	.set _ZL29rocblas_internal_gemmt_kernelIlLi16ELi32ELi8ELc78ELc84ELc76ELb0ELb0EddPKdPdEviT_T9_T10_S3_lS5_S3_lS4_T11_S3_li.has_recursion, 0
	.set _ZL29rocblas_internal_gemmt_kernelIlLi16ELi32ELi8ELc78ELc84ELc76ELb0ELb0EddPKdPdEviT_T9_T10_S3_lS5_S3_lS4_T11_S3_li.has_indirect_call, 0
	.section	.AMDGPU.csdata,"",@progbits
; Kernel info:
; codeLenInByte = 1640
; TotalNumSgprs: 46
; NumVgprs: 46
; ScratchSize: 0
; MemoryBound: 0
; FloatMode: 240
; IeeeMode: 1
; LDSByteSize: 4096 bytes/workgroup (compile time only)
; SGPRBlocks: 0
; VGPRBlocks: 5
; NumSGPRsForWavesPerEU: 46
; NumVGPRsForWavesPerEU: 46
; Occupancy: 16
; WaveLimiterHint : 0
; COMPUTE_PGM_RSRC2:SCRATCH_EN: 0
; COMPUTE_PGM_RSRC2:USER_SGPR: 6
; COMPUTE_PGM_RSRC2:TRAP_HANDLER: 0
; COMPUTE_PGM_RSRC2:TGID_X_EN: 1
; COMPUTE_PGM_RSRC2:TGID_Y_EN: 1
; COMPUTE_PGM_RSRC2:TGID_Z_EN: 1
; COMPUTE_PGM_RSRC2:TIDIG_COMP_CNT: 1
	.section	.text._ZL29rocblas_internal_gemmt_kernelIlLi16ELi32ELi8ELc78ELc67ELc76ELb0ELb0EddPKdPdEviT_T9_T10_S3_lS5_S3_lS4_T11_S3_li,"axG",@progbits,_ZL29rocblas_internal_gemmt_kernelIlLi16ELi32ELi8ELc78ELc67ELc76ELb0ELb0EddPKdPdEviT_T9_T10_S3_lS5_S3_lS4_T11_S3_li,comdat
	.globl	_ZL29rocblas_internal_gemmt_kernelIlLi16ELi32ELi8ELc78ELc67ELc76ELb0ELb0EddPKdPdEviT_T9_T10_S3_lS5_S3_lS4_T11_S3_li ; -- Begin function _ZL29rocblas_internal_gemmt_kernelIlLi16ELi32ELi8ELc78ELc67ELc76ELb0ELb0EddPKdPdEviT_T9_T10_S3_lS5_S3_lS4_T11_S3_li
	.p2align	8
	.type	_ZL29rocblas_internal_gemmt_kernelIlLi16ELi32ELi8ELc78ELc67ELc76ELb0ELb0EddPKdPdEviT_T9_T10_S3_lS5_S3_lS4_T11_S3_li,@function
_ZL29rocblas_internal_gemmt_kernelIlLi16ELi32ELi8ELc78ELc67ELc76ELb0ELb0EddPKdPdEviT_T9_T10_S3_lS5_S3_lS4_T11_S3_li: ; @_ZL29rocblas_internal_gemmt_kernelIlLi16ELi32ELi8ELc78ELc67ELc76ELb0ELb0EddPKdPdEviT_T9_T10_S3_lS5_S3_lS4_T11_S3_li
; %bb.0:
	s_clause 0x1
	s_load_dwordx8 s[36:43], s[4:5], 0x48
	s_load_dwordx16 s[12:27], s[4:5], 0x8
	s_waitcnt lgkmcnt(0)
	v_cmp_neq_f64_e64 s0, s[36:37], 1.0
	s_and_b32 vcc_lo, exec_lo, s0
	s_cbranch_vccnz .LBB209_2
; %bb.1:
	v_cmp_neq_f64_e64 s0, s[14:15], 0
	s_cmp_lg_u64 s[12:13], 0
	s_cselect_b32 s1, -1, 0
	s_and_b32 s0, s1, s0
.LBB209_2:
	s_andn2_b32 vcc_lo, exec_lo, s0
	s_cbranch_vccnz .LBB209_28
; %bb.3:
	v_cmp_eq_f64_e64 s0, s[14:15], 0
	s_load_dword s4, s[4:5], 0x0
	v_cmp_lt_i64_e64 s1, s[12:13], 1
	v_mov_b32_e32 v10, 0
	v_mov_b32_e32 v6, 0
	;; [unrolled: 1-line block ×8, first 2 shown]
	s_lshl_b32 s5, s6, 5
	s_lshl_b32 s6, s7, 5
	s_or_b32 s0, s0, s1
	s_and_b32 vcc_lo, exec_lo, s0
	s_cbranch_vccnz .LBB209_12
; %bb.4:
	v_lshl_add_u32 v3, v1, 4, v0
	s_mul_i32 s1, s27, s8
	s_mul_hi_u32 s2, s26, s8
	s_mul_i32 s0, s26, s8
	s_add_i32 s1, s2, s1
	v_and_b32_e32 v5, 31, v3
	v_lshrrev_b32_e32 v8, 3, v3
	s_lshl_b64 s[0:1], s[0:1], 3
	v_lshrrev_b32_e32 v17, 5, v3
	v_and_b32_e32 v16, 7, v0
	v_or_b32_e32 v2, s5, v5
	v_add_nc_u32_e32 v4, s6, v8
	s_add_u32 s2, s22, s0
	s_mul_i32 s0, s21, s8
	s_mul_hi_u32 s3, s20, s8
	v_ashrrev_i32_e32 v3, 31, v2
	v_lshlrev_b32_e32 v9, 3, v5
	v_ashrrev_i32_e32 v5, 31, v4
	s_addc_u32 s7, s23, s1
	s_add_i32 s1, s3, s0
	s_mul_i32 s0, s20, s8
	v_lshlrev_b64 v[6:7], 3, v[2:3]
	s_lshl_b64 s[0:1], s[0:1], 3
	v_lshlrev_b32_e32 v10, 3, v16
	s_add_u32 s3, s16, s0
	s_waitcnt lgkmcnt(0)
	v_cmp_gt_i32_e64 s0, s4, v2
	v_lshlrev_b64 v[2:3], 3, v[4:5]
	s_addc_u32 s1, s17, s1
	v_lshl_or_b32 v8, v8, 6, v10
	v_add_co_u32 v19, vcc_lo, s3, v6
	v_add_co_ci_u32_e64 v20, null, s1, v7, vcc_lo
	v_add_co_u32 v22, vcc_lo, s2, v2
	v_cmp_gt_i32_e64 s1, s4, v4
	v_add_co_ci_u32_e64 v23, null, s7, v3, vcc_lo
	v_mov_b32_e32 v2, 0
	v_mov_b32_e32 v4, 0
	;; [unrolled: 1-line block ×4, first 2 shown]
	v_lshl_or_b32 v18, v17, 8, v9
	v_add_nc_u32_e32 v21, 0x800, v8
	v_lshlrev_b32_e32 v24, 3, v0
	v_lshl_add_u32 v25, v1, 6, 0x800
	v_mov_b32_e32 v3, 0
	v_mov_b32_e32 v5, 0
	;; [unrolled: 1-line block ×5, first 2 shown]
	s_mov_b64 s[2:3], 0
	s_branch .LBB209_6
.LBB209_5:                              ;   in Loop: Header=BB209_6 Depth=1
	s_or_b32 exec_lo, exec_lo, s7
	s_waitcnt vmcnt(0)
	ds_write_b64 v21, v[14:15]
	s_waitcnt lgkmcnt(0)
	s_barrier
	buffer_gl0_inv
	ds_read_b128 v[12:15], v25
	ds_read2_b64 v[26:29], v24 offset1:16
	ds_read_b128 v[30:33], v25 offset:1024
	ds_read_b128 v[34:37], v25 offset:16
	ds_read2_b64 v[38:41], v24 offset0:32 offset1:48
	ds_read_b128 v[42:45], v25 offset:1040
	s_add_u32 s2, s2, 8
	s_addc_u32 s3, s3, 0
	v_cmp_gt_i64_e64 s7, s[12:13], s[2:3]
	s_and_b32 vcc_lo, exec_lo, s7
	s_waitcnt lgkmcnt(4)
	v_fma_f64 v[10:11], v[26:27], v[12:13], v[10:11]
	v_fma_f64 v[6:7], v[28:29], v[12:13], v[6:7]
	s_waitcnt lgkmcnt(3)
	v_fma_f64 v[12:13], v[26:27], v[30:31], v[4:5]
	v_fma_f64 v[26:27], v[28:29], v[30:31], v[2:3]
	ds_read2_b64 v[2:5], v24 offset0:64 offset1:80
	s_waitcnt lgkmcnt(2)
	v_fma_f64 v[28:29], v[38:39], v[14:15], v[10:11]
	v_fma_f64 v[6:7], v[40:41], v[14:15], v[6:7]
	;; [unrolled: 1-line block ×4, first 2 shown]
	ds_read2_b64 v[10:13], v24 offset0:96 offset1:112
	s_waitcnt lgkmcnt(1)
	v_fma_f64 v[30:31], v[2:3], v[34:35], v[28:29]
	v_fma_f64 v[6:7], v[4:5], v[34:35], v[6:7]
	;; [unrolled: 1-line block ×4, first 2 shown]
	ds_read_b128 v[2:5], v25 offset:32
	ds_read2_b64 v[26:29], v24 offset0:128 offset1:144
	s_waitcnt lgkmcnt(2)
	v_fma_f64 v[42:43], v[10:11], v[36:37], v[30:31]
	v_fma_f64 v[6:7], v[12:13], v[36:37], v[6:7]
	;; [unrolled: 1-line block ×4, first 2 shown]
	ds_read_b128 v[10:13], v25 offset:1056
	ds_read_b128 v[30:33], v25 offset:48
	ds_read2_b64 v[34:37], v24 offset0:160 offset1:176
	ds_read_b128 v[38:41], v25 offset:1072
	s_waitcnt lgkmcnt(4)
	v_fma_f64 v[42:43], v[26:27], v[2:3], v[42:43]
	v_fma_f64 v[2:3], v[28:29], v[2:3], v[6:7]
	s_waitcnt lgkmcnt(3)
	v_fma_f64 v[6:7], v[26:27], v[10:11], v[14:15]
	v_fma_f64 v[10:11], v[28:29], v[10:11], v[44:45]
	ds_read2_b64 v[26:29], v24 offset0:192 offset1:208
	s_waitcnt lgkmcnt(2)
	v_fma_f64 v[42:43], v[34:35], v[4:5], v[42:43]
	v_fma_f64 v[2:3], v[36:37], v[4:5], v[2:3]
	;; [unrolled: 1-line block ×4, first 2 shown]
	ds_read2_b64 v[12:15], v24 offset0:224 offset1:240
	s_waitcnt lgkmcnt(0)
	s_barrier
	buffer_gl0_inv
	v_fma_f64 v[10:11], v[26:27], v[30:31], v[42:43]
	v_fma_f64 v[2:3], v[28:29], v[30:31], v[2:3]
	v_fma_f64 v[4:5], v[26:27], v[38:39], v[4:5]
	v_fma_f64 v[26:27], v[28:29], v[38:39], v[6:7]
	v_fma_f64 v[10:11], v[12:13], v[32:33], v[10:11]
	v_fma_f64 v[6:7], v[14:15], v[32:33], v[2:3]
	v_fma_f64 v[4:5], v[12:13], v[40:41], v[4:5]
	v_fma_f64 v[2:3], v[14:15], v[40:41], v[26:27]
	s_cbranch_vccz .LBB209_12
.LBB209_6:                              ; =>This Inner Loop Header: Depth=1
	v_mov_b32_e32 v12, 0
	v_mov_b32_e32 v13, 0
	s_and_saveexec_b32 s7, s0
	s_cbranch_execz .LBB209_10
; %bb.7:                                ;   in Loop: Header=BB209_6 Depth=1
	v_mov_b32_e32 v12, 0
	v_add_nc_u32_e32 v8, s2, v17
	v_mov_b32_e32 v13, 0
	s_mov_b32 s9, exec_lo
	v_cmpx_gt_u64_e64 s[12:13], v[8:9]
	s_cbranch_execz .LBB209_9
; %bb.8:                                ;   in Loop: Header=BB209_6 Depth=1
	v_mad_u64_u32 v[12:13], null, s18, v8, 0
	v_mad_u64_u32 v[13:14], null, s19, v8, v[13:14]
	v_lshlrev_b64 v[12:13], 3, v[12:13]
	v_add_co_u32 v12, vcc_lo, v19, v12
	v_add_co_ci_u32_e64 v13, null, v20, v13, vcc_lo
	global_load_dwordx2 v[12:13], v[12:13], off
.LBB209_9:                              ;   in Loop: Header=BB209_6 Depth=1
	s_or_b32 exec_lo, exec_lo, s9
.LBB209_10:                             ;   in Loop: Header=BB209_6 Depth=1
	s_or_b32 exec_lo, exec_lo, s7
	v_add_nc_u32_e32 v8, s2, v16
	v_mov_b32_e32 v14, 0
	v_mov_b32_e32 v15, 0
	s_waitcnt vmcnt(0)
	ds_write_b64 v18, v[12:13]
	v_cmp_gt_u64_e32 vcc_lo, s[12:13], v[8:9]
	s_and_b32 s9, vcc_lo, s1
	s_and_saveexec_b32 s7, s9
	s_cbranch_execz .LBB209_5
; %bb.11:                               ;   in Loop: Header=BB209_6 Depth=1
	v_mad_u64_u32 v[12:13], null, s24, v8, 0
	v_mad_u64_u32 v[13:14], null, s25, v8, v[13:14]
	v_lshlrev_b64 v[12:13], 3, v[12:13]
	v_add_co_u32 v12, vcc_lo, v22, v12
	v_add_co_ci_u32_e64 v13, null, v23, v13, vcc_lo
	global_load_dwordx2 v[14:15], v[12:13], off
	s_branch .LBB209_5
.LBB209_12:
	v_add_nc_u32_e32 v13, s6, v1
	s_mul_i32 s1, s43, s8
	s_mul_hi_u32 s2, s42, s8
	s_mul_i32 s0, s42, s8
	s_add_i32 s1, s2, s1
	v_ashrrev_i32_e32 v1, 31, v13
	v_cmp_neq_f64_e64 s2, s[36:37], 0
	v_mul_lo_u32 v12, s41, v13
	v_mad_u64_u32 v[8:9], null, s40, v13, 0
	v_mul_lo_u32 v1, s40, v1
	v_add_nc_u32_e32 v0, s5, v0
	s_lshl_b64 s[6:7], s[0:1], 3
	s_add_u32 s3, s38, s6
	s_addc_u32 s5, s39, s7
	v_cmp_le_i32_e32 vcc_lo, v13, v0
	s_waitcnt lgkmcnt(0)
	v_cmp_gt_i32_e64 s0, s4, v0
	v_add3_u32 v9, v9, v1, v12
	v_ashrrev_i32_e32 v1, 31, v0
	s_and_b32 s6, vcc_lo, s0
	v_lshlrev_b64 v[8:9], 3, v[8:9]
	v_cndmask_b32_e64 v12, 0, 1, s2
	v_add_co_u32 v14, s1, s3, v8
	v_add_co_ci_u32_e64 v15, null, s5, v9, s1
	s_and_saveexec_b32 s1, s6
	s_cbranch_execz .LBB209_16
; %bb.13:
	v_mul_f64 v[8:9], s[14:15], v[10:11]
	v_lshlrev_b64 v[10:11], 3, v[0:1]
	v_add_co_u32 v10, vcc_lo, v14, v10
	v_add_co_ci_u32_e64 v11, null, v15, v11, vcc_lo
	s_andn2_b32 vcc_lo, exec_lo, s2
	s_cbranch_vccnz .LBB209_15
; %bb.14:
	global_load_dwordx2 v[16:17], v[10:11], off
	s_waitcnt vmcnt(0)
	v_fma_f64 v[8:9], s[36:37], v[16:17], v[8:9]
.LBB209_15:
	global_store_dwordx2 v[10:11], v[8:9], off
.LBB209_16:
	s_or_b32 exec_lo, exec_lo, s1
	v_add_nc_u32_e32 v8, 16, v0
	v_cmp_le_i32_e32 vcc_lo, v13, v8
	v_cmp_gt_i32_e64 s1, s4, v8
	v_ashrrev_i32_e32 v9, 31, v8
	s_and_b32 s2, vcc_lo, s1
	s_and_saveexec_b32 s4, s2
	s_cbranch_execz .LBB209_20
; %bb.17:
	v_mul_f64 v[6:7], s[14:15], v[6:7]
	v_lshlrev_b64 v[10:11], 3, v[8:9]
	v_cmp_ne_u32_e32 vcc_lo, 1, v12
	v_add_co_u32 v10, s2, v14, v10
	v_add_co_ci_u32_e64 v11, null, v15, v11, s2
	s_cbranch_vccnz .LBB209_19
; %bb.18:
	global_load_dwordx2 v[14:15], v[10:11], off
	s_waitcnt vmcnt(0)
	v_fma_f64 v[6:7], s[36:37], v[14:15], v[6:7]
.LBB209_19:
	global_store_dwordx2 v[10:11], v[6:7], off
.LBB209_20:
	s_or_b32 exec_lo, exec_lo, s4
	v_add_nc_u32_e32 v10, 16, v13
	v_ashrrev_i32_e32 v11, 31, v10
	v_mul_lo_u32 v13, s41, v10
	v_mad_u64_u32 v[6:7], null, s40, v10, 0
	v_cmp_le_i32_e32 vcc_lo, v10, v0
	v_mul_lo_u32 v11, s40, v11
	s_and_b32 s0, vcc_lo, s0
	v_add3_u32 v7, v7, v11, v13
	v_lshlrev_b64 v[6:7], 3, v[6:7]
	v_add_co_u32 v6, s2, s3, v6
	v_add_co_ci_u32_e64 v7, null, s5, v7, s2
	s_and_saveexec_b32 s2, s0
	s_cbranch_execz .LBB209_24
; %bb.21:
	v_mul_f64 v[4:5], s[14:15], v[4:5]
	v_lshlrev_b64 v[0:1], 3, v[0:1]
	v_cmp_ne_u32_e32 vcc_lo, 1, v12
	v_add_co_u32 v0, s0, v6, v0
	v_add_co_ci_u32_e64 v1, null, v7, v1, s0
	s_cbranch_vccnz .LBB209_23
; %bb.22:
	global_load_dwordx2 v[13:14], v[0:1], off
	s_waitcnt vmcnt(0)
	v_fma_f64 v[4:5], s[36:37], v[13:14], v[4:5]
.LBB209_23:
	global_store_dwordx2 v[0:1], v[4:5], off
.LBB209_24:
	s_or_b32 exec_lo, exec_lo, s2
	v_cmp_le_i32_e32 vcc_lo, v10, v8
	s_and_b32 s0, vcc_lo, s1
	s_and_saveexec_b32 s1, s0
	s_cbranch_execz .LBB209_28
; %bb.25:
	v_mul_f64 v[0:1], s[14:15], v[2:3]
	v_lshlrev_b64 v[2:3], 3, v[8:9]
	v_cmp_ne_u32_e32 vcc_lo, 1, v12
	v_add_co_u32 v2, s0, v6, v2
	v_add_co_ci_u32_e64 v3, null, v7, v3, s0
	s_cbranch_vccnz .LBB209_27
; %bb.26:
	global_load_dwordx2 v[4:5], v[2:3], off
	s_waitcnt vmcnt(0)
	v_fma_f64 v[0:1], s[36:37], v[4:5], v[0:1]
.LBB209_27:
	global_store_dwordx2 v[2:3], v[0:1], off
.LBB209_28:
	s_endpgm
	.section	.rodata,"a",@progbits
	.p2align	6, 0x0
	.amdhsa_kernel _ZL29rocblas_internal_gemmt_kernelIlLi16ELi32ELi8ELc78ELc67ELc76ELb0ELb0EddPKdPdEviT_T9_T10_S3_lS5_S3_lS4_T11_S3_li
		.amdhsa_group_segment_fixed_size 4096
		.amdhsa_private_segment_fixed_size 0
		.amdhsa_kernarg_size 108
		.amdhsa_user_sgpr_count 6
		.amdhsa_user_sgpr_private_segment_buffer 1
		.amdhsa_user_sgpr_dispatch_ptr 0
		.amdhsa_user_sgpr_queue_ptr 0
		.amdhsa_user_sgpr_kernarg_segment_ptr 1
		.amdhsa_user_sgpr_dispatch_id 0
		.amdhsa_user_sgpr_flat_scratch_init 0
		.amdhsa_user_sgpr_private_segment_size 0
		.amdhsa_wavefront_size32 1
		.amdhsa_uses_dynamic_stack 0
		.amdhsa_system_sgpr_private_segment_wavefront_offset 0
		.amdhsa_system_sgpr_workgroup_id_x 1
		.amdhsa_system_sgpr_workgroup_id_y 1
		.amdhsa_system_sgpr_workgroup_id_z 1
		.amdhsa_system_sgpr_workgroup_info 0
		.amdhsa_system_vgpr_workitem_id 1
		.amdhsa_next_free_vgpr 46
		.amdhsa_next_free_sgpr 44
		.amdhsa_reserve_vcc 1
		.amdhsa_reserve_flat_scratch 0
		.amdhsa_float_round_mode_32 0
		.amdhsa_float_round_mode_16_64 0
		.amdhsa_float_denorm_mode_32 3
		.amdhsa_float_denorm_mode_16_64 3
		.amdhsa_dx10_clamp 1
		.amdhsa_ieee_mode 1
		.amdhsa_fp16_overflow 0
		.amdhsa_workgroup_processor_mode 1
		.amdhsa_memory_ordered 1
		.amdhsa_forward_progress 1
		.amdhsa_shared_vgpr_count 0
		.amdhsa_exception_fp_ieee_invalid_op 0
		.amdhsa_exception_fp_denorm_src 0
		.amdhsa_exception_fp_ieee_div_zero 0
		.amdhsa_exception_fp_ieee_overflow 0
		.amdhsa_exception_fp_ieee_underflow 0
		.amdhsa_exception_fp_ieee_inexact 0
		.amdhsa_exception_int_div_zero 0
	.end_amdhsa_kernel
	.section	.text._ZL29rocblas_internal_gemmt_kernelIlLi16ELi32ELi8ELc78ELc67ELc76ELb0ELb0EddPKdPdEviT_T9_T10_S3_lS5_S3_lS4_T11_S3_li,"axG",@progbits,_ZL29rocblas_internal_gemmt_kernelIlLi16ELi32ELi8ELc78ELc67ELc76ELb0ELb0EddPKdPdEviT_T9_T10_S3_lS5_S3_lS4_T11_S3_li,comdat
.Lfunc_end209:
	.size	_ZL29rocblas_internal_gemmt_kernelIlLi16ELi32ELi8ELc78ELc67ELc76ELb0ELb0EddPKdPdEviT_T9_T10_S3_lS5_S3_lS4_T11_S3_li, .Lfunc_end209-_ZL29rocblas_internal_gemmt_kernelIlLi16ELi32ELi8ELc78ELc67ELc76ELb0ELb0EddPKdPdEviT_T9_T10_S3_lS5_S3_lS4_T11_S3_li
                                        ; -- End function
	.set _ZL29rocblas_internal_gemmt_kernelIlLi16ELi32ELi8ELc78ELc67ELc76ELb0ELb0EddPKdPdEviT_T9_T10_S3_lS5_S3_lS4_T11_S3_li.num_vgpr, 46
	.set _ZL29rocblas_internal_gemmt_kernelIlLi16ELi32ELi8ELc78ELc67ELc76ELb0ELb0EddPKdPdEviT_T9_T10_S3_lS5_S3_lS4_T11_S3_li.num_agpr, 0
	.set _ZL29rocblas_internal_gemmt_kernelIlLi16ELi32ELi8ELc78ELc67ELc76ELb0ELb0EddPKdPdEviT_T9_T10_S3_lS5_S3_lS4_T11_S3_li.numbered_sgpr, 44
	.set _ZL29rocblas_internal_gemmt_kernelIlLi16ELi32ELi8ELc78ELc67ELc76ELb0ELb0EddPKdPdEviT_T9_T10_S3_lS5_S3_lS4_T11_S3_li.num_named_barrier, 0
	.set _ZL29rocblas_internal_gemmt_kernelIlLi16ELi32ELi8ELc78ELc67ELc76ELb0ELb0EddPKdPdEviT_T9_T10_S3_lS5_S3_lS4_T11_S3_li.private_seg_size, 0
	.set _ZL29rocblas_internal_gemmt_kernelIlLi16ELi32ELi8ELc78ELc67ELc76ELb0ELb0EddPKdPdEviT_T9_T10_S3_lS5_S3_lS4_T11_S3_li.uses_vcc, 1
	.set _ZL29rocblas_internal_gemmt_kernelIlLi16ELi32ELi8ELc78ELc67ELc76ELb0ELb0EddPKdPdEviT_T9_T10_S3_lS5_S3_lS4_T11_S3_li.uses_flat_scratch, 0
	.set _ZL29rocblas_internal_gemmt_kernelIlLi16ELi32ELi8ELc78ELc67ELc76ELb0ELb0EddPKdPdEviT_T9_T10_S3_lS5_S3_lS4_T11_S3_li.has_dyn_sized_stack, 0
	.set _ZL29rocblas_internal_gemmt_kernelIlLi16ELi32ELi8ELc78ELc67ELc76ELb0ELb0EddPKdPdEviT_T9_T10_S3_lS5_S3_lS4_T11_S3_li.has_recursion, 0
	.set _ZL29rocblas_internal_gemmt_kernelIlLi16ELi32ELi8ELc78ELc67ELc76ELb0ELb0EddPKdPdEviT_T9_T10_S3_lS5_S3_lS4_T11_S3_li.has_indirect_call, 0
	.section	.AMDGPU.csdata,"",@progbits
; Kernel info:
; codeLenInByte = 1640
; TotalNumSgprs: 46
; NumVgprs: 46
; ScratchSize: 0
; MemoryBound: 0
; FloatMode: 240
; IeeeMode: 1
; LDSByteSize: 4096 bytes/workgroup (compile time only)
; SGPRBlocks: 0
; VGPRBlocks: 5
; NumSGPRsForWavesPerEU: 46
; NumVGPRsForWavesPerEU: 46
; Occupancy: 16
; WaveLimiterHint : 0
; COMPUTE_PGM_RSRC2:SCRATCH_EN: 0
; COMPUTE_PGM_RSRC2:USER_SGPR: 6
; COMPUTE_PGM_RSRC2:TRAP_HANDLER: 0
; COMPUTE_PGM_RSRC2:TGID_X_EN: 1
; COMPUTE_PGM_RSRC2:TGID_Y_EN: 1
; COMPUTE_PGM_RSRC2:TGID_Z_EN: 1
; COMPUTE_PGM_RSRC2:TIDIG_COMP_CNT: 1
	.section	.text._ZL29rocblas_internal_gemmt_kernelIlLi16ELi32ELi8ELc84ELc78ELc76ELb0ELb0EddPKdPdEviT_T9_T10_S3_lS5_S3_lS4_T11_S3_li,"axG",@progbits,_ZL29rocblas_internal_gemmt_kernelIlLi16ELi32ELi8ELc84ELc78ELc76ELb0ELb0EddPKdPdEviT_T9_T10_S3_lS5_S3_lS4_T11_S3_li,comdat
	.globl	_ZL29rocblas_internal_gemmt_kernelIlLi16ELi32ELi8ELc84ELc78ELc76ELb0ELb0EddPKdPdEviT_T9_T10_S3_lS5_S3_lS4_T11_S3_li ; -- Begin function _ZL29rocblas_internal_gemmt_kernelIlLi16ELi32ELi8ELc84ELc78ELc76ELb0ELb0EddPKdPdEviT_T9_T10_S3_lS5_S3_lS4_T11_S3_li
	.p2align	8
	.type	_ZL29rocblas_internal_gemmt_kernelIlLi16ELi32ELi8ELc84ELc78ELc76ELb0ELb0EddPKdPdEviT_T9_T10_S3_lS5_S3_lS4_T11_S3_li,@function
_ZL29rocblas_internal_gemmt_kernelIlLi16ELi32ELi8ELc84ELc78ELc76ELb0ELb0EddPKdPdEviT_T9_T10_S3_lS5_S3_lS4_T11_S3_li: ; @_ZL29rocblas_internal_gemmt_kernelIlLi16ELi32ELi8ELc84ELc78ELc76ELb0ELb0EddPKdPdEviT_T9_T10_S3_lS5_S3_lS4_T11_S3_li
; %bb.0:
	s_clause 0x1
	s_load_dwordx8 s[36:43], s[4:5], 0x48
	s_load_dwordx16 s[12:27], s[4:5], 0x8
	s_waitcnt lgkmcnt(0)
	v_cmp_neq_f64_e64 s0, s[36:37], 1.0
	s_and_b32 vcc_lo, exec_lo, s0
	s_cbranch_vccnz .LBB210_2
; %bb.1:
	v_cmp_neq_f64_e64 s0, s[14:15], 0
	s_cmp_lg_u64 s[12:13], 0
	s_cselect_b32 s1, -1, 0
	s_and_b32 s0, s1, s0
.LBB210_2:
	s_andn2_b32 vcc_lo, exec_lo, s0
	s_cbranch_vccnz .LBB210_28
; %bb.3:
	v_cmp_eq_f64_e64 s0, s[14:15], 0
	s_load_dword s4, s[4:5], 0x0
	v_cmp_lt_i64_e64 s1, s[12:13], 1
	v_mov_b32_e32 v10, 0
	v_mov_b32_e32 v6, 0
	;; [unrolled: 1-line block ×8, first 2 shown]
	s_lshl_b32 s5, s6, 5
	s_lshl_b32 s6, s7, 5
	s_or_b32 s0, s0, s1
	s_and_b32 vcc_lo, exec_lo, s0
	s_cbranch_vccnz .LBB210_12
; %bb.4:
	v_lshl_add_u32 v6, v1, 4, v0
	s_mul_i32 s1, s27, s8
	s_mul_hi_u32 s2, s26, s8
	s_mul_i32 s0, s26, s8
	s_add_i32 s1, s2, s1
	v_lshrrev_b32_e32 v7, 3, v6
	v_and_b32_e32 v8, 31, v6
	s_lshl_b64 s[0:1], s[0:1], 3
	s_mul_hi_u32 s3, s20, s8
	s_add_u32 s2, s22, s0
	v_add_nc_u32_e32 v9, s6, v7
	v_or_b32_e32 v10, s5, v8
	s_mul_i32 s0, s21, s8
	s_addc_u32 s7, s23, s1
	s_add_i32 s1, s3, s0
	v_ashrrev_i32_e32 v4, 31, v9
	s_mul_i32 s0, s20, s8
	v_mul_lo_u32 v11, s19, v10
	v_mad_u64_u32 v[2:3], null, s18, v10, 0
	s_lshl_b64 s[0:1], s[0:1], 3
	v_mul_lo_u32 v12, s24, v4
	v_mul_lo_u32 v13, s25, v9
	v_mad_u64_u32 v[4:5], null, s24, v9, 0
	s_add_u32 s3, s16, s0
	s_addc_u32 s1, s17, s1
	s_ashr_i32 s0, s5, 31
	v_and_b32_e32 v16, 7, v0
	s_mul_i32 s0, s18, s0
	v_lshrrev_b32_e32 v17, 5, v6
	v_add3_u32 v3, v3, s0, v11
	v_add3_u32 v5, v5, v12, v13
	v_lshlrev_b32_e32 v6, 3, v8
	v_lshlrev_b32_e32 v8, 3, v16
	s_waitcnt lgkmcnt(0)
	v_cmp_gt_i32_e64 s0, s4, v10
	v_lshlrev_b64 v[2:3], 3, v[2:3]
	v_lshlrev_b64 v[4:5], 3, v[4:5]
	v_lshl_or_b32 v18, v17, 8, v6
	v_lshl_or_b32 v6, v7, 6, v8
	v_mov_b32_e32 v10, 0
	v_lshlrev_b32_e32 v24, 3, v0
	v_add_co_u32 v19, vcc_lo, s3, v2
	v_add_co_ci_u32_e64 v20, null, s1, v3, vcc_lo
	v_add_co_u32 v22, vcc_lo, s2, v4
	v_add_nc_u32_e32 v21, 0x800, v6
	v_add_co_ci_u32_e64 v23, null, s7, v5, vcc_lo
	v_mov_b32_e32 v2, 0
	v_mov_b32_e32 v4, 0
	;; [unrolled: 1-line block ×3, first 2 shown]
	v_cmp_gt_i32_e64 s1, s4, v9
	v_lshl_add_u32 v25, v1, 6, 0x800
	v_mov_b32_e32 v3, 0
	v_mov_b32_e32 v5, 0
	;; [unrolled: 1-line block ×5, first 2 shown]
	s_mov_b64 s[2:3], 0
	s_branch .LBB210_6
.LBB210_5:                              ;   in Loop: Header=BB210_6 Depth=1
	s_or_b32 exec_lo, exec_lo, s7
	s_waitcnt vmcnt(0)
	ds_write_b64 v21, v[14:15]
	s_waitcnt lgkmcnt(0)
	s_barrier
	buffer_gl0_inv
	ds_read_b128 v[12:15], v25
	ds_read2_b64 v[26:29], v24 offset1:16
	ds_read_b128 v[30:33], v25 offset:1024
	ds_read_b128 v[34:37], v25 offset:16
	ds_read2_b64 v[38:41], v24 offset0:32 offset1:48
	ds_read_b128 v[42:45], v25 offset:1040
	s_add_u32 s2, s2, 8
	s_addc_u32 s3, s3, 0
	v_cmp_gt_i64_e64 s7, s[12:13], s[2:3]
	s_and_b32 vcc_lo, exec_lo, s7
	s_waitcnt lgkmcnt(4)
	v_fma_f64 v[10:11], v[26:27], v[12:13], v[10:11]
	v_fma_f64 v[6:7], v[28:29], v[12:13], v[6:7]
	s_waitcnt lgkmcnt(3)
	v_fma_f64 v[12:13], v[26:27], v[30:31], v[4:5]
	v_fma_f64 v[26:27], v[28:29], v[30:31], v[2:3]
	ds_read2_b64 v[2:5], v24 offset0:64 offset1:80
	s_waitcnt lgkmcnt(2)
	v_fma_f64 v[28:29], v[38:39], v[14:15], v[10:11]
	v_fma_f64 v[6:7], v[40:41], v[14:15], v[6:7]
	;; [unrolled: 1-line block ×4, first 2 shown]
	ds_read2_b64 v[10:13], v24 offset0:96 offset1:112
	s_waitcnt lgkmcnt(1)
	v_fma_f64 v[30:31], v[2:3], v[34:35], v[28:29]
	v_fma_f64 v[6:7], v[4:5], v[34:35], v[6:7]
	v_fma_f64 v[14:15], v[2:3], v[42:43], v[14:15]
	v_fma_f64 v[32:33], v[4:5], v[42:43], v[26:27]
	ds_read_b128 v[2:5], v25 offset:32
	ds_read2_b64 v[26:29], v24 offset0:128 offset1:144
	s_waitcnt lgkmcnt(2)
	v_fma_f64 v[42:43], v[10:11], v[36:37], v[30:31]
	v_fma_f64 v[6:7], v[12:13], v[36:37], v[6:7]
	;; [unrolled: 1-line block ×4, first 2 shown]
	ds_read_b128 v[10:13], v25 offset:1056
	ds_read_b128 v[30:33], v25 offset:48
	ds_read2_b64 v[34:37], v24 offset0:160 offset1:176
	ds_read_b128 v[38:41], v25 offset:1072
	s_waitcnt lgkmcnt(4)
	v_fma_f64 v[42:43], v[26:27], v[2:3], v[42:43]
	v_fma_f64 v[2:3], v[28:29], v[2:3], v[6:7]
	s_waitcnt lgkmcnt(3)
	v_fma_f64 v[6:7], v[26:27], v[10:11], v[14:15]
	v_fma_f64 v[10:11], v[28:29], v[10:11], v[44:45]
	ds_read2_b64 v[26:29], v24 offset0:192 offset1:208
	s_waitcnt lgkmcnt(2)
	v_fma_f64 v[42:43], v[34:35], v[4:5], v[42:43]
	v_fma_f64 v[2:3], v[36:37], v[4:5], v[2:3]
	v_fma_f64 v[4:5], v[34:35], v[12:13], v[6:7]
	v_fma_f64 v[6:7], v[36:37], v[12:13], v[10:11]
	ds_read2_b64 v[12:15], v24 offset0:224 offset1:240
	s_waitcnt lgkmcnt(0)
	s_barrier
	buffer_gl0_inv
	v_fma_f64 v[10:11], v[26:27], v[30:31], v[42:43]
	v_fma_f64 v[2:3], v[28:29], v[30:31], v[2:3]
	v_fma_f64 v[4:5], v[26:27], v[38:39], v[4:5]
	v_fma_f64 v[26:27], v[28:29], v[38:39], v[6:7]
	v_fma_f64 v[10:11], v[12:13], v[32:33], v[10:11]
	v_fma_f64 v[6:7], v[14:15], v[32:33], v[2:3]
	v_fma_f64 v[4:5], v[12:13], v[40:41], v[4:5]
	v_fma_f64 v[2:3], v[14:15], v[40:41], v[26:27]
	s_cbranch_vccz .LBB210_12
.LBB210_6:                              ; =>This Inner Loop Header: Depth=1
	v_mov_b32_e32 v12, 0
	v_mov_b32_e32 v13, 0
	s_and_saveexec_b32 s7, s0
	s_cbranch_execz .LBB210_10
; %bb.7:                                ;   in Loop: Header=BB210_6 Depth=1
	v_mov_b32_e32 v12, 0
	v_add_nc_u32_e32 v8, s2, v17
	v_mov_b32_e32 v13, 0
	s_mov_b32 s9, exec_lo
	v_cmpx_gt_u64_e64 s[12:13], v[8:9]
	s_cbranch_execz .LBB210_9
; %bb.8:                                ;   in Loop: Header=BB210_6 Depth=1
	v_lshlrev_b64 v[12:13], 3, v[8:9]
	v_add_co_u32 v12, vcc_lo, v19, v12
	v_add_co_ci_u32_e64 v13, null, v20, v13, vcc_lo
	global_load_dwordx2 v[12:13], v[12:13], off
.LBB210_9:                              ;   in Loop: Header=BB210_6 Depth=1
	s_or_b32 exec_lo, exec_lo, s9
.LBB210_10:                             ;   in Loop: Header=BB210_6 Depth=1
	s_or_b32 exec_lo, exec_lo, s7
	v_add_nc_u32_e32 v8, s2, v16
	v_mov_b32_e32 v14, 0
	v_mov_b32_e32 v15, 0
	s_waitcnt vmcnt(0)
	ds_write_b64 v18, v[12:13]
	v_cmp_gt_u64_e32 vcc_lo, s[12:13], v[8:9]
	s_and_b32 s9, vcc_lo, s1
	s_and_saveexec_b32 s7, s9
	s_cbranch_execz .LBB210_5
; %bb.11:                               ;   in Loop: Header=BB210_6 Depth=1
	v_lshlrev_b64 v[12:13], 3, v[8:9]
	v_add_co_u32 v12, vcc_lo, v22, v12
	v_add_co_ci_u32_e64 v13, null, v23, v13, vcc_lo
	global_load_dwordx2 v[14:15], v[12:13], off
	s_branch .LBB210_5
.LBB210_12:
	v_add_nc_u32_e32 v13, s6, v1
	s_mul_i32 s1, s43, s8
	s_mul_hi_u32 s2, s42, s8
	s_mul_i32 s0, s42, s8
	s_add_i32 s1, s2, s1
	v_ashrrev_i32_e32 v1, 31, v13
	v_cmp_neq_f64_e64 s2, s[36:37], 0
	v_mul_lo_u32 v12, s41, v13
	v_mad_u64_u32 v[8:9], null, s40, v13, 0
	v_mul_lo_u32 v1, s40, v1
	v_add_nc_u32_e32 v0, s5, v0
	s_lshl_b64 s[6:7], s[0:1], 3
	s_add_u32 s3, s38, s6
	s_addc_u32 s5, s39, s7
	v_cmp_le_i32_e32 vcc_lo, v13, v0
	s_waitcnt lgkmcnt(0)
	v_cmp_gt_i32_e64 s0, s4, v0
	v_add3_u32 v9, v9, v1, v12
	v_ashrrev_i32_e32 v1, 31, v0
	s_and_b32 s6, vcc_lo, s0
	v_lshlrev_b64 v[8:9], 3, v[8:9]
	v_cndmask_b32_e64 v12, 0, 1, s2
	v_add_co_u32 v14, s1, s3, v8
	v_add_co_ci_u32_e64 v15, null, s5, v9, s1
	s_and_saveexec_b32 s1, s6
	s_cbranch_execz .LBB210_16
; %bb.13:
	v_mul_f64 v[8:9], s[14:15], v[10:11]
	v_lshlrev_b64 v[10:11], 3, v[0:1]
	v_add_co_u32 v10, vcc_lo, v14, v10
	v_add_co_ci_u32_e64 v11, null, v15, v11, vcc_lo
	s_andn2_b32 vcc_lo, exec_lo, s2
	s_cbranch_vccnz .LBB210_15
; %bb.14:
	global_load_dwordx2 v[16:17], v[10:11], off
	s_waitcnt vmcnt(0)
	v_fma_f64 v[8:9], s[36:37], v[16:17], v[8:9]
.LBB210_15:
	global_store_dwordx2 v[10:11], v[8:9], off
.LBB210_16:
	s_or_b32 exec_lo, exec_lo, s1
	v_add_nc_u32_e32 v8, 16, v0
	v_cmp_le_i32_e32 vcc_lo, v13, v8
	v_cmp_gt_i32_e64 s1, s4, v8
	v_ashrrev_i32_e32 v9, 31, v8
	s_and_b32 s2, vcc_lo, s1
	s_and_saveexec_b32 s4, s2
	s_cbranch_execz .LBB210_20
; %bb.17:
	v_mul_f64 v[6:7], s[14:15], v[6:7]
	v_lshlrev_b64 v[10:11], 3, v[8:9]
	v_cmp_ne_u32_e32 vcc_lo, 1, v12
	v_add_co_u32 v10, s2, v14, v10
	v_add_co_ci_u32_e64 v11, null, v15, v11, s2
	s_cbranch_vccnz .LBB210_19
; %bb.18:
	global_load_dwordx2 v[14:15], v[10:11], off
	s_waitcnt vmcnt(0)
	v_fma_f64 v[6:7], s[36:37], v[14:15], v[6:7]
.LBB210_19:
	global_store_dwordx2 v[10:11], v[6:7], off
.LBB210_20:
	s_or_b32 exec_lo, exec_lo, s4
	v_add_nc_u32_e32 v10, 16, v13
	v_ashrrev_i32_e32 v11, 31, v10
	v_mul_lo_u32 v13, s41, v10
	v_mad_u64_u32 v[6:7], null, s40, v10, 0
	v_cmp_le_i32_e32 vcc_lo, v10, v0
	v_mul_lo_u32 v11, s40, v11
	s_and_b32 s0, vcc_lo, s0
	v_add3_u32 v7, v7, v11, v13
	v_lshlrev_b64 v[6:7], 3, v[6:7]
	v_add_co_u32 v6, s2, s3, v6
	v_add_co_ci_u32_e64 v7, null, s5, v7, s2
	s_and_saveexec_b32 s2, s0
	s_cbranch_execz .LBB210_24
; %bb.21:
	v_mul_f64 v[4:5], s[14:15], v[4:5]
	v_lshlrev_b64 v[0:1], 3, v[0:1]
	v_cmp_ne_u32_e32 vcc_lo, 1, v12
	v_add_co_u32 v0, s0, v6, v0
	v_add_co_ci_u32_e64 v1, null, v7, v1, s0
	s_cbranch_vccnz .LBB210_23
; %bb.22:
	global_load_dwordx2 v[13:14], v[0:1], off
	s_waitcnt vmcnt(0)
	v_fma_f64 v[4:5], s[36:37], v[13:14], v[4:5]
.LBB210_23:
	global_store_dwordx2 v[0:1], v[4:5], off
.LBB210_24:
	s_or_b32 exec_lo, exec_lo, s2
	v_cmp_le_i32_e32 vcc_lo, v10, v8
	s_and_b32 s0, vcc_lo, s1
	s_and_saveexec_b32 s1, s0
	s_cbranch_execz .LBB210_28
; %bb.25:
	v_mul_f64 v[0:1], s[14:15], v[2:3]
	v_lshlrev_b64 v[2:3], 3, v[8:9]
	v_cmp_ne_u32_e32 vcc_lo, 1, v12
	v_add_co_u32 v2, s0, v6, v2
	v_add_co_ci_u32_e64 v3, null, v7, v3, s0
	s_cbranch_vccnz .LBB210_27
; %bb.26:
	global_load_dwordx2 v[4:5], v[2:3], off
	s_waitcnt vmcnt(0)
	v_fma_f64 v[0:1], s[36:37], v[4:5], v[0:1]
.LBB210_27:
	global_store_dwordx2 v[2:3], v[0:1], off
.LBB210_28:
	s_endpgm
	.section	.rodata,"a",@progbits
	.p2align	6, 0x0
	.amdhsa_kernel _ZL29rocblas_internal_gemmt_kernelIlLi16ELi32ELi8ELc84ELc78ELc76ELb0ELb0EddPKdPdEviT_T9_T10_S3_lS5_S3_lS4_T11_S3_li
		.amdhsa_group_segment_fixed_size 4096
		.amdhsa_private_segment_fixed_size 0
		.amdhsa_kernarg_size 108
		.amdhsa_user_sgpr_count 6
		.amdhsa_user_sgpr_private_segment_buffer 1
		.amdhsa_user_sgpr_dispatch_ptr 0
		.amdhsa_user_sgpr_queue_ptr 0
		.amdhsa_user_sgpr_kernarg_segment_ptr 1
		.amdhsa_user_sgpr_dispatch_id 0
		.amdhsa_user_sgpr_flat_scratch_init 0
		.amdhsa_user_sgpr_private_segment_size 0
		.amdhsa_wavefront_size32 1
		.amdhsa_uses_dynamic_stack 0
		.amdhsa_system_sgpr_private_segment_wavefront_offset 0
		.amdhsa_system_sgpr_workgroup_id_x 1
		.amdhsa_system_sgpr_workgroup_id_y 1
		.amdhsa_system_sgpr_workgroup_id_z 1
		.amdhsa_system_sgpr_workgroup_info 0
		.amdhsa_system_vgpr_workitem_id 1
		.amdhsa_next_free_vgpr 46
		.amdhsa_next_free_sgpr 44
		.amdhsa_reserve_vcc 1
		.amdhsa_reserve_flat_scratch 0
		.amdhsa_float_round_mode_32 0
		.amdhsa_float_round_mode_16_64 0
		.amdhsa_float_denorm_mode_32 3
		.amdhsa_float_denorm_mode_16_64 3
		.amdhsa_dx10_clamp 1
		.amdhsa_ieee_mode 1
		.amdhsa_fp16_overflow 0
		.amdhsa_workgroup_processor_mode 1
		.amdhsa_memory_ordered 1
		.amdhsa_forward_progress 1
		.amdhsa_shared_vgpr_count 0
		.amdhsa_exception_fp_ieee_invalid_op 0
		.amdhsa_exception_fp_denorm_src 0
		.amdhsa_exception_fp_ieee_div_zero 0
		.amdhsa_exception_fp_ieee_overflow 0
		.amdhsa_exception_fp_ieee_underflow 0
		.amdhsa_exception_fp_ieee_inexact 0
		.amdhsa_exception_int_div_zero 0
	.end_amdhsa_kernel
	.section	.text._ZL29rocblas_internal_gemmt_kernelIlLi16ELi32ELi8ELc84ELc78ELc76ELb0ELb0EddPKdPdEviT_T9_T10_S3_lS5_S3_lS4_T11_S3_li,"axG",@progbits,_ZL29rocblas_internal_gemmt_kernelIlLi16ELi32ELi8ELc84ELc78ELc76ELb0ELb0EddPKdPdEviT_T9_T10_S3_lS5_S3_lS4_T11_S3_li,comdat
.Lfunc_end210:
	.size	_ZL29rocblas_internal_gemmt_kernelIlLi16ELi32ELi8ELc84ELc78ELc76ELb0ELb0EddPKdPdEviT_T9_T10_S3_lS5_S3_lS4_T11_S3_li, .Lfunc_end210-_ZL29rocblas_internal_gemmt_kernelIlLi16ELi32ELi8ELc84ELc78ELc76ELb0ELb0EddPKdPdEviT_T9_T10_S3_lS5_S3_lS4_T11_S3_li
                                        ; -- End function
	.set _ZL29rocblas_internal_gemmt_kernelIlLi16ELi32ELi8ELc84ELc78ELc76ELb0ELb0EddPKdPdEviT_T9_T10_S3_lS5_S3_lS4_T11_S3_li.num_vgpr, 46
	.set _ZL29rocblas_internal_gemmt_kernelIlLi16ELi32ELi8ELc84ELc78ELc76ELb0ELb0EddPKdPdEviT_T9_T10_S3_lS5_S3_lS4_T11_S3_li.num_agpr, 0
	.set _ZL29rocblas_internal_gemmt_kernelIlLi16ELi32ELi8ELc84ELc78ELc76ELb0ELb0EddPKdPdEviT_T9_T10_S3_lS5_S3_lS4_T11_S3_li.numbered_sgpr, 44
	.set _ZL29rocblas_internal_gemmt_kernelIlLi16ELi32ELi8ELc84ELc78ELc76ELb0ELb0EddPKdPdEviT_T9_T10_S3_lS5_S3_lS4_T11_S3_li.num_named_barrier, 0
	.set _ZL29rocblas_internal_gemmt_kernelIlLi16ELi32ELi8ELc84ELc78ELc76ELb0ELb0EddPKdPdEviT_T9_T10_S3_lS5_S3_lS4_T11_S3_li.private_seg_size, 0
	.set _ZL29rocblas_internal_gemmt_kernelIlLi16ELi32ELi8ELc84ELc78ELc76ELb0ELb0EddPKdPdEviT_T9_T10_S3_lS5_S3_lS4_T11_S3_li.uses_vcc, 1
	.set _ZL29rocblas_internal_gemmt_kernelIlLi16ELi32ELi8ELc84ELc78ELc76ELb0ELb0EddPKdPdEviT_T9_T10_S3_lS5_S3_lS4_T11_S3_li.uses_flat_scratch, 0
	.set _ZL29rocblas_internal_gemmt_kernelIlLi16ELi32ELi8ELc84ELc78ELc76ELb0ELb0EddPKdPdEviT_T9_T10_S3_lS5_S3_lS4_T11_S3_li.has_dyn_sized_stack, 0
	.set _ZL29rocblas_internal_gemmt_kernelIlLi16ELi32ELi8ELc84ELc78ELc76ELb0ELb0EddPKdPdEviT_T9_T10_S3_lS5_S3_lS4_T11_S3_li.has_recursion, 0
	.set _ZL29rocblas_internal_gemmt_kernelIlLi16ELi32ELi8ELc84ELc78ELc76ELb0ELb0EddPKdPdEviT_T9_T10_S3_lS5_S3_lS4_T11_S3_li.has_indirect_call, 0
	.section	.AMDGPU.csdata,"",@progbits
; Kernel info:
; codeLenInByte = 1668
; TotalNumSgprs: 46
; NumVgprs: 46
; ScratchSize: 0
; MemoryBound: 0
; FloatMode: 240
; IeeeMode: 1
; LDSByteSize: 4096 bytes/workgroup (compile time only)
; SGPRBlocks: 0
; VGPRBlocks: 5
; NumSGPRsForWavesPerEU: 46
; NumVGPRsForWavesPerEU: 46
; Occupancy: 16
; WaveLimiterHint : 0
; COMPUTE_PGM_RSRC2:SCRATCH_EN: 0
; COMPUTE_PGM_RSRC2:USER_SGPR: 6
; COMPUTE_PGM_RSRC2:TRAP_HANDLER: 0
; COMPUTE_PGM_RSRC2:TGID_X_EN: 1
; COMPUTE_PGM_RSRC2:TGID_Y_EN: 1
; COMPUTE_PGM_RSRC2:TGID_Z_EN: 1
; COMPUTE_PGM_RSRC2:TIDIG_COMP_CNT: 1
	.section	.text._ZL29rocblas_internal_gemmt_kernelIlLi16ELi32ELi8ELc84ELc84ELc76ELb0ELb0EddPKdPdEviT_T9_T10_S3_lS5_S3_lS4_T11_S3_li,"axG",@progbits,_ZL29rocblas_internal_gemmt_kernelIlLi16ELi32ELi8ELc84ELc84ELc76ELb0ELb0EddPKdPdEviT_T9_T10_S3_lS5_S3_lS4_T11_S3_li,comdat
	.globl	_ZL29rocblas_internal_gemmt_kernelIlLi16ELi32ELi8ELc84ELc84ELc76ELb0ELb0EddPKdPdEviT_T9_T10_S3_lS5_S3_lS4_T11_S3_li ; -- Begin function _ZL29rocblas_internal_gemmt_kernelIlLi16ELi32ELi8ELc84ELc84ELc76ELb0ELb0EddPKdPdEviT_T9_T10_S3_lS5_S3_lS4_T11_S3_li
	.p2align	8
	.type	_ZL29rocblas_internal_gemmt_kernelIlLi16ELi32ELi8ELc84ELc84ELc76ELb0ELb0EddPKdPdEviT_T9_T10_S3_lS5_S3_lS4_T11_S3_li,@function
_ZL29rocblas_internal_gemmt_kernelIlLi16ELi32ELi8ELc84ELc84ELc76ELb0ELb0EddPKdPdEviT_T9_T10_S3_lS5_S3_lS4_T11_S3_li: ; @_ZL29rocblas_internal_gemmt_kernelIlLi16ELi32ELi8ELc84ELc84ELc76ELb0ELb0EddPKdPdEviT_T9_T10_S3_lS5_S3_lS4_T11_S3_li
; %bb.0:
	s_clause 0x1
	s_load_dwordx8 s[36:43], s[4:5], 0x48
	s_load_dwordx16 s[12:27], s[4:5], 0x8
	s_waitcnt lgkmcnt(0)
	v_cmp_neq_f64_e64 s0, s[36:37], 1.0
	s_and_b32 vcc_lo, exec_lo, s0
	s_cbranch_vccnz .LBB211_2
; %bb.1:
	v_cmp_neq_f64_e64 s0, s[14:15], 0
	s_cmp_lg_u64 s[12:13], 0
	s_cselect_b32 s1, -1, 0
	s_and_b32 s0, s1, s0
.LBB211_2:
	s_andn2_b32 vcc_lo, exec_lo, s0
	s_cbranch_vccnz .LBB211_28
; %bb.3:
	v_cmp_eq_f64_e64 s0, s[14:15], 0
	s_load_dword s4, s[4:5], 0x0
	v_cmp_lt_i64_e64 s1, s[12:13], 1
	v_mov_b32_e32 v10, 0
	v_mov_b32_e32 v6, 0
	v_mov_b32_e32 v4, 0
	v_mov_b32_e32 v2, 0
	v_mov_b32_e32 v11, 0
	v_mov_b32_e32 v7, 0
	v_mov_b32_e32 v5, 0
	v_mov_b32_e32 v3, 0
	s_lshl_b32 s5, s6, 5
	s_lshl_b32 s6, s7, 5
	s_or_b32 s0, s0, s1
	s_and_b32 vcc_lo, exec_lo, s0
	s_cbranch_vccnz .LBB211_12
; %bb.4:
	v_lshl_add_u32 v5, v1, 4, v0
	s_mul_i32 s1, s27, s8
	s_mul_hi_u32 s2, s26, s8
	s_mul_i32 s0, s26, s8
	s_add_i32 s1, s2, s1
	v_and_b32_e32 v6, 31, v5
	s_lshl_b64 s[0:1], s[0:1], 3
	s_mul_i32 s2, s21, s8
	s_add_u32 s3, s22, s0
	s_addc_u32 s7, s23, s1
	v_or_b32_e32 v7, s5, v6
	s_mul_hi_u32 s1, s20, s8
	s_mul_i32 s0, s20, s8
	s_add_i32 s1, s1, s2
	v_lshrrev_b32_e32 v9, 3, v5
	v_mul_lo_u32 v8, s19, v7
	v_mad_u64_u32 v[2:3], null, s18, v7, 0
	s_lshl_b64 s[0:1], s[0:1], 3
	v_add_nc_u32_e32 v4, s6, v9
	s_add_u32 s2, s16, s0
	s_addc_u32 s1, s17, s1
	s_ashr_i32 s0, s5, 31
	v_and_b32_e32 v16, 7, v0
	s_mul_i32 s0, s18, s0
	v_lshrrev_b32_e32 v17, 5, v5
	v_add3_u32 v3, v3, s0, v8
	v_lshlrev_b32_e32 v6, 3, v6
	v_ashrrev_i32_e32 v5, 31, v4
	v_lshlrev_b32_e32 v8, 3, v16
	s_waitcnt lgkmcnt(0)
	v_cmp_gt_i32_e64 s0, s4, v7
	v_lshlrev_b64 v[2:3], 3, v[2:3]
	v_lshl_or_b32 v18, v17, 8, v6
	v_lshlrev_b64 v[5:6], 3, v[4:5]
	v_lshl_or_b32 v7, v9, 6, v8
	v_mov_b32_e32 v10, 0
	v_lshlrev_b32_e32 v24, 3, v0
	v_add_co_u32 v19, vcc_lo, s2, v2
	v_add_co_ci_u32_e64 v20, null, s1, v3, vcc_lo
	v_add_co_u32 v22, vcc_lo, s3, v5
	v_cmp_gt_i32_e64 s1, s4, v4
	v_add_nc_u32_e32 v21, 0x800, v7
	v_add_co_ci_u32_e64 v23, null, s7, v6, vcc_lo
	v_mov_b32_e32 v2, 0
	v_mov_b32_e32 v4, 0
	;; [unrolled: 1-line block ×3, first 2 shown]
	v_lshl_add_u32 v25, v1, 6, 0x800
	v_mov_b32_e32 v3, 0
	v_mov_b32_e32 v5, 0
	;; [unrolled: 1-line block ×5, first 2 shown]
	s_mov_b64 s[2:3], 0
	s_branch .LBB211_6
.LBB211_5:                              ;   in Loop: Header=BB211_6 Depth=1
	s_or_b32 exec_lo, exec_lo, s7
	s_waitcnt vmcnt(0)
	ds_write_b64 v21, v[14:15]
	s_waitcnt lgkmcnt(0)
	s_barrier
	buffer_gl0_inv
	ds_read_b128 v[12:15], v25
	ds_read2_b64 v[26:29], v24 offset1:16
	ds_read_b128 v[30:33], v25 offset:1024
	ds_read_b128 v[34:37], v25 offset:16
	ds_read2_b64 v[38:41], v24 offset0:32 offset1:48
	ds_read_b128 v[42:45], v25 offset:1040
	s_add_u32 s2, s2, 8
	s_addc_u32 s3, s3, 0
	v_cmp_gt_i64_e64 s7, s[12:13], s[2:3]
	s_and_b32 vcc_lo, exec_lo, s7
	s_waitcnt lgkmcnt(4)
	v_fma_f64 v[10:11], v[26:27], v[12:13], v[10:11]
	v_fma_f64 v[6:7], v[28:29], v[12:13], v[6:7]
	s_waitcnt lgkmcnt(3)
	v_fma_f64 v[12:13], v[26:27], v[30:31], v[4:5]
	v_fma_f64 v[26:27], v[28:29], v[30:31], v[2:3]
	ds_read2_b64 v[2:5], v24 offset0:64 offset1:80
	s_waitcnt lgkmcnt(2)
	v_fma_f64 v[28:29], v[38:39], v[14:15], v[10:11]
	v_fma_f64 v[6:7], v[40:41], v[14:15], v[6:7]
	;; [unrolled: 1-line block ×4, first 2 shown]
	ds_read2_b64 v[10:13], v24 offset0:96 offset1:112
	s_waitcnt lgkmcnt(1)
	v_fma_f64 v[30:31], v[2:3], v[34:35], v[28:29]
	v_fma_f64 v[6:7], v[4:5], v[34:35], v[6:7]
	v_fma_f64 v[14:15], v[2:3], v[42:43], v[14:15]
	v_fma_f64 v[32:33], v[4:5], v[42:43], v[26:27]
	ds_read_b128 v[2:5], v25 offset:32
	ds_read2_b64 v[26:29], v24 offset0:128 offset1:144
	s_waitcnt lgkmcnt(2)
	v_fma_f64 v[42:43], v[10:11], v[36:37], v[30:31]
	v_fma_f64 v[6:7], v[12:13], v[36:37], v[6:7]
	;; [unrolled: 1-line block ×4, first 2 shown]
	ds_read_b128 v[10:13], v25 offset:1056
	ds_read_b128 v[30:33], v25 offset:48
	ds_read2_b64 v[34:37], v24 offset0:160 offset1:176
	ds_read_b128 v[38:41], v25 offset:1072
	s_waitcnt lgkmcnt(4)
	v_fma_f64 v[42:43], v[26:27], v[2:3], v[42:43]
	v_fma_f64 v[2:3], v[28:29], v[2:3], v[6:7]
	s_waitcnt lgkmcnt(3)
	v_fma_f64 v[6:7], v[26:27], v[10:11], v[14:15]
	v_fma_f64 v[10:11], v[28:29], v[10:11], v[44:45]
	ds_read2_b64 v[26:29], v24 offset0:192 offset1:208
	s_waitcnt lgkmcnt(2)
	v_fma_f64 v[42:43], v[34:35], v[4:5], v[42:43]
	v_fma_f64 v[2:3], v[36:37], v[4:5], v[2:3]
	;; [unrolled: 1-line block ×4, first 2 shown]
	ds_read2_b64 v[12:15], v24 offset0:224 offset1:240
	s_waitcnt lgkmcnt(0)
	s_barrier
	buffer_gl0_inv
	v_fma_f64 v[10:11], v[26:27], v[30:31], v[42:43]
	v_fma_f64 v[2:3], v[28:29], v[30:31], v[2:3]
	;; [unrolled: 1-line block ×8, first 2 shown]
	s_cbranch_vccz .LBB211_12
.LBB211_6:                              ; =>This Inner Loop Header: Depth=1
	v_mov_b32_e32 v12, 0
	v_mov_b32_e32 v13, 0
	s_and_saveexec_b32 s7, s0
	s_cbranch_execz .LBB211_10
; %bb.7:                                ;   in Loop: Header=BB211_6 Depth=1
	v_mov_b32_e32 v12, 0
	v_add_nc_u32_e32 v8, s2, v17
	v_mov_b32_e32 v13, 0
	s_mov_b32 s9, exec_lo
	v_cmpx_gt_u64_e64 s[12:13], v[8:9]
	s_cbranch_execz .LBB211_9
; %bb.8:                                ;   in Loop: Header=BB211_6 Depth=1
	v_lshlrev_b64 v[12:13], 3, v[8:9]
	v_add_co_u32 v12, vcc_lo, v19, v12
	v_add_co_ci_u32_e64 v13, null, v20, v13, vcc_lo
	global_load_dwordx2 v[12:13], v[12:13], off
.LBB211_9:                              ;   in Loop: Header=BB211_6 Depth=1
	s_or_b32 exec_lo, exec_lo, s9
.LBB211_10:                             ;   in Loop: Header=BB211_6 Depth=1
	s_or_b32 exec_lo, exec_lo, s7
	v_add_nc_u32_e32 v8, s2, v16
	v_mov_b32_e32 v14, 0
	v_mov_b32_e32 v15, 0
	s_waitcnt vmcnt(0)
	ds_write_b64 v18, v[12:13]
	v_cmp_gt_u64_e32 vcc_lo, s[12:13], v[8:9]
	s_and_b32 s9, vcc_lo, s1
	s_and_saveexec_b32 s7, s9
	s_cbranch_execz .LBB211_5
; %bb.11:                               ;   in Loop: Header=BB211_6 Depth=1
	v_mad_u64_u32 v[12:13], null, s24, v8, 0
	v_mad_u64_u32 v[13:14], null, s25, v8, v[13:14]
	v_lshlrev_b64 v[12:13], 3, v[12:13]
	v_add_co_u32 v12, vcc_lo, v22, v12
	v_add_co_ci_u32_e64 v13, null, v23, v13, vcc_lo
	global_load_dwordx2 v[14:15], v[12:13], off
	s_branch .LBB211_5
.LBB211_12:
	v_add_nc_u32_e32 v13, s6, v1
	s_mul_i32 s1, s43, s8
	s_mul_hi_u32 s2, s42, s8
	s_mul_i32 s0, s42, s8
	s_add_i32 s1, s2, s1
	v_ashrrev_i32_e32 v1, 31, v13
	v_cmp_neq_f64_e64 s2, s[36:37], 0
	v_mul_lo_u32 v12, s41, v13
	v_mad_u64_u32 v[8:9], null, s40, v13, 0
	v_mul_lo_u32 v1, s40, v1
	v_add_nc_u32_e32 v0, s5, v0
	s_lshl_b64 s[6:7], s[0:1], 3
	s_add_u32 s3, s38, s6
	s_addc_u32 s5, s39, s7
	v_cmp_le_i32_e32 vcc_lo, v13, v0
	s_waitcnt lgkmcnt(0)
	v_cmp_gt_i32_e64 s0, s4, v0
	v_add3_u32 v9, v9, v1, v12
	v_ashrrev_i32_e32 v1, 31, v0
	s_and_b32 s6, vcc_lo, s0
	v_lshlrev_b64 v[8:9], 3, v[8:9]
	v_cndmask_b32_e64 v12, 0, 1, s2
	v_add_co_u32 v14, s1, s3, v8
	v_add_co_ci_u32_e64 v15, null, s5, v9, s1
	s_and_saveexec_b32 s1, s6
	s_cbranch_execz .LBB211_16
; %bb.13:
	v_mul_f64 v[8:9], s[14:15], v[10:11]
	v_lshlrev_b64 v[10:11], 3, v[0:1]
	v_add_co_u32 v10, vcc_lo, v14, v10
	v_add_co_ci_u32_e64 v11, null, v15, v11, vcc_lo
	s_andn2_b32 vcc_lo, exec_lo, s2
	s_cbranch_vccnz .LBB211_15
; %bb.14:
	global_load_dwordx2 v[16:17], v[10:11], off
	s_waitcnt vmcnt(0)
	v_fma_f64 v[8:9], s[36:37], v[16:17], v[8:9]
.LBB211_15:
	global_store_dwordx2 v[10:11], v[8:9], off
.LBB211_16:
	s_or_b32 exec_lo, exec_lo, s1
	v_add_nc_u32_e32 v8, 16, v0
	v_cmp_le_i32_e32 vcc_lo, v13, v8
	v_cmp_gt_i32_e64 s1, s4, v8
	v_ashrrev_i32_e32 v9, 31, v8
	s_and_b32 s2, vcc_lo, s1
	s_and_saveexec_b32 s4, s2
	s_cbranch_execz .LBB211_20
; %bb.17:
	v_mul_f64 v[6:7], s[14:15], v[6:7]
	v_lshlrev_b64 v[10:11], 3, v[8:9]
	v_cmp_ne_u32_e32 vcc_lo, 1, v12
	v_add_co_u32 v10, s2, v14, v10
	v_add_co_ci_u32_e64 v11, null, v15, v11, s2
	s_cbranch_vccnz .LBB211_19
; %bb.18:
	global_load_dwordx2 v[14:15], v[10:11], off
	s_waitcnt vmcnt(0)
	v_fma_f64 v[6:7], s[36:37], v[14:15], v[6:7]
.LBB211_19:
	global_store_dwordx2 v[10:11], v[6:7], off
.LBB211_20:
	s_or_b32 exec_lo, exec_lo, s4
	v_add_nc_u32_e32 v10, 16, v13
	v_ashrrev_i32_e32 v11, 31, v10
	v_mul_lo_u32 v13, s41, v10
	v_mad_u64_u32 v[6:7], null, s40, v10, 0
	v_cmp_le_i32_e32 vcc_lo, v10, v0
	v_mul_lo_u32 v11, s40, v11
	s_and_b32 s0, vcc_lo, s0
	v_add3_u32 v7, v7, v11, v13
	v_lshlrev_b64 v[6:7], 3, v[6:7]
	v_add_co_u32 v6, s2, s3, v6
	v_add_co_ci_u32_e64 v7, null, s5, v7, s2
	s_and_saveexec_b32 s2, s0
	s_cbranch_execz .LBB211_24
; %bb.21:
	v_mul_f64 v[4:5], s[14:15], v[4:5]
	v_lshlrev_b64 v[0:1], 3, v[0:1]
	v_cmp_ne_u32_e32 vcc_lo, 1, v12
	v_add_co_u32 v0, s0, v6, v0
	v_add_co_ci_u32_e64 v1, null, v7, v1, s0
	s_cbranch_vccnz .LBB211_23
; %bb.22:
	global_load_dwordx2 v[13:14], v[0:1], off
	s_waitcnt vmcnt(0)
	v_fma_f64 v[4:5], s[36:37], v[13:14], v[4:5]
.LBB211_23:
	global_store_dwordx2 v[0:1], v[4:5], off
.LBB211_24:
	s_or_b32 exec_lo, exec_lo, s2
	v_cmp_le_i32_e32 vcc_lo, v10, v8
	s_and_b32 s0, vcc_lo, s1
	s_and_saveexec_b32 s1, s0
	s_cbranch_execz .LBB211_28
; %bb.25:
	v_mul_f64 v[0:1], s[14:15], v[2:3]
	v_lshlrev_b64 v[2:3], 3, v[8:9]
	v_cmp_ne_u32_e32 vcc_lo, 1, v12
	v_add_co_u32 v2, s0, v6, v2
	v_add_co_ci_u32_e64 v3, null, v7, v3, s0
	s_cbranch_vccnz .LBB211_27
; %bb.26:
	global_load_dwordx2 v[4:5], v[2:3], off
	s_waitcnt vmcnt(0)
	v_fma_f64 v[0:1], s[36:37], v[4:5], v[0:1]
.LBB211_27:
	global_store_dwordx2 v[2:3], v[0:1], off
.LBB211_28:
	s_endpgm
	.section	.rodata,"a",@progbits
	.p2align	6, 0x0
	.amdhsa_kernel _ZL29rocblas_internal_gemmt_kernelIlLi16ELi32ELi8ELc84ELc84ELc76ELb0ELb0EddPKdPdEviT_T9_T10_S3_lS5_S3_lS4_T11_S3_li
		.amdhsa_group_segment_fixed_size 4096
		.amdhsa_private_segment_fixed_size 0
		.amdhsa_kernarg_size 108
		.amdhsa_user_sgpr_count 6
		.amdhsa_user_sgpr_private_segment_buffer 1
		.amdhsa_user_sgpr_dispatch_ptr 0
		.amdhsa_user_sgpr_queue_ptr 0
		.amdhsa_user_sgpr_kernarg_segment_ptr 1
		.amdhsa_user_sgpr_dispatch_id 0
		.amdhsa_user_sgpr_flat_scratch_init 0
		.amdhsa_user_sgpr_private_segment_size 0
		.amdhsa_wavefront_size32 1
		.amdhsa_uses_dynamic_stack 0
		.amdhsa_system_sgpr_private_segment_wavefront_offset 0
		.amdhsa_system_sgpr_workgroup_id_x 1
		.amdhsa_system_sgpr_workgroup_id_y 1
		.amdhsa_system_sgpr_workgroup_id_z 1
		.amdhsa_system_sgpr_workgroup_info 0
		.amdhsa_system_vgpr_workitem_id 1
		.amdhsa_next_free_vgpr 46
		.amdhsa_next_free_sgpr 44
		.amdhsa_reserve_vcc 1
		.amdhsa_reserve_flat_scratch 0
		.amdhsa_float_round_mode_32 0
		.amdhsa_float_round_mode_16_64 0
		.amdhsa_float_denorm_mode_32 3
		.amdhsa_float_denorm_mode_16_64 3
		.amdhsa_dx10_clamp 1
		.amdhsa_ieee_mode 1
		.amdhsa_fp16_overflow 0
		.amdhsa_workgroup_processor_mode 1
		.amdhsa_memory_ordered 1
		.amdhsa_forward_progress 1
		.amdhsa_shared_vgpr_count 0
		.amdhsa_exception_fp_ieee_invalid_op 0
		.amdhsa_exception_fp_denorm_src 0
		.amdhsa_exception_fp_ieee_div_zero 0
		.amdhsa_exception_fp_ieee_overflow 0
		.amdhsa_exception_fp_ieee_underflow 0
		.amdhsa_exception_fp_ieee_inexact 0
		.amdhsa_exception_int_div_zero 0
	.end_amdhsa_kernel
	.section	.text._ZL29rocblas_internal_gemmt_kernelIlLi16ELi32ELi8ELc84ELc84ELc76ELb0ELb0EddPKdPdEviT_T9_T10_S3_lS5_S3_lS4_T11_S3_li,"axG",@progbits,_ZL29rocblas_internal_gemmt_kernelIlLi16ELi32ELi8ELc84ELc84ELc76ELb0ELb0EddPKdPdEviT_T9_T10_S3_lS5_S3_lS4_T11_S3_li,comdat
.Lfunc_end211:
	.size	_ZL29rocblas_internal_gemmt_kernelIlLi16ELi32ELi8ELc84ELc84ELc76ELb0ELb0EddPKdPdEviT_T9_T10_S3_lS5_S3_lS4_T11_S3_li, .Lfunc_end211-_ZL29rocblas_internal_gemmt_kernelIlLi16ELi32ELi8ELc84ELc84ELc76ELb0ELb0EddPKdPdEviT_T9_T10_S3_lS5_S3_lS4_T11_S3_li
                                        ; -- End function
	.set _ZL29rocblas_internal_gemmt_kernelIlLi16ELi32ELi8ELc84ELc84ELc76ELb0ELb0EddPKdPdEviT_T9_T10_S3_lS5_S3_lS4_T11_S3_li.num_vgpr, 46
	.set _ZL29rocblas_internal_gemmt_kernelIlLi16ELi32ELi8ELc84ELc84ELc76ELb0ELb0EddPKdPdEviT_T9_T10_S3_lS5_S3_lS4_T11_S3_li.num_agpr, 0
	.set _ZL29rocblas_internal_gemmt_kernelIlLi16ELi32ELi8ELc84ELc84ELc76ELb0ELb0EddPKdPdEviT_T9_T10_S3_lS5_S3_lS4_T11_S3_li.numbered_sgpr, 44
	.set _ZL29rocblas_internal_gemmt_kernelIlLi16ELi32ELi8ELc84ELc84ELc76ELb0ELb0EddPKdPdEviT_T9_T10_S3_lS5_S3_lS4_T11_S3_li.num_named_barrier, 0
	.set _ZL29rocblas_internal_gemmt_kernelIlLi16ELi32ELi8ELc84ELc84ELc76ELb0ELb0EddPKdPdEviT_T9_T10_S3_lS5_S3_lS4_T11_S3_li.private_seg_size, 0
	.set _ZL29rocblas_internal_gemmt_kernelIlLi16ELi32ELi8ELc84ELc84ELc76ELb0ELb0EddPKdPdEviT_T9_T10_S3_lS5_S3_lS4_T11_S3_li.uses_vcc, 1
	.set _ZL29rocblas_internal_gemmt_kernelIlLi16ELi32ELi8ELc84ELc84ELc76ELb0ELb0EddPKdPdEviT_T9_T10_S3_lS5_S3_lS4_T11_S3_li.uses_flat_scratch, 0
	.set _ZL29rocblas_internal_gemmt_kernelIlLi16ELi32ELi8ELc84ELc84ELc76ELb0ELb0EddPKdPdEviT_T9_T10_S3_lS5_S3_lS4_T11_S3_li.has_dyn_sized_stack, 0
	.set _ZL29rocblas_internal_gemmt_kernelIlLi16ELi32ELi8ELc84ELc84ELc76ELb0ELb0EddPKdPdEviT_T9_T10_S3_lS5_S3_lS4_T11_S3_li.has_recursion, 0
	.set _ZL29rocblas_internal_gemmt_kernelIlLi16ELi32ELi8ELc84ELc84ELc76ELb0ELb0EddPKdPdEviT_T9_T10_S3_lS5_S3_lS4_T11_S3_li.has_indirect_call, 0
	.section	.AMDGPU.csdata,"",@progbits
; Kernel info:
; codeLenInByte = 1652
; TotalNumSgprs: 46
; NumVgprs: 46
; ScratchSize: 0
; MemoryBound: 0
; FloatMode: 240
; IeeeMode: 1
; LDSByteSize: 4096 bytes/workgroup (compile time only)
; SGPRBlocks: 0
; VGPRBlocks: 5
; NumSGPRsForWavesPerEU: 46
; NumVGPRsForWavesPerEU: 46
; Occupancy: 16
; WaveLimiterHint : 0
; COMPUTE_PGM_RSRC2:SCRATCH_EN: 0
; COMPUTE_PGM_RSRC2:USER_SGPR: 6
; COMPUTE_PGM_RSRC2:TRAP_HANDLER: 0
; COMPUTE_PGM_RSRC2:TGID_X_EN: 1
; COMPUTE_PGM_RSRC2:TGID_Y_EN: 1
; COMPUTE_PGM_RSRC2:TGID_Z_EN: 1
; COMPUTE_PGM_RSRC2:TIDIG_COMP_CNT: 1
	.section	.text._ZL29rocblas_internal_gemmt_kernelIlLi16ELi32ELi8ELc84ELc67ELc76ELb0ELb0EddPKdPdEviT_T9_T10_S3_lS5_S3_lS4_T11_S3_li,"axG",@progbits,_ZL29rocblas_internal_gemmt_kernelIlLi16ELi32ELi8ELc84ELc67ELc76ELb0ELb0EddPKdPdEviT_T9_T10_S3_lS5_S3_lS4_T11_S3_li,comdat
	.globl	_ZL29rocblas_internal_gemmt_kernelIlLi16ELi32ELi8ELc84ELc67ELc76ELb0ELb0EddPKdPdEviT_T9_T10_S3_lS5_S3_lS4_T11_S3_li ; -- Begin function _ZL29rocblas_internal_gemmt_kernelIlLi16ELi32ELi8ELc84ELc67ELc76ELb0ELb0EddPKdPdEviT_T9_T10_S3_lS5_S3_lS4_T11_S3_li
	.p2align	8
	.type	_ZL29rocblas_internal_gemmt_kernelIlLi16ELi32ELi8ELc84ELc67ELc76ELb0ELb0EddPKdPdEviT_T9_T10_S3_lS5_S3_lS4_T11_S3_li,@function
_ZL29rocblas_internal_gemmt_kernelIlLi16ELi32ELi8ELc84ELc67ELc76ELb0ELb0EddPKdPdEviT_T9_T10_S3_lS5_S3_lS4_T11_S3_li: ; @_ZL29rocblas_internal_gemmt_kernelIlLi16ELi32ELi8ELc84ELc67ELc76ELb0ELb0EddPKdPdEviT_T9_T10_S3_lS5_S3_lS4_T11_S3_li
; %bb.0:
	s_clause 0x1
	s_load_dwordx8 s[36:43], s[4:5], 0x48
	s_load_dwordx16 s[12:27], s[4:5], 0x8
	s_waitcnt lgkmcnt(0)
	v_cmp_neq_f64_e64 s0, s[36:37], 1.0
	s_and_b32 vcc_lo, exec_lo, s0
	s_cbranch_vccnz .LBB212_2
; %bb.1:
	v_cmp_neq_f64_e64 s0, s[14:15], 0
	s_cmp_lg_u64 s[12:13], 0
	s_cselect_b32 s1, -1, 0
	s_and_b32 s0, s1, s0
.LBB212_2:
	s_andn2_b32 vcc_lo, exec_lo, s0
	s_cbranch_vccnz .LBB212_28
; %bb.3:
	v_cmp_eq_f64_e64 s0, s[14:15], 0
	s_load_dword s4, s[4:5], 0x0
	v_cmp_lt_i64_e64 s1, s[12:13], 1
	v_mov_b32_e32 v10, 0
	v_mov_b32_e32 v6, 0
	;; [unrolled: 1-line block ×8, first 2 shown]
	s_lshl_b32 s5, s6, 5
	s_lshl_b32 s6, s7, 5
	s_or_b32 s0, s0, s1
	s_and_b32 vcc_lo, exec_lo, s0
	s_cbranch_vccnz .LBB212_12
; %bb.4:
	v_lshl_add_u32 v5, v1, 4, v0
	s_mul_i32 s1, s27, s8
	s_mul_hi_u32 s2, s26, s8
	s_mul_i32 s0, s26, s8
	s_add_i32 s1, s2, s1
	v_and_b32_e32 v6, 31, v5
	s_lshl_b64 s[0:1], s[0:1], 3
	s_mul_i32 s2, s21, s8
	s_add_u32 s3, s22, s0
	s_addc_u32 s7, s23, s1
	v_or_b32_e32 v7, s5, v6
	s_mul_hi_u32 s1, s20, s8
	s_mul_i32 s0, s20, s8
	s_add_i32 s1, s1, s2
	v_lshrrev_b32_e32 v9, 3, v5
	v_mul_lo_u32 v8, s19, v7
	v_mad_u64_u32 v[2:3], null, s18, v7, 0
	s_lshl_b64 s[0:1], s[0:1], 3
	v_add_nc_u32_e32 v4, s6, v9
	s_add_u32 s2, s16, s0
	s_addc_u32 s1, s17, s1
	s_ashr_i32 s0, s5, 31
	v_and_b32_e32 v16, 7, v0
	s_mul_i32 s0, s18, s0
	v_lshrrev_b32_e32 v17, 5, v5
	v_add3_u32 v3, v3, s0, v8
	v_lshlrev_b32_e32 v6, 3, v6
	v_ashrrev_i32_e32 v5, 31, v4
	v_lshlrev_b32_e32 v8, 3, v16
	s_waitcnt lgkmcnt(0)
	v_cmp_gt_i32_e64 s0, s4, v7
	v_lshlrev_b64 v[2:3], 3, v[2:3]
	v_lshl_or_b32 v18, v17, 8, v6
	v_lshlrev_b64 v[5:6], 3, v[4:5]
	v_lshl_or_b32 v7, v9, 6, v8
	v_mov_b32_e32 v10, 0
	v_lshlrev_b32_e32 v24, 3, v0
	v_add_co_u32 v19, vcc_lo, s2, v2
	v_add_co_ci_u32_e64 v20, null, s1, v3, vcc_lo
	v_add_co_u32 v22, vcc_lo, s3, v5
	v_cmp_gt_i32_e64 s1, s4, v4
	v_add_nc_u32_e32 v21, 0x800, v7
	v_add_co_ci_u32_e64 v23, null, s7, v6, vcc_lo
	v_mov_b32_e32 v2, 0
	v_mov_b32_e32 v4, 0
	;; [unrolled: 1-line block ×3, first 2 shown]
	v_lshl_add_u32 v25, v1, 6, 0x800
	v_mov_b32_e32 v3, 0
	v_mov_b32_e32 v5, 0
	;; [unrolled: 1-line block ×5, first 2 shown]
	s_mov_b64 s[2:3], 0
	s_branch .LBB212_6
.LBB212_5:                              ;   in Loop: Header=BB212_6 Depth=1
	s_or_b32 exec_lo, exec_lo, s7
	s_waitcnt vmcnt(0)
	ds_write_b64 v21, v[14:15]
	s_waitcnt lgkmcnt(0)
	s_barrier
	buffer_gl0_inv
	ds_read_b128 v[12:15], v25
	ds_read2_b64 v[26:29], v24 offset1:16
	ds_read_b128 v[30:33], v25 offset:1024
	ds_read_b128 v[34:37], v25 offset:16
	ds_read2_b64 v[38:41], v24 offset0:32 offset1:48
	ds_read_b128 v[42:45], v25 offset:1040
	s_add_u32 s2, s2, 8
	s_addc_u32 s3, s3, 0
	v_cmp_gt_i64_e64 s7, s[12:13], s[2:3]
	s_and_b32 vcc_lo, exec_lo, s7
	s_waitcnt lgkmcnt(4)
	v_fma_f64 v[10:11], v[26:27], v[12:13], v[10:11]
	v_fma_f64 v[6:7], v[28:29], v[12:13], v[6:7]
	s_waitcnt lgkmcnt(3)
	v_fma_f64 v[12:13], v[26:27], v[30:31], v[4:5]
	v_fma_f64 v[26:27], v[28:29], v[30:31], v[2:3]
	ds_read2_b64 v[2:5], v24 offset0:64 offset1:80
	s_waitcnt lgkmcnt(2)
	v_fma_f64 v[28:29], v[38:39], v[14:15], v[10:11]
	v_fma_f64 v[6:7], v[40:41], v[14:15], v[6:7]
	;; [unrolled: 1-line block ×4, first 2 shown]
	ds_read2_b64 v[10:13], v24 offset0:96 offset1:112
	s_waitcnt lgkmcnt(1)
	v_fma_f64 v[30:31], v[2:3], v[34:35], v[28:29]
	v_fma_f64 v[6:7], v[4:5], v[34:35], v[6:7]
	;; [unrolled: 1-line block ×4, first 2 shown]
	ds_read_b128 v[2:5], v25 offset:32
	ds_read2_b64 v[26:29], v24 offset0:128 offset1:144
	s_waitcnt lgkmcnt(2)
	v_fma_f64 v[42:43], v[10:11], v[36:37], v[30:31]
	v_fma_f64 v[6:7], v[12:13], v[36:37], v[6:7]
	;; [unrolled: 1-line block ×4, first 2 shown]
	ds_read_b128 v[10:13], v25 offset:1056
	ds_read_b128 v[30:33], v25 offset:48
	ds_read2_b64 v[34:37], v24 offset0:160 offset1:176
	ds_read_b128 v[38:41], v25 offset:1072
	s_waitcnt lgkmcnt(4)
	v_fma_f64 v[42:43], v[26:27], v[2:3], v[42:43]
	v_fma_f64 v[2:3], v[28:29], v[2:3], v[6:7]
	s_waitcnt lgkmcnt(3)
	v_fma_f64 v[6:7], v[26:27], v[10:11], v[14:15]
	v_fma_f64 v[10:11], v[28:29], v[10:11], v[44:45]
	ds_read2_b64 v[26:29], v24 offset0:192 offset1:208
	s_waitcnt lgkmcnt(2)
	v_fma_f64 v[42:43], v[34:35], v[4:5], v[42:43]
	v_fma_f64 v[2:3], v[36:37], v[4:5], v[2:3]
	;; [unrolled: 1-line block ×4, first 2 shown]
	ds_read2_b64 v[12:15], v24 offset0:224 offset1:240
	s_waitcnt lgkmcnt(0)
	s_barrier
	buffer_gl0_inv
	v_fma_f64 v[10:11], v[26:27], v[30:31], v[42:43]
	v_fma_f64 v[2:3], v[28:29], v[30:31], v[2:3]
	;; [unrolled: 1-line block ×8, first 2 shown]
	s_cbranch_vccz .LBB212_12
.LBB212_6:                              ; =>This Inner Loop Header: Depth=1
	v_mov_b32_e32 v12, 0
	v_mov_b32_e32 v13, 0
	s_and_saveexec_b32 s7, s0
	s_cbranch_execz .LBB212_10
; %bb.7:                                ;   in Loop: Header=BB212_6 Depth=1
	v_mov_b32_e32 v12, 0
	v_add_nc_u32_e32 v8, s2, v17
	v_mov_b32_e32 v13, 0
	s_mov_b32 s9, exec_lo
	v_cmpx_gt_u64_e64 s[12:13], v[8:9]
	s_cbranch_execz .LBB212_9
; %bb.8:                                ;   in Loop: Header=BB212_6 Depth=1
	v_lshlrev_b64 v[12:13], 3, v[8:9]
	v_add_co_u32 v12, vcc_lo, v19, v12
	v_add_co_ci_u32_e64 v13, null, v20, v13, vcc_lo
	global_load_dwordx2 v[12:13], v[12:13], off
.LBB212_9:                              ;   in Loop: Header=BB212_6 Depth=1
	s_or_b32 exec_lo, exec_lo, s9
.LBB212_10:                             ;   in Loop: Header=BB212_6 Depth=1
	s_or_b32 exec_lo, exec_lo, s7
	v_add_nc_u32_e32 v8, s2, v16
	v_mov_b32_e32 v14, 0
	v_mov_b32_e32 v15, 0
	s_waitcnt vmcnt(0)
	ds_write_b64 v18, v[12:13]
	v_cmp_gt_u64_e32 vcc_lo, s[12:13], v[8:9]
	s_and_b32 s9, vcc_lo, s1
	s_and_saveexec_b32 s7, s9
	s_cbranch_execz .LBB212_5
; %bb.11:                               ;   in Loop: Header=BB212_6 Depth=1
	v_mad_u64_u32 v[12:13], null, s24, v8, 0
	v_mad_u64_u32 v[13:14], null, s25, v8, v[13:14]
	v_lshlrev_b64 v[12:13], 3, v[12:13]
	v_add_co_u32 v12, vcc_lo, v22, v12
	v_add_co_ci_u32_e64 v13, null, v23, v13, vcc_lo
	global_load_dwordx2 v[14:15], v[12:13], off
	s_branch .LBB212_5
.LBB212_12:
	v_add_nc_u32_e32 v13, s6, v1
	s_mul_i32 s1, s43, s8
	s_mul_hi_u32 s2, s42, s8
	s_mul_i32 s0, s42, s8
	s_add_i32 s1, s2, s1
	v_ashrrev_i32_e32 v1, 31, v13
	v_cmp_neq_f64_e64 s2, s[36:37], 0
	v_mul_lo_u32 v12, s41, v13
	v_mad_u64_u32 v[8:9], null, s40, v13, 0
	v_mul_lo_u32 v1, s40, v1
	v_add_nc_u32_e32 v0, s5, v0
	s_lshl_b64 s[6:7], s[0:1], 3
	s_add_u32 s3, s38, s6
	s_addc_u32 s5, s39, s7
	v_cmp_le_i32_e32 vcc_lo, v13, v0
	s_waitcnt lgkmcnt(0)
	v_cmp_gt_i32_e64 s0, s4, v0
	v_add3_u32 v9, v9, v1, v12
	v_ashrrev_i32_e32 v1, 31, v0
	s_and_b32 s6, vcc_lo, s0
	v_lshlrev_b64 v[8:9], 3, v[8:9]
	v_cndmask_b32_e64 v12, 0, 1, s2
	v_add_co_u32 v14, s1, s3, v8
	v_add_co_ci_u32_e64 v15, null, s5, v9, s1
	s_and_saveexec_b32 s1, s6
	s_cbranch_execz .LBB212_16
; %bb.13:
	v_mul_f64 v[8:9], s[14:15], v[10:11]
	v_lshlrev_b64 v[10:11], 3, v[0:1]
	v_add_co_u32 v10, vcc_lo, v14, v10
	v_add_co_ci_u32_e64 v11, null, v15, v11, vcc_lo
	s_andn2_b32 vcc_lo, exec_lo, s2
	s_cbranch_vccnz .LBB212_15
; %bb.14:
	global_load_dwordx2 v[16:17], v[10:11], off
	s_waitcnt vmcnt(0)
	v_fma_f64 v[8:9], s[36:37], v[16:17], v[8:9]
.LBB212_15:
	global_store_dwordx2 v[10:11], v[8:9], off
.LBB212_16:
	s_or_b32 exec_lo, exec_lo, s1
	v_add_nc_u32_e32 v8, 16, v0
	v_cmp_le_i32_e32 vcc_lo, v13, v8
	v_cmp_gt_i32_e64 s1, s4, v8
	v_ashrrev_i32_e32 v9, 31, v8
	s_and_b32 s2, vcc_lo, s1
	s_and_saveexec_b32 s4, s2
	s_cbranch_execz .LBB212_20
; %bb.17:
	v_mul_f64 v[6:7], s[14:15], v[6:7]
	v_lshlrev_b64 v[10:11], 3, v[8:9]
	v_cmp_ne_u32_e32 vcc_lo, 1, v12
	v_add_co_u32 v10, s2, v14, v10
	v_add_co_ci_u32_e64 v11, null, v15, v11, s2
	s_cbranch_vccnz .LBB212_19
; %bb.18:
	global_load_dwordx2 v[14:15], v[10:11], off
	s_waitcnt vmcnt(0)
	v_fma_f64 v[6:7], s[36:37], v[14:15], v[6:7]
.LBB212_19:
	global_store_dwordx2 v[10:11], v[6:7], off
.LBB212_20:
	s_or_b32 exec_lo, exec_lo, s4
	v_add_nc_u32_e32 v10, 16, v13
	v_ashrrev_i32_e32 v11, 31, v10
	v_mul_lo_u32 v13, s41, v10
	v_mad_u64_u32 v[6:7], null, s40, v10, 0
	v_cmp_le_i32_e32 vcc_lo, v10, v0
	v_mul_lo_u32 v11, s40, v11
	s_and_b32 s0, vcc_lo, s0
	v_add3_u32 v7, v7, v11, v13
	v_lshlrev_b64 v[6:7], 3, v[6:7]
	v_add_co_u32 v6, s2, s3, v6
	v_add_co_ci_u32_e64 v7, null, s5, v7, s2
	s_and_saveexec_b32 s2, s0
	s_cbranch_execz .LBB212_24
; %bb.21:
	v_mul_f64 v[4:5], s[14:15], v[4:5]
	v_lshlrev_b64 v[0:1], 3, v[0:1]
	v_cmp_ne_u32_e32 vcc_lo, 1, v12
	v_add_co_u32 v0, s0, v6, v0
	v_add_co_ci_u32_e64 v1, null, v7, v1, s0
	s_cbranch_vccnz .LBB212_23
; %bb.22:
	global_load_dwordx2 v[13:14], v[0:1], off
	s_waitcnt vmcnt(0)
	v_fma_f64 v[4:5], s[36:37], v[13:14], v[4:5]
.LBB212_23:
	global_store_dwordx2 v[0:1], v[4:5], off
.LBB212_24:
	s_or_b32 exec_lo, exec_lo, s2
	v_cmp_le_i32_e32 vcc_lo, v10, v8
	s_and_b32 s0, vcc_lo, s1
	s_and_saveexec_b32 s1, s0
	s_cbranch_execz .LBB212_28
; %bb.25:
	v_mul_f64 v[0:1], s[14:15], v[2:3]
	v_lshlrev_b64 v[2:3], 3, v[8:9]
	v_cmp_ne_u32_e32 vcc_lo, 1, v12
	v_add_co_u32 v2, s0, v6, v2
	v_add_co_ci_u32_e64 v3, null, v7, v3, s0
	s_cbranch_vccnz .LBB212_27
; %bb.26:
	global_load_dwordx2 v[4:5], v[2:3], off
	s_waitcnt vmcnt(0)
	v_fma_f64 v[0:1], s[36:37], v[4:5], v[0:1]
.LBB212_27:
	global_store_dwordx2 v[2:3], v[0:1], off
.LBB212_28:
	s_endpgm
	.section	.rodata,"a",@progbits
	.p2align	6, 0x0
	.amdhsa_kernel _ZL29rocblas_internal_gemmt_kernelIlLi16ELi32ELi8ELc84ELc67ELc76ELb0ELb0EddPKdPdEviT_T9_T10_S3_lS5_S3_lS4_T11_S3_li
		.amdhsa_group_segment_fixed_size 4096
		.amdhsa_private_segment_fixed_size 0
		.amdhsa_kernarg_size 108
		.amdhsa_user_sgpr_count 6
		.amdhsa_user_sgpr_private_segment_buffer 1
		.amdhsa_user_sgpr_dispatch_ptr 0
		.amdhsa_user_sgpr_queue_ptr 0
		.amdhsa_user_sgpr_kernarg_segment_ptr 1
		.amdhsa_user_sgpr_dispatch_id 0
		.amdhsa_user_sgpr_flat_scratch_init 0
		.amdhsa_user_sgpr_private_segment_size 0
		.amdhsa_wavefront_size32 1
		.amdhsa_uses_dynamic_stack 0
		.amdhsa_system_sgpr_private_segment_wavefront_offset 0
		.amdhsa_system_sgpr_workgroup_id_x 1
		.amdhsa_system_sgpr_workgroup_id_y 1
		.amdhsa_system_sgpr_workgroup_id_z 1
		.amdhsa_system_sgpr_workgroup_info 0
		.amdhsa_system_vgpr_workitem_id 1
		.amdhsa_next_free_vgpr 46
		.amdhsa_next_free_sgpr 44
		.amdhsa_reserve_vcc 1
		.amdhsa_reserve_flat_scratch 0
		.amdhsa_float_round_mode_32 0
		.amdhsa_float_round_mode_16_64 0
		.amdhsa_float_denorm_mode_32 3
		.amdhsa_float_denorm_mode_16_64 3
		.amdhsa_dx10_clamp 1
		.amdhsa_ieee_mode 1
		.amdhsa_fp16_overflow 0
		.amdhsa_workgroup_processor_mode 1
		.amdhsa_memory_ordered 1
		.amdhsa_forward_progress 1
		.amdhsa_shared_vgpr_count 0
		.amdhsa_exception_fp_ieee_invalid_op 0
		.amdhsa_exception_fp_denorm_src 0
		.amdhsa_exception_fp_ieee_div_zero 0
		.amdhsa_exception_fp_ieee_overflow 0
		.amdhsa_exception_fp_ieee_underflow 0
		.amdhsa_exception_fp_ieee_inexact 0
		.amdhsa_exception_int_div_zero 0
	.end_amdhsa_kernel
	.section	.text._ZL29rocblas_internal_gemmt_kernelIlLi16ELi32ELi8ELc84ELc67ELc76ELb0ELb0EddPKdPdEviT_T9_T10_S3_lS5_S3_lS4_T11_S3_li,"axG",@progbits,_ZL29rocblas_internal_gemmt_kernelIlLi16ELi32ELi8ELc84ELc67ELc76ELb0ELb0EddPKdPdEviT_T9_T10_S3_lS5_S3_lS4_T11_S3_li,comdat
.Lfunc_end212:
	.size	_ZL29rocblas_internal_gemmt_kernelIlLi16ELi32ELi8ELc84ELc67ELc76ELb0ELb0EddPKdPdEviT_T9_T10_S3_lS5_S3_lS4_T11_S3_li, .Lfunc_end212-_ZL29rocblas_internal_gemmt_kernelIlLi16ELi32ELi8ELc84ELc67ELc76ELb0ELb0EddPKdPdEviT_T9_T10_S3_lS5_S3_lS4_T11_S3_li
                                        ; -- End function
	.set _ZL29rocblas_internal_gemmt_kernelIlLi16ELi32ELi8ELc84ELc67ELc76ELb0ELb0EddPKdPdEviT_T9_T10_S3_lS5_S3_lS4_T11_S3_li.num_vgpr, 46
	.set _ZL29rocblas_internal_gemmt_kernelIlLi16ELi32ELi8ELc84ELc67ELc76ELb0ELb0EddPKdPdEviT_T9_T10_S3_lS5_S3_lS4_T11_S3_li.num_agpr, 0
	.set _ZL29rocblas_internal_gemmt_kernelIlLi16ELi32ELi8ELc84ELc67ELc76ELb0ELb0EddPKdPdEviT_T9_T10_S3_lS5_S3_lS4_T11_S3_li.numbered_sgpr, 44
	.set _ZL29rocblas_internal_gemmt_kernelIlLi16ELi32ELi8ELc84ELc67ELc76ELb0ELb0EddPKdPdEviT_T9_T10_S3_lS5_S3_lS4_T11_S3_li.num_named_barrier, 0
	.set _ZL29rocblas_internal_gemmt_kernelIlLi16ELi32ELi8ELc84ELc67ELc76ELb0ELb0EddPKdPdEviT_T9_T10_S3_lS5_S3_lS4_T11_S3_li.private_seg_size, 0
	.set _ZL29rocblas_internal_gemmt_kernelIlLi16ELi32ELi8ELc84ELc67ELc76ELb0ELb0EddPKdPdEviT_T9_T10_S3_lS5_S3_lS4_T11_S3_li.uses_vcc, 1
	.set _ZL29rocblas_internal_gemmt_kernelIlLi16ELi32ELi8ELc84ELc67ELc76ELb0ELb0EddPKdPdEviT_T9_T10_S3_lS5_S3_lS4_T11_S3_li.uses_flat_scratch, 0
	.set _ZL29rocblas_internal_gemmt_kernelIlLi16ELi32ELi8ELc84ELc67ELc76ELb0ELb0EddPKdPdEviT_T9_T10_S3_lS5_S3_lS4_T11_S3_li.has_dyn_sized_stack, 0
	.set _ZL29rocblas_internal_gemmt_kernelIlLi16ELi32ELi8ELc84ELc67ELc76ELb0ELb0EddPKdPdEviT_T9_T10_S3_lS5_S3_lS4_T11_S3_li.has_recursion, 0
	.set _ZL29rocblas_internal_gemmt_kernelIlLi16ELi32ELi8ELc84ELc67ELc76ELb0ELb0EddPKdPdEviT_T9_T10_S3_lS5_S3_lS4_T11_S3_li.has_indirect_call, 0
	.section	.AMDGPU.csdata,"",@progbits
; Kernel info:
; codeLenInByte = 1652
; TotalNumSgprs: 46
; NumVgprs: 46
; ScratchSize: 0
; MemoryBound: 0
; FloatMode: 240
; IeeeMode: 1
; LDSByteSize: 4096 bytes/workgroup (compile time only)
; SGPRBlocks: 0
; VGPRBlocks: 5
; NumSGPRsForWavesPerEU: 46
; NumVGPRsForWavesPerEU: 46
; Occupancy: 16
; WaveLimiterHint : 0
; COMPUTE_PGM_RSRC2:SCRATCH_EN: 0
; COMPUTE_PGM_RSRC2:USER_SGPR: 6
; COMPUTE_PGM_RSRC2:TRAP_HANDLER: 0
; COMPUTE_PGM_RSRC2:TGID_X_EN: 1
; COMPUTE_PGM_RSRC2:TGID_Y_EN: 1
; COMPUTE_PGM_RSRC2:TGID_Z_EN: 1
; COMPUTE_PGM_RSRC2:TIDIG_COMP_CNT: 1
	.section	.text._ZL29rocblas_internal_gemmt_kernelIlLi16ELi32ELi8ELc67ELc78ELc76ELb0ELb0EddPKdPdEviT_T9_T10_S3_lS5_S3_lS4_T11_S3_li,"axG",@progbits,_ZL29rocblas_internal_gemmt_kernelIlLi16ELi32ELi8ELc67ELc78ELc76ELb0ELb0EddPKdPdEviT_T9_T10_S3_lS5_S3_lS4_T11_S3_li,comdat
	.globl	_ZL29rocblas_internal_gemmt_kernelIlLi16ELi32ELi8ELc67ELc78ELc76ELb0ELb0EddPKdPdEviT_T9_T10_S3_lS5_S3_lS4_T11_S3_li ; -- Begin function _ZL29rocblas_internal_gemmt_kernelIlLi16ELi32ELi8ELc67ELc78ELc76ELb0ELb0EddPKdPdEviT_T9_T10_S3_lS5_S3_lS4_T11_S3_li
	.p2align	8
	.type	_ZL29rocblas_internal_gemmt_kernelIlLi16ELi32ELi8ELc67ELc78ELc76ELb0ELb0EddPKdPdEviT_T9_T10_S3_lS5_S3_lS4_T11_S3_li,@function
_ZL29rocblas_internal_gemmt_kernelIlLi16ELi32ELi8ELc67ELc78ELc76ELb0ELb0EddPKdPdEviT_T9_T10_S3_lS5_S3_lS4_T11_S3_li: ; @_ZL29rocblas_internal_gemmt_kernelIlLi16ELi32ELi8ELc67ELc78ELc76ELb0ELb0EddPKdPdEviT_T9_T10_S3_lS5_S3_lS4_T11_S3_li
; %bb.0:
	s_clause 0x1
	s_load_dwordx8 s[36:43], s[4:5], 0x48
	s_load_dwordx16 s[12:27], s[4:5], 0x8
	s_waitcnt lgkmcnt(0)
	v_cmp_neq_f64_e64 s0, s[36:37], 1.0
	s_and_b32 vcc_lo, exec_lo, s0
	s_cbranch_vccnz .LBB213_2
; %bb.1:
	v_cmp_neq_f64_e64 s0, s[14:15], 0
	s_cmp_lg_u64 s[12:13], 0
	s_cselect_b32 s1, -1, 0
	s_and_b32 s0, s1, s0
.LBB213_2:
	s_andn2_b32 vcc_lo, exec_lo, s0
	s_cbranch_vccnz .LBB213_28
; %bb.3:
	v_cmp_eq_f64_e64 s0, s[14:15], 0
	s_load_dword s4, s[4:5], 0x0
	v_cmp_lt_i64_e64 s1, s[12:13], 1
	v_mov_b32_e32 v10, 0
	v_mov_b32_e32 v6, 0
	;; [unrolled: 1-line block ×8, first 2 shown]
	s_lshl_b32 s5, s6, 5
	s_lshl_b32 s6, s7, 5
	s_or_b32 s0, s0, s1
	s_and_b32 vcc_lo, exec_lo, s0
	s_cbranch_vccnz .LBB213_12
; %bb.4:
	v_lshl_add_u32 v6, v1, 4, v0
	s_mul_i32 s1, s27, s8
	s_mul_hi_u32 s2, s26, s8
	s_mul_i32 s0, s26, s8
	s_add_i32 s1, s2, s1
	v_lshrrev_b32_e32 v7, 3, v6
	v_and_b32_e32 v8, 31, v6
	s_lshl_b64 s[0:1], s[0:1], 3
	s_mul_hi_u32 s3, s20, s8
	s_add_u32 s2, s22, s0
	v_add_nc_u32_e32 v9, s6, v7
	v_or_b32_e32 v10, s5, v8
	s_mul_i32 s0, s21, s8
	s_addc_u32 s7, s23, s1
	s_add_i32 s1, s3, s0
	v_ashrrev_i32_e32 v4, 31, v9
	s_mul_i32 s0, s20, s8
	v_mul_lo_u32 v11, s19, v10
	v_mad_u64_u32 v[2:3], null, s18, v10, 0
	s_lshl_b64 s[0:1], s[0:1], 3
	v_mul_lo_u32 v12, s24, v4
	v_mul_lo_u32 v13, s25, v9
	v_mad_u64_u32 v[4:5], null, s24, v9, 0
	s_add_u32 s3, s16, s0
	s_addc_u32 s1, s17, s1
	s_ashr_i32 s0, s5, 31
	v_and_b32_e32 v16, 7, v0
	s_mul_i32 s0, s18, s0
	v_lshrrev_b32_e32 v17, 5, v6
	v_add3_u32 v3, v3, s0, v11
	v_add3_u32 v5, v5, v12, v13
	v_lshlrev_b32_e32 v6, 3, v8
	v_lshlrev_b32_e32 v8, 3, v16
	s_waitcnt lgkmcnt(0)
	v_cmp_gt_i32_e64 s0, s4, v10
	v_lshlrev_b64 v[2:3], 3, v[2:3]
	v_lshlrev_b64 v[4:5], 3, v[4:5]
	v_lshl_or_b32 v18, v17, 8, v6
	v_lshl_or_b32 v6, v7, 6, v8
	v_mov_b32_e32 v10, 0
	v_lshlrev_b32_e32 v24, 3, v0
	v_add_co_u32 v19, vcc_lo, s3, v2
	v_add_co_ci_u32_e64 v20, null, s1, v3, vcc_lo
	v_add_co_u32 v22, vcc_lo, s2, v4
	v_add_nc_u32_e32 v21, 0x800, v6
	v_add_co_ci_u32_e64 v23, null, s7, v5, vcc_lo
	v_mov_b32_e32 v2, 0
	v_mov_b32_e32 v4, 0
	;; [unrolled: 1-line block ×3, first 2 shown]
	v_cmp_gt_i32_e64 s1, s4, v9
	v_lshl_add_u32 v25, v1, 6, 0x800
	v_mov_b32_e32 v3, 0
	v_mov_b32_e32 v5, 0
	;; [unrolled: 1-line block ×5, first 2 shown]
	s_mov_b64 s[2:3], 0
	s_branch .LBB213_6
.LBB213_5:                              ;   in Loop: Header=BB213_6 Depth=1
	s_or_b32 exec_lo, exec_lo, s7
	s_waitcnt vmcnt(0)
	ds_write_b64 v21, v[14:15]
	s_waitcnt lgkmcnt(0)
	s_barrier
	buffer_gl0_inv
	ds_read_b128 v[12:15], v25
	ds_read2_b64 v[26:29], v24 offset1:16
	ds_read_b128 v[30:33], v25 offset:1024
	ds_read_b128 v[34:37], v25 offset:16
	ds_read2_b64 v[38:41], v24 offset0:32 offset1:48
	ds_read_b128 v[42:45], v25 offset:1040
	s_add_u32 s2, s2, 8
	s_addc_u32 s3, s3, 0
	v_cmp_gt_i64_e64 s7, s[12:13], s[2:3]
	s_and_b32 vcc_lo, exec_lo, s7
	s_waitcnt lgkmcnt(4)
	v_fma_f64 v[10:11], v[26:27], v[12:13], v[10:11]
	v_fma_f64 v[6:7], v[28:29], v[12:13], v[6:7]
	s_waitcnt lgkmcnt(3)
	v_fma_f64 v[12:13], v[26:27], v[30:31], v[4:5]
	v_fma_f64 v[26:27], v[28:29], v[30:31], v[2:3]
	ds_read2_b64 v[2:5], v24 offset0:64 offset1:80
	s_waitcnt lgkmcnt(2)
	v_fma_f64 v[28:29], v[38:39], v[14:15], v[10:11]
	v_fma_f64 v[6:7], v[40:41], v[14:15], v[6:7]
	;; [unrolled: 1-line block ×4, first 2 shown]
	ds_read2_b64 v[10:13], v24 offset0:96 offset1:112
	s_waitcnt lgkmcnt(1)
	v_fma_f64 v[30:31], v[2:3], v[34:35], v[28:29]
	v_fma_f64 v[6:7], v[4:5], v[34:35], v[6:7]
	;; [unrolled: 1-line block ×4, first 2 shown]
	ds_read_b128 v[2:5], v25 offset:32
	ds_read2_b64 v[26:29], v24 offset0:128 offset1:144
	s_waitcnt lgkmcnt(2)
	v_fma_f64 v[42:43], v[10:11], v[36:37], v[30:31]
	v_fma_f64 v[6:7], v[12:13], v[36:37], v[6:7]
	;; [unrolled: 1-line block ×4, first 2 shown]
	ds_read_b128 v[10:13], v25 offset:1056
	ds_read_b128 v[30:33], v25 offset:48
	ds_read2_b64 v[34:37], v24 offset0:160 offset1:176
	ds_read_b128 v[38:41], v25 offset:1072
	s_waitcnt lgkmcnt(4)
	v_fma_f64 v[42:43], v[26:27], v[2:3], v[42:43]
	v_fma_f64 v[2:3], v[28:29], v[2:3], v[6:7]
	s_waitcnt lgkmcnt(3)
	v_fma_f64 v[6:7], v[26:27], v[10:11], v[14:15]
	v_fma_f64 v[10:11], v[28:29], v[10:11], v[44:45]
	ds_read2_b64 v[26:29], v24 offset0:192 offset1:208
	s_waitcnt lgkmcnt(2)
	v_fma_f64 v[42:43], v[34:35], v[4:5], v[42:43]
	v_fma_f64 v[2:3], v[36:37], v[4:5], v[2:3]
	;; [unrolled: 1-line block ×4, first 2 shown]
	ds_read2_b64 v[12:15], v24 offset0:224 offset1:240
	s_waitcnt lgkmcnt(0)
	s_barrier
	buffer_gl0_inv
	v_fma_f64 v[10:11], v[26:27], v[30:31], v[42:43]
	v_fma_f64 v[2:3], v[28:29], v[30:31], v[2:3]
	;; [unrolled: 1-line block ×8, first 2 shown]
	s_cbranch_vccz .LBB213_12
.LBB213_6:                              ; =>This Inner Loop Header: Depth=1
	v_mov_b32_e32 v12, 0
	v_mov_b32_e32 v13, 0
	s_and_saveexec_b32 s7, s0
	s_cbranch_execz .LBB213_10
; %bb.7:                                ;   in Loop: Header=BB213_6 Depth=1
	v_mov_b32_e32 v12, 0
	v_add_nc_u32_e32 v8, s2, v17
	v_mov_b32_e32 v13, 0
	s_mov_b32 s9, exec_lo
	v_cmpx_gt_u64_e64 s[12:13], v[8:9]
	s_cbranch_execz .LBB213_9
; %bb.8:                                ;   in Loop: Header=BB213_6 Depth=1
	v_lshlrev_b64 v[12:13], 3, v[8:9]
	v_add_co_u32 v12, vcc_lo, v19, v12
	v_add_co_ci_u32_e64 v13, null, v20, v13, vcc_lo
	global_load_dwordx2 v[12:13], v[12:13], off
.LBB213_9:                              ;   in Loop: Header=BB213_6 Depth=1
	s_or_b32 exec_lo, exec_lo, s9
.LBB213_10:                             ;   in Loop: Header=BB213_6 Depth=1
	s_or_b32 exec_lo, exec_lo, s7
	v_add_nc_u32_e32 v8, s2, v16
	v_mov_b32_e32 v14, 0
	v_mov_b32_e32 v15, 0
	s_waitcnt vmcnt(0)
	ds_write_b64 v18, v[12:13]
	v_cmp_gt_u64_e32 vcc_lo, s[12:13], v[8:9]
	s_and_b32 s9, vcc_lo, s1
	s_and_saveexec_b32 s7, s9
	s_cbranch_execz .LBB213_5
; %bb.11:                               ;   in Loop: Header=BB213_6 Depth=1
	v_lshlrev_b64 v[12:13], 3, v[8:9]
	v_add_co_u32 v12, vcc_lo, v22, v12
	v_add_co_ci_u32_e64 v13, null, v23, v13, vcc_lo
	global_load_dwordx2 v[14:15], v[12:13], off
	s_branch .LBB213_5
.LBB213_12:
	v_add_nc_u32_e32 v13, s6, v1
	s_mul_i32 s1, s43, s8
	s_mul_hi_u32 s2, s42, s8
	s_mul_i32 s0, s42, s8
	s_add_i32 s1, s2, s1
	v_ashrrev_i32_e32 v1, 31, v13
	v_cmp_neq_f64_e64 s2, s[36:37], 0
	v_mul_lo_u32 v12, s41, v13
	v_mad_u64_u32 v[8:9], null, s40, v13, 0
	v_mul_lo_u32 v1, s40, v1
	v_add_nc_u32_e32 v0, s5, v0
	s_lshl_b64 s[6:7], s[0:1], 3
	s_add_u32 s3, s38, s6
	s_addc_u32 s5, s39, s7
	v_cmp_le_i32_e32 vcc_lo, v13, v0
	s_waitcnt lgkmcnt(0)
	v_cmp_gt_i32_e64 s0, s4, v0
	v_add3_u32 v9, v9, v1, v12
	v_ashrrev_i32_e32 v1, 31, v0
	s_and_b32 s6, vcc_lo, s0
	v_lshlrev_b64 v[8:9], 3, v[8:9]
	v_cndmask_b32_e64 v12, 0, 1, s2
	v_add_co_u32 v14, s1, s3, v8
	v_add_co_ci_u32_e64 v15, null, s5, v9, s1
	s_and_saveexec_b32 s1, s6
	s_cbranch_execz .LBB213_16
; %bb.13:
	v_mul_f64 v[8:9], s[14:15], v[10:11]
	v_lshlrev_b64 v[10:11], 3, v[0:1]
	v_add_co_u32 v10, vcc_lo, v14, v10
	v_add_co_ci_u32_e64 v11, null, v15, v11, vcc_lo
	s_andn2_b32 vcc_lo, exec_lo, s2
	s_cbranch_vccnz .LBB213_15
; %bb.14:
	global_load_dwordx2 v[16:17], v[10:11], off
	s_waitcnt vmcnt(0)
	v_fma_f64 v[8:9], s[36:37], v[16:17], v[8:9]
.LBB213_15:
	global_store_dwordx2 v[10:11], v[8:9], off
.LBB213_16:
	s_or_b32 exec_lo, exec_lo, s1
	v_add_nc_u32_e32 v8, 16, v0
	v_cmp_le_i32_e32 vcc_lo, v13, v8
	v_cmp_gt_i32_e64 s1, s4, v8
	v_ashrrev_i32_e32 v9, 31, v8
	s_and_b32 s2, vcc_lo, s1
	s_and_saveexec_b32 s4, s2
	s_cbranch_execz .LBB213_20
; %bb.17:
	v_mul_f64 v[6:7], s[14:15], v[6:7]
	v_lshlrev_b64 v[10:11], 3, v[8:9]
	v_cmp_ne_u32_e32 vcc_lo, 1, v12
	v_add_co_u32 v10, s2, v14, v10
	v_add_co_ci_u32_e64 v11, null, v15, v11, s2
	s_cbranch_vccnz .LBB213_19
; %bb.18:
	global_load_dwordx2 v[14:15], v[10:11], off
	s_waitcnt vmcnt(0)
	v_fma_f64 v[6:7], s[36:37], v[14:15], v[6:7]
.LBB213_19:
	global_store_dwordx2 v[10:11], v[6:7], off
.LBB213_20:
	s_or_b32 exec_lo, exec_lo, s4
	v_add_nc_u32_e32 v10, 16, v13
	v_ashrrev_i32_e32 v11, 31, v10
	v_mul_lo_u32 v13, s41, v10
	v_mad_u64_u32 v[6:7], null, s40, v10, 0
	v_cmp_le_i32_e32 vcc_lo, v10, v0
	v_mul_lo_u32 v11, s40, v11
	s_and_b32 s0, vcc_lo, s0
	v_add3_u32 v7, v7, v11, v13
	v_lshlrev_b64 v[6:7], 3, v[6:7]
	v_add_co_u32 v6, s2, s3, v6
	v_add_co_ci_u32_e64 v7, null, s5, v7, s2
	s_and_saveexec_b32 s2, s0
	s_cbranch_execz .LBB213_24
; %bb.21:
	v_mul_f64 v[4:5], s[14:15], v[4:5]
	v_lshlrev_b64 v[0:1], 3, v[0:1]
	v_cmp_ne_u32_e32 vcc_lo, 1, v12
	v_add_co_u32 v0, s0, v6, v0
	v_add_co_ci_u32_e64 v1, null, v7, v1, s0
	s_cbranch_vccnz .LBB213_23
; %bb.22:
	global_load_dwordx2 v[13:14], v[0:1], off
	s_waitcnt vmcnt(0)
	v_fma_f64 v[4:5], s[36:37], v[13:14], v[4:5]
.LBB213_23:
	global_store_dwordx2 v[0:1], v[4:5], off
.LBB213_24:
	s_or_b32 exec_lo, exec_lo, s2
	v_cmp_le_i32_e32 vcc_lo, v10, v8
	s_and_b32 s0, vcc_lo, s1
	s_and_saveexec_b32 s1, s0
	s_cbranch_execz .LBB213_28
; %bb.25:
	v_mul_f64 v[0:1], s[14:15], v[2:3]
	v_lshlrev_b64 v[2:3], 3, v[8:9]
	v_cmp_ne_u32_e32 vcc_lo, 1, v12
	v_add_co_u32 v2, s0, v6, v2
	v_add_co_ci_u32_e64 v3, null, v7, v3, s0
	s_cbranch_vccnz .LBB213_27
; %bb.26:
	global_load_dwordx2 v[4:5], v[2:3], off
	s_waitcnt vmcnt(0)
	v_fma_f64 v[0:1], s[36:37], v[4:5], v[0:1]
.LBB213_27:
	global_store_dwordx2 v[2:3], v[0:1], off
.LBB213_28:
	s_endpgm
	.section	.rodata,"a",@progbits
	.p2align	6, 0x0
	.amdhsa_kernel _ZL29rocblas_internal_gemmt_kernelIlLi16ELi32ELi8ELc67ELc78ELc76ELb0ELb0EddPKdPdEviT_T9_T10_S3_lS5_S3_lS4_T11_S3_li
		.amdhsa_group_segment_fixed_size 4096
		.amdhsa_private_segment_fixed_size 0
		.amdhsa_kernarg_size 108
		.amdhsa_user_sgpr_count 6
		.amdhsa_user_sgpr_private_segment_buffer 1
		.amdhsa_user_sgpr_dispatch_ptr 0
		.amdhsa_user_sgpr_queue_ptr 0
		.amdhsa_user_sgpr_kernarg_segment_ptr 1
		.amdhsa_user_sgpr_dispatch_id 0
		.amdhsa_user_sgpr_flat_scratch_init 0
		.amdhsa_user_sgpr_private_segment_size 0
		.amdhsa_wavefront_size32 1
		.amdhsa_uses_dynamic_stack 0
		.amdhsa_system_sgpr_private_segment_wavefront_offset 0
		.amdhsa_system_sgpr_workgroup_id_x 1
		.amdhsa_system_sgpr_workgroup_id_y 1
		.amdhsa_system_sgpr_workgroup_id_z 1
		.amdhsa_system_sgpr_workgroup_info 0
		.amdhsa_system_vgpr_workitem_id 1
		.amdhsa_next_free_vgpr 46
		.amdhsa_next_free_sgpr 44
		.amdhsa_reserve_vcc 1
		.amdhsa_reserve_flat_scratch 0
		.amdhsa_float_round_mode_32 0
		.amdhsa_float_round_mode_16_64 0
		.amdhsa_float_denorm_mode_32 3
		.amdhsa_float_denorm_mode_16_64 3
		.amdhsa_dx10_clamp 1
		.amdhsa_ieee_mode 1
		.amdhsa_fp16_overflow 0
		.amdhsa_workgroup_processor_mode 1
		.amdhsa_memory_ordered 1
		.amdhsa_forward_progress 1
		.amdhsa_shared_vgpr_count 0
		.amdhsa_exception_fp_ieee_invalid_op 0
		.amdhsa_exception_fp_denorm_src 0
		.amdhsa_exception_fp_ieee_div_zero 0
		.amdhsa_exception_fp_ieee_overflow 0
		.amdhsa_exception_fp_ieee_underflow 0
		.amdhsa_exception_fp_ieee_inexact 0
		.amdhsa_exception_int_div_zero 0
	.end_amdhsa_kernel
	.section	.text._ZL29rocblas_internal_gemmt_kernelIlLi16ELi32ELi8ELc67ELc78ELc76ELb0ELb0EddPKdPdEviT_T9_T10_S3_lS5_S3_lS4_T11_S3_li,"axG",@progbits,_ZL29rocblas_internal_gemmt_kernelIlLi16ELi32ELi8ELc67ELc78ELc76ELb0ELb0EddPKdPdEviT_T9_T10_S3_lS5_S3_lS4_T11_S3_li,comdat
.Lfunc_end213:
	.size	_ZL29rocblas_internal_gemmt_kernelIlLi16ELi32ELi8ELc67ELc78ELc76ELb0ELb0EddPKdPdEviT_T9_T10_S3_lS5_S3_lS4_T11_S3_li, .Lfunc_end213-_ZL29rocblas_internal_gemmt_kernelIlLi16ELi32ELi8ELc67ELc78ELc76ELb0ELb0EddPKdPdEviT_T9_T10_S3_lS5_S3_lS4_T11_S3_li
                                        ; -- End function
	.set _ZL29rocblas_internal_gemmt_kernelIlLi16ELi32ELi8ELc67ELc78ELc76ELb0ELb0EddPKdPdEviT_T9_T10_S3_lS5_S3_lS4_T11_S3_li.num_vgpr, 46
	.set _ZL29rocblas_internal_gemmt_kernelIlLi16ELi32ELi8ELc67ELc78ELc76ELb0ELb0EddPKdPdEviT_T9_T10_S3_lS5_S3_lS4_T11_S3_li.num_agpr, 0
	.set _ZL29rocblas_internal_gemmt_kernelIlLi16ELi32ELi8ELc67ELc78ELc76ELb0ELb0EddPKdPdEviT_T9_T10_S3_lS5_S3_lS4_T11_S3_li.numbered_sgpr, 44
	.set _ZL29rocblas_internal_gemmt_kernelIlLi16ELi32ELi8ELc67ELc78ELc76ELb0ELb0EddPKdPdEviT_T9_T10_S3_lS5_S3_lS4_T11_S3_li.num_named_barrier, 0
	.set _ZL29rocblas_internal_gemmt_kernelIlLi16ELi32ELi8ELc67ELc78ELc76ELb0ELb0EddPKdPdEviT_T9_T10_S3_lS5_S3_lS4_T11_S3_li.private_seg_size, 0
	.set _ZL29rocblas_internal_gemmt_kernelIlLi16ELi32ELi8ELc67ELc78ELc76ELb0ELb0EddPKdPdEviT_T9_T10_S3_lS5_S3_lS4_T11_S3_li.uses_vcc, 1
	.set _ZL29rocblas_internal_gemmt_kernelIlLi16ELi32ELi8ELc67ELc78ELc76ELb0ELb0EddPKdPdEviT_T9_T10_S3_lS5_S3_lS4_T11_S3_li.uses_flat_scratch, 0
	.set _ZL29rocblas_internal_gemmt_kernelIlLi16ELi32ELi8ELc67ELc78ELc76ELb0ELb0EddPKdPdEviT_T9_T10_S3_lS5_S3_lS4_T11_S3_li.has_dyn_sized_stack, 0
	.set _ZL29rocblas_internal_gemmt_kernelIlLi16ELi32ELi8ELc67ELc78ELc76ELb0ELb0EddPKdPdEviT_T9_T10_S3_lS5_S3_lS4_T11_S3_li.has_recursion, 0
	.set _ZL29rocblas_internal_gemmt_kernelIlLi16ELi32ELi8ELc67ELc78ELc76ELb0ELb0EddPKdPdEviT_T9_T10_S3_lS5_S3_lS4_T11_S3_li.has_indirect_call, 0
	.section	.AMDGPU.csdata,"",@progbits
; Kernel info:
; codeLenInByte = 1668
; TotalNumSgprs: 46
; NumVgprs: 46
; ScratchSize: 0
; MemoryBound: 0
; FloatMode: 240
; IeeeMode: 1
; LDSByteSize: 4096 bytes/workgroup (compile time only)
; SGPRBlocks: 0
; VGPRBlocks: 5
; NumSGPRsForWavesPerEU: 46
; NumVGPRsForWavesPerEU: 46
; Occupancy: 16
; WaveLimiterHint : 0
; COMPUTE_PGM_RSRC2:SCRATCH_EN: 0
; COMPUTE_PGM_RSRC2:USER_SGPR: 6
; COMPUTE_PGM_RSRC2:TRAP_HANDLER: 0
; COMPUTE_PGM_RSRC2:TGID_X_EN: 1
; COMPUTE_PGM_RSRC2:TGID_Y_EN: 1
; COMPUTE_PGM_RSRC2:TGID_Z_EN: 1
; COMPUTE_PGM_RSRC2:TIDIG_COMP_CNT: 1
	.section	.text._ZL29rocblas_internal_gemmt_kernelIlLi16ELi32ELi8ELc67ELc84ELc76ELb0ELb0EddPKdPdEviT_T9_T10_S3_lS5_S3_lS4_T11_S3_li,"axG",@progbits,_ZL29rocblas_internal_gemmt_kernelIlLi16ELi32ELi8ELc67ELc84ELc76ELb0ELb0EddPKdPdEviT_T9_T10_S3_lS5_S3_lS4_T11_S3_li,comdat
	.globl	_ZL29rocblas_internal_gemmt_kernelIlLi16ELi32ELi8ELc67ELc84ELc76ELb0ELb0EddPKdPdEviT_T9_T10_S3_lS5_S3_lS4_T11_S3_li ; -- Begin function _ZL29rocblas_internal_gemmt_kernelIlLi16ELi32ELi8ELc67ELc84ELc76ELb0ELb0EddPKdPdEviT_T9_T10_S3_lS5_S3_lS4_T11_S3_li
	.p2align	8
	.type	_ZL29rocblas_internal_gemmt_kernelIlLi16ELi32ELi8ELc67ELc84ELc76ELb0ELb0EddPKdPdEviT_T9_T10_S3_lS5_S3_lS4_T11_S3_li,@function
_ZL29rocblas_internal_gemmt_kernelIlLi16ELi32ELi8ELc67ELc84ELc76ELb0ELb0EddPKdPdEviT_T9_T10_S3_lS5_S3_lS4_T11_S3_li: ; @_ZL29rocblas_internal_gemmt_kernelIlLi16ELi32ELi8ELc67ELc84ELc76ELb0ELb0EddPKdPdEviT_T9_T10_S3_lS5_S3_lS4_T11_S3_li
; %bb.0:
	s_clause 0x1
	s_load_dwordx8 s[36:43], s[4:5], 0x48
	s_load_dwordx16 s[12:27], s[4:5], 0x8
	s_waitcnt lgkmcnt(0)
	v_cmp_neq_f64_e64 s0, s[36:37], 1.0
	s_and_b32 vcc_lo, exec_lo, s0
	s_cbranch_vccnz .LBB214_2
; %bb.1:
	v_cmp_neq_f64_e64 s0, s[14:15], 0
	s_cmp_lg_u64 s[12:13], 0
	s_cselect_b32 s1, -1, 0
	s_and_b32 s0, s1, s0
.LBB214_2:
	s_andn2_b32 vcc_lo, exec_lo, s0
	s_cbranch_vccnz .LBB214_28
; %bb.3:
	v_cmp_eq_f64_e64 s0, s[14:15], 0
	s_load_dword s4, s[4:5], 0x0
	v_cmp_lt_i64_e64 s1, s[12:13], 1
	v_mov_b32_e32 v10, 0
	v_mov_b32_e32 v6, 0
	;; [unrolled: 1-line block ×8, first 2 shown]
	s_lshl_b32 s5, s6, 5
	s_lshl_b32 s6, s7, 5
	s_or_b32 s0, s0, s1
	s_and_b32 vcc_lo, exec_lo, s0
	s_cbranch_vccnz .LBB214_12
; %bb.4:
	v_lshl_add_u32 v5, v1, 4, v0
	s_mul_i32 s1, s27, s8
	s_mul_hi_u32 s2, s26, s8
	s_mul_i32 s0, s26, s8
	s_add_i32 s1, s2, s1
	v_and_b32_e32 v6, 31, v5
	s_lshl_b64 s[0:1], s[0:1], 3
	s_mul_i32 s2, s21, s8
	s_add_u32 s3, s22, s0
	s_addc_u32 s7, s23, s1
	v_or_b32_e32 v7, s5, v6
	s_mul_hi_u32 s1, s20, s8
	s_mul_i32 s0, s20, s8
	s_add_i32 s1, s1, s2
	v_lshrrev_b32_e32 v9, 3, v5
	v_mul_lo_u32 v8, s19, v7
	v_mad_u64_u32 v[2:3], null, s18, v7, 0
	s_lshl_b64 s[0:1], s[0:1], 3
	v_add_nc_u32_e32 v4, s6, v9
	s_add_u32 s2, s16, s0
	s_addc_u32 s1, s17, s1
	s_ashr_i32 s0, s5, 31
	v_and_b32_e32 v16, 7, v0
	s_mul_i32 s0, s18, s0
	v_lshrrev_b32_e32 v17, 5, v5
	v_add3_u32 v3, v3, s0, v8
	v_lshlrev_b32_e32 v6, 3, v6
	v_ashrrev_i32_e32 v5, 31, v4
	v_lshlrev_b32_e32 v8, 3, v16
	s_waitcnt lgkmcnt(0)
	v_cmp_gt_i32_e64 s0, s4, v7
	v_lshlrev_b64 v[2:3], 3, v[2:3]
	v_lshl_or_b32 v18, v17, 8, v6
	v_lshlrev_b64 v[5:6], 3, v[4:5]
	v_lshl_or_b32 v7, v9, 6, v8
	v_mov_b32_e32 v10, 0
	v_lshlrev_b32_e32 v24, 3, v0
	v_add_co_u32 v19, vcc_lo, s2, v2
	v_add_co_ci_u32_e64 v20, null, s1, v3, vcc_lo
	v_add_co_u32 v22, vcc_lo, s3, v5
	v_cmp_gt_i32_e64 s1, s4, v4
	v_add_nc_u32_e32 v21, 0x800, v7
	v_add_co_ci_u32_e64 v23, null, s7, v6, vcc_lo
	v_mov_b32_e32 v2, 0
	v_mov_b32_e32 v4, 0
	;; [unrolled: 1-line block ×3, first 2 shown]
	v_lshl_add_u32 v25, v1, 6, 0x800
	v_mov_b32_e32 v3, 0
	v_mov_b32_e32 v5, 0
	;; [unrolled: 1-line block ×5, first 2 shown]
	s_mov_b64 s[2:3], 0
	s_branch .LBB214_6
.LBB214_5:                              ;   in Loop: Header=BB214_6 Depth=1
	s_or_b32 exec_lo, exec_lo, s7
	s_waitcnt vmcnt(0)
	ds_write_b64 v21, v[14:15]
	s_waitcnt lgkmcnt(0)
	s_barrier
	buffer_gl0_inv
	ds_read_b128 v[12:15], v25
	ds_read2_b64 v[26:29], v24 offset1:16
	ds_read_b128 v[30:33], v25 offset:1024
	ds_read_b128 v[34:37], v25 offset:16
	ds_read2_b64 v[38:41], v24 offset0:32 offset1:48
	ds_read_b128 v[42:45], v25 offset:1040
	s_add_u32 s2, s2, 8
	s_addc_u32 s3, s3, 0
	v_cmp_gt_i64_e64 s7, s[12:13], s[2:3]
	s_and_b32 vcc_lo, exec_lo, s7
	s_waitcnt lgkmcnt(4)
	v_fma_f64 v[10:11], v[26:27], v[12:13], v[10:11]
	v_fma_f64 v[6:7], v[28:29], v[12:13], v[6:7]
	s_waitcnt lgkmcnt(3)
	v_fma_f64 v[12:13], v[26:27], v[30:31], v[4:5]
	v_fma_f64 v[26:27], v[28:29], v[30:31], v[2:3]
	ds_read2_b64 v[2:5], v24 offset0:64 offset1:80
	s_waitcnt lgkmcnt(2)
	v_fma_f64 v[28:29], v[38:39], v[14:15], v[10:11]
	v_fma_f64 v[6:7], v[40:41], v[14:15], v[6:7]
	;; [unrolled: 1-line block ×4, first 2 shown]
	ds_read2_b64 v[10:13], v24 offset0:96 offset1:112
	s_waitcnt lgkmcnt(1)
	v_fma_f64 v[30:31], v[2:3], v[34:35], v[28:29]
	v_fma_f64 v[6:7], v[4:5], v[34:35], v[6:7]
	;; [unrolled: 1-line block ×4, first 2 shown]
	ds_read_b128 v[2:5], v25 offset:32
	ds_read2_b64 v[26:29], v24 offset0:128 offset1:144
	s_waitcnt lgkmcnt(2)
	v_fma_f64 v[42:43], v[10:11], v[36:37], v[30:31]
	v_fma_f64 v[6:7], v[12:13], v[36:37], v[6:7]
	;; [unrolled: 1-line block ×4, first 2 shown]
	ds_read_b128 v[10:13], v25 offset:1056
	ds_read_b128 v[30:33], v25 offset:48
	ds_read2_b64 v[34:37], v24 offset0:160 offset1:176
	ds_read_b128 v[38:41], v25 offset:1072
	s_waitcnt lgkmcnt(4)
	v_fma_f64 v[42:43], v[26:27], v[2:3], v[42:43]
	v_fma_f64 v[2:3], v[28:29], v[2:3], v[6:7]
	s_waitcnt lgkmcnt(3)
	v_fma_f64 v[6:7], v[26:27], v[10:11], v[14:15]
	v_fma_f64 v[10:11], v[28:29], v[10:11], v[44:45]
	ds_read2_b64 v[26:29], v24 offset0:192 offset1:208
	s_waitcnt lgkmcnt(2)
	v_fma_f64 v[42:43], v[34:35], v[4:5], v[42:43]
	v_fma_f64 v[2:3], v[36:37], v[4:5], v[2:3]
	;; [unrolled: 1-line block ×4, first 2 shown]
	ds_read2_b64 v[12:15], v24 offset0:224 offset1:240
	s_waitcnt lgkmcnt(0)
	s_barrier
	buffer_gl0_inv
	v_fma_f64 v[10:11], v[26:27], v[30:31], v[42:43]
	v_fma_f64 v[2:3], v[28:29], v[30:31], v[2:3]
	;; [unrolled: 1-line block ×8, first 2 shown]
	s_cbranch_vccz .LBB214_12
.LBB214_6:                              ; =>This Inner Loop Header: Depth=1
	v_mov_b32_e32 v12, 0
	v_mov_b32_e32 v13, 0
	s_and_saveexec_b32 s7, s0
	s_cbranch_execz .LBB214_10
; %bb.7:                                ;   in Loop: Header=BB214_6 Depth=1
	v_mov_b32_e32 v12, 0
	v_add_nc_u32_e32 v8, s2, v17
	v_mov_b32_e32 v13, 0
	s_mov_b32 s9, exec_lo
	v_cmpx_gt_u64_e64 s[12:13], v[8:9]
	s_cbranch_execz .LBB214_9
; %bb.8:                                ;   in Loop: Header=BB214_6 Depth=1
	v_lshlrev_b64 v[12:13], 3, v[8:9]
	v_add_co_u32 v12, vcc_lo, v19, v12
	v_add_co_ci_u32_e64 v13, null, v20, v13, vcc_lo
	global_load_dwordx2 v[12:13], v[12:13], off
.LBB214_9:                              ;   in Loop: Header=BB214_6 Depth=1
	s_or_b32 exec_lo, exec_lo, s9
.LBB214_10:                             ;   in Loop: Header=BB214_6 Depth=1
	s_or_b32 exec_lo, exec_lo, s7
	v_add_nc_u32_e32 v8, s2, v16
	v_mov_b32_e32 v14, 0
	v_mov_b32_e32 v15, 0
	s_waitcnt vmcnt(0)
	ds_write_b64 v18, v[12:13]
	v_cmp_gt_u64_e32 vcc_lo, s[12:13], v[8:9]
	s_and_b32 s9, vcc_lo, s1
	s_and_saveexec_b32 s7, s9
	s_cbranch_execz .LBB214_5
; %bb.11:                               ;   in Loop: Header=BB214_6 Depth=1
	v_mad_u64_u32 v[12:13], null, s24, v8, 0
	v_mad_u64_u32 v[13:14], null, s25, v8, v[13:14]
	v_lshlrev_b64 v[12:13], 3, v[12:13]
	v_add_co_u32 v12, vcc_lo, v22, v12
	v_add_co_ci_u32_e64 v13, null, v23, v13, vcc_lo
	global_load_dwordx2 v[14:15], v[12:13], off
	s_branch .LBB214_5
.LBB214_12:
	v_add_nc_u32_e32 v13, s6, v1
	s_mul_i32 s1, s43, s8
	s_mul_hi_u32 s2, s42, s8
	s_mul_i32 s0, s42, s8
	s_add_i32 s1, s2, s1
	v_ashrrev_i32_e32 v1, 31, v13
	v_cmp_neq_f64_e64 s2, s[36:37], 0
	v_mul_lo_u32 v12, s41, v13
	v_mad_u64_u32 v[8:9], null, s40, v13, 0
	v_mul_lo_u32 v1, s40, v1
	v_add_nc_u32_e32 v0, s5, v0
	s_lshl_b64 s[6:7], s[0:1], 3
	s_add_u32 s3, s38, s6
	s_addc_u32 s5, s39, s7
	v_cmp_le_i32_e32 vcc_lo, v13, v0
	s_waitcnt lgkmcnt(0)
	v_cmp_gt_i32_e64 s0, s4, v0
	v_add3_u32 v9, v9, v1, v12
	v_ashrrev_i32_e32 v1, 31, v0
	s_and_b32 s6, vcc_lo, s0
	v_lshlrev_b64 v[8:9], 3, v[8:9]
	v_cndmask_b32_e64 v12, 0, 1, s2
	v_add_co_u32 v14, s1, s3, v8
	v_add_co_ci_u32_e64 v15, null, s5, v9, s1
	s_and_saveexec_b32 s1, s6
	s_cbranch_execz .LBB214_16
; %bb.13:
	v_mul_f64 v[8:9], s[14:15], v[10:11]
	v_lshlrev_b64 v[10:11], 3, v[0:1]
	v_add_co_u32 v10, vcc_lo, v14, v10
	v_add_co_ci_u32_e64 v11, null, v15, v11, vcc_lo
	s_andn2_b32 vcc_lo, exec_lo, s2
	s_cbranch_vccnz .LBB214_15
; %bb.14:
	global_load_dwordx2 v[16:17], v[10:11], off
	s_waitcnt vmcnt(0)
	v_fma_f64 v[8:9], s[36:37], v[16:17], v[8:9]
.LBB214_15:
	global_store_dwordx2 v[10:11], v[8:9], off
.LBB214_16:
	s_or_b32 exec_lo, exec_lo, s1
	v_add_nc_u32_e32 v8, 16, v0
	v_cmp_le_i32_e32 vcc_lo, v13, v8
	v_cmp_gt_i32_e64 s1, s4, v8
	v_ashrrev_i32_e32 v9, 31, v8
	s_and_b32 s2, vcc_lo, s1
	s_and_saveexec_b32 s4, s2
	s_cbranch_execz .LBB214_20
; %bb.17:
	v_mul_f64 v[6:7], s[14:15], v[6:7]
	v_lshlrev_b64 v[10:11], 3, v[8:9]
	v_cmp_ne_u32_e32 vcc_lo, 1, v12
	v_add_co_u32 v10, s2, v14, v10
	v_add_co_ci_u32_e64 v11, null, v15, v11, s2
	s_cbranch_vccnz .LBB214_19
; %bb.18:
	global_load_dwordx2 v[14:15], v[10:11], off
	s_waitcnt vmcnt(0)
	v_fma_f64 v[6:7], s[36:37], v[14:15], v[6:7]
.LBB214_19:
	global_store_dwordx2 v[10:11], v[6:7], off
.LBB214_20:
	s_or_b32 exec_lo, exec_lo, s4
	v_add_nc_u32_e32 v10, 16, v13
	v_ashrrev_i32_e32 v11, 31, v10
	v_mul_lo_u32 v13, s41, v10
	v_mad_u64_u32 v[6:7], null, s40, v10, 0
	v_cmp_le_i32_e32 vcc_lo, v10, v0
	v_mul_lo_u32 v11, s40, v11
	s_and_b32 s0, vcc_lo, s0
	v_add3_u32 v7, v7, v11, v13
	v_lshlrev_b64 v[6:7], 3, v[6:7]
	v_add_co_u32 v6, s2, s3, v6
	v_add_co_ci_u32_e64 v7, null, s5, v7, s2
	s_and_saveexec_b32 s2, s0
	s_cbranch_execz .LBB214_24
; %bb.21:
	v_mul_f64 v[4:5], s[14:15], v[4:5]
	v_lshlrev_b64 v[0:1], 3, v[0:1]
	v_cmp_ne_u32_e32 vcc_lo, 1, v12
	v_add_co_u32 v0, s0, v6, v0
	v_add_co_ci_u32_e64 v1, null, v7, v1, s0
	s_cbranch_vccnz .LBB214_23
; %bb.22:
	global_load_dwordx2 v[13:14], v[0:1], off
	s_waitcnt vmcnt(0)
	v_fma_f64 v[4:5], s[36:37], v[13:14], v[4:5]
.LBB214_23:
	global_store_dwordx2 v[0:1], v[4:5], off
.LBB214_24:
	s_or_b32 exec_lo, exec_lo, s2
	v_cmp_le_i32_e32 vcc_lo, v10, v8
	s_and_b32 s0, vcc_lo, s1
	s_and_saveexec_b32 s1, s0
	s_cbranch_execz .LBB214_28
; %bb.25:
	v_mul_f64 v[0:1], s[14:15], v[2:3]
	v_lshlrev_b64 v[2:3], 3, v[8:9]
	v_cmp_ne_u32_e32 vcc_lo, 1, v12
	v_add_co_u32 v2, s0, v6, v2
	v_add_co_ci_u32_e64 v3, null, v7, v3, s0
	s_cbranch_vccnz .LBB214_27
; %bb.26:
	global_load_dwordx2 v[4:5], v[2:3], off
	s_waitcnt vmcnt(0)
	v_fma_f64 v[0:1], s[36:37], v[4:5], v[0:1]
.LBB214_27:
	global_store_dwordx2 v[2:3], v[0:1], off
.LBB214_28:
	s_endpgm
	.section	.rodata,"a",@progbits
	.p2align	6, 0x0
	.amdhsa_kernel _ZL29rocblas_internal_gemmt_kernelIlLi16ELi32ELi8ELc67ELc84ELc76ELb0ELb0EddPKdPdEviT_T9_T10_S3_lS5_S3_lS4_T11_S3_li
		.amdhsa_group_segment_fixed_size 4096
		.amdhsa_private_segment_fixed_size 0
		.amdhsa_kernarg_size 108
		.amdhsa_user_sgpr_count 6
		.amdhsa_user_sgpr_private_segment_buffer 1
		.amdhsa_user_sgpr_dispatch_ptr 0
		.amdhsa_user_sgpr_queue_ptr 0
		.amdhsa_user_sgpr_kernarg_segment_ptr 1
		.amdhsa_user_sgpr_dispatch_id 0
		.amdhsa_user_sgpr_flat_scratch_init 0
		.amdhsa_user_sgpr_private_segment_size 0
		.amdhsa_wavefront_size32 1
		.amdhsa_uses_dynamic_stack 0
		.amdhsa_system_sgpr_private_segment_wavefront_offset 0
		.amdhsa_system_sgpr_workgroup_id_x 1
		.amdhsa_system_sgpr_workgroup_id_y 1
		.amdhsa_system_sgpr_workgroup_id_z 1
		.amdhsa_system_sgpr_workgroup_info 0
		.amdhsa_system_vgpr_workitem_id 1
		.amdhsa_next_free_vgpr 46
		.amdhsa_next_free_sgpr 44
		.amdhsa_reserve_vcc 1
		.amdhsa_reserve_flat_scratch 0
		.amdhsa_float_round_mode_32 0
		.amdhsa_float_round_mode_16_64 0
		.amdhsa_float_denorm_mode_32 3
		.amdhsa_float_denorm_mode_16_64 3
		.amdhsa_dx10_clamp 1
		.amdhsa_ieee_mode 1
		.amdhsa_fp16_overflow 0
		.amdhsa_workgroup_processor_mode 1
		.amdhsa_memory_ordered 1
		.amdhsa_forward_progress 1
		.amdhsa_shared_vgpr_count 0
		.amdhsa_exception_fp_ieee_invalid_op 0
		.amdhsa_exception_fp_denorm_src 0
		.amdhsa_exception_fp_ieee_div_zero 0
		.amdhsa_exception_fp_ieee_overflow 0
		.amdhsa_exception_fp_ieee_underflow 0
		.amdhsa_exception_fp_ieee_inexact 0
		.amdhsa_exception_int_div_zero 0
	.end_amdhsa_kernel
	.section	.text._ZL29rocblas_internal_gemmt_kernelIlLi16ELi32ELi8ELc67ELc84ELc76ELb0ELb0EddPKdPdEviT_T9_T10_S3_lS5_S3_lS4_T11_S3_li,"axG",@progbits,_ZL29rocblas_internal_gemmt_kernelIlLi16ELi32ELi8ELc67ELc84ELc76ELb0ELb0EddPKdPdEviT_T9_T10_S3_lS5_S3_lS4_T11_S3_li,comdat
.Lfunc_end214:
	.size	_ZL29rocblas_internal_gemmt_kernelIlLi16ELi32ELi8ELc67ELc84ELc76ELb0ELb0EddPKdPdEviT_T9_T10_S3_lS5_S3_lS4_T11_S3_li, .Lfunc_end214-_ZL29rocblas_internal_gemmt_kernelIlLi16ELi32ELi8ELc67ELc84ELc76ELb0ELb0EddPKdPdEviT_T9_T10_S3_lS5_S3_lS4_T11_S3_li
                                        ; -- End function
	.set _ZL29rocblas_internal_gemmt_kernelIlLi16ELi32ELi8ELc67ELc84ELc76ELb0ELb0EddPKdPdEviT_T9_T10_S3_lS5_S3_lS4_T11_S3_li.num_vgpr, 46
	.set _ZL29rocblas_internal_gemmt_kernelIlLi16ELi32ELi8ELc67ELc84ELc76ELb0ELb0EddPKdPdEviT_T9_T10_S3_lS5_S3_lS4_T11_S3_li.num_agpr, 0
	.set _ZL29rocblas_internal_gemmt_kernelIlLi16ELi32ELi8ELc67ELc84ELc76ELb0ELb0EddPKdPdEviT_T9_T10_S3_lS5_S3_lS4_T11_S3_li.numbered_sgpr, 44
	.set _ZL29rocblas_internal_gemmt_kernelIlLi16ELi32ELi8ELc67ELc84ELc76ELb0ELb0EddPKdPdEviT_T9_T10_S3_lS5_S3_lS4_T11_S3_li.num_named_barrier, 0
	.set _ZL29rocblas_internal_gemmt_kernelIlLi16ELi32ELi8ELc67ELc84ELc76ELb0ELb0EddPKdPdEviT_T9_T10_S3_lS5_S3_lS4_T11_S3_li.private_seg_size, 0
	.set _ZL29rocblas_internal_gemmt_kernelIlLi16ELi32ELi8ELc67ELc84ELc76ELb0ELb0EddPKdPdEviT_T9_T10_S3_lS5_S3_lS4_T11_S3_li.uses_vcc, 1
	.set _ZL29rocblas_internal_gemmt_kernelIlLi16ELi32ELi8ELc67ELc84ELc76ELb0ELb0EddPKdPdEviT_T9_T10_S3_lS5_S3_lS4_T11_S3_li.uses_flat_scratch, 0
	.set _ZL29rocblas_internal_gemmt_kernelIlLi16ELi32ELi8ELc67ELc84ELc76ELb0ELb0EddPKdPdEviT_T9_T10_S3_lS5_S3_lS4_T11_S3_li.has_dyn_sized_stack, 0
	.set _ZL29rocblas_internal_gemmt_kernelIlLi16ELi32ELi8ELc67ELc84ELc76ELb0ELb0EddPKdPdEviT_T9_T10_S3_lS5_S3_lS4_T11_S3_li.has_recursion, 0
	.set _ZL29rocblas_internal_gemmt_kernelIlLi16ELi32ELi8ELc67ELc84ELc76ELb0ELb0EddPKdPdEviT_T9_T10_S3_lS5_S3_lS4_T11_S3_li.has_indirect_call, 0
	.section	.AMDGPU.csdata,"",@progbits
; Kernel info:
; codeLenInByte = 1652
; TotalNumSgprs: 46
; NumVgprs: 46
; ScratchSize: 0
; MemoryBound: 0
; FloatMode: 240
; IeeeMode: 1
; LDSByteSize: 4096 bytes/workgroup (compile time only)
; SGPRBlocks: 0
; VGPRBlocks: 5
; NumSGPRsForWavesPerEU: 46
; NumVGPRsForWavesPerEU: 46
; Occupancy: 16
; WaveLimiterHint : 0
; COMPUTE_PGM_RSRC2:SCRATCH_EN: 0
; COMPUTE_PGM_RSRC2:USER_SGPR: 6
; COMPUTE_PGM_RSRC2:TRAP_HANDLER: 0
; COMPUTE_PGM_RSRC2:TGID_X_EN: 1
; COMPUTE_PGM_RSRC2:TGID_Y_EN: 1
; COMPUTE_PGM_RSRC2:TGID_Z_EN: 1
; COMPUTE_PGM_RSRC2:TIDIG_COMP_CNT: 1
	.section	.text._ZL29rocblas_internal_gemmt_kernelIlLi16ELi32ELi8ELc67ELc67ELc76ELb0ELb0EddPKdPdEviT_T9_T10_S3_lS5_S3_lS4_T11_S3_li,"axG",@progbits,_ZL29rocblas_internal_gemmt_kernelIlLi16ELi32ELi8ELc67ELc67ELc76ELb0ELb0EddPKdPdEviT_T9_T10_S3_lS5_S3_lS4_T11_S3_li,comdat
	.globl	_ZL29rocblas_internal_gemmt_kernelIlLi16ELi32ELi8ELc67ELc67ELc76ELb0ELb0EddPKdPdEviT_T9_T10_S3_lS5_S3_lS4_T11_S3_li ; -- Begin function _ZL29rocblas_internal_gemmt_kernelIlLi16ELi32ELi8ELc67ELc67ELc76ELb0ELb0EddPKdPdEviT_T9_T10_S3_lS5_S3_lS4_T11_S3_li
	.p2align	8
	.type	_ZL29rocblas_internal_gemmt_kernelIlLi16ELi32ELi8ELc67ELc67ELc76ELb0ELb0EddPKdPdEviT_T9_T10_S3_lS5_S3_lS4_T11_S3_li,@function
_ZL29rocblas_internal_gemmt_kernelIlLi16ELi32ELi8ELc67ELc67ELc76ELb0ELb0EddPKdPdEviT_T9_T10_S3_lS5_S3_lS4_T11_S3_li: ; @_ZL29rocblas_internal_gemmt_kernelIlLi16ELi32ELi8ELc67ELc67ELc76ELb0ELb0EddPKdPdEviT_T9_T10_S3_lS5_S3_lS4_T11_S3_li
; %bb.0:
	s_clause 0x1
	s_load_dwordx8 s[36:43], s[4:5], 0x48
	s_load_dwordx16 s[12:27], s[4:5], 0x8
	s_waitcnt lgkmcnt(0)
	v_cmp_neq_f64_e64 s0, s[36:37], 1.0
	s_and_b32 vcc_lo, exec_lo, s0
	s_cbranch_vccnz .LBB215_2
; %bb.1:
	v_cmp_neq_f64_e64 s0, s[14:15], 0
	s_cmp_lg_u64 s[12:13], 0
	s_cselect_b32 s1, -1, 0
	s_and_b32 s0, s1, s0
.LBB215_2:
	s_andn2_b32 vcc_lo, exec_lo, s0
	s_cbranch_vccnz .LBB215_28
; %bb.3:
	v_cmp_eq_f64_e64 s0, s[14:15], 0
	s_load_dword s4, s[4:5], 0x0
	v_cmp_lt_i64_e64 s1, s[12:13], 1
	v_mov_b32_e32 v10, 0
	v_mov_b32_e32 v6, 0
	;; [unrolled: 1-line block ×8, first 2 shown]
	s_lshl_b32 s5, s6, 5
	s_lshl_b32 s6, s7, 5
	s_or_b32 s0, s0, s1
	s_and_b32 vcc_lo, exec_lo, s0
	s_cbranch_vccnz .LBB215_12
; %bb.4:
	v_lshl_add_u32 v5, v1, 4, v0
	s_mul_i32 s1, s27, s8
	s_mul_hi_u32 s2, s26, s8
	s_mul_i32 s0, s26, s8
	s_add_i32 s1, s2, s1
	v_and_b32_e32 v6, 31, v5
	s_lshl_b64 s[0:1], s[0:1], 3
	s_mul_i32 s2, s21, s8
	s_add_u32 s3, s22, s0
	s_addc_u32 s7, s23, s1
	v_or_b32_e32 v7, s5, v6
	s_mul_hi_u32 s1, s20, s8
	s_mul_i32 s0, s20, s8
	s_add_i32 s1, s1, s2
	v_lshrrev_b32_e32 v9, 3, v5
	v_mul_lo_u32 v8, s19, v7
	v_mad_u64_u32 v[2:3], null, s18, v7, 0
	s_lshl_b64 s[0:1], s[0:1], 3
	v_add_nc_u32_e32 v4, s6, v9
	s_add_u32 s2, s16, s0
	s_addc_u32 s1, s17, s1
	s_ashr_i32 s0, s5, 31
	v_and_b32_e32 v16, 7, v0
	s_mul_i32 s0, s18, s0
	v_lshrrev_b32_e32 v17, 5, v5
	v_add3_u32 v3, v3, s0, v8
	v_lshlrev_b32_e32 v6, 3, v6
	v_ashrrev_i32_e32 v5, 31, v4
	v_lshlrev_b32_e32 v8, 3, v16
	s_waitcnt lgkmcnt(0)
	v_cmp_gt_i32_e64 s0, s4, v7
	v_lshlrev_b64 v[2:3], 3, v[2:3]
	v_lshl_or_b32 v18, v17, 8, v6
	v_lshlrev_b64 v[5:6], 3, v[4:5]
	v_lshl_or_b32 v7, v9, 6, v8
	v_mov_b32_e32 v10, 0
	v_lshlrev_b32_e32 v24, 3, v0
	v_add_co_u32 v19, vcc_lo, s2, v2
	v_add_co_ci_u32_e64 v20, null, s1, v3, vcc_lo
	v_add_co_u32 v22, vcc_lo, s3, v5
	v_cmp_gt_i32_e64 s1, s4, v4
	v_add_nc_u32_e32 v21, 0x800, v7
	v_add_co_ci_u32_e64 v23, null, s7, v6, vcc_lo
	v_mov_b32_e32 v2, 0
	v_mov_b32_e32 v4, 0
	;; [unrolled: 1-line block ×3, first 2 shown]
	v_lshl_add_u32 v25, v1, 6, 0x800
	v_mov_b32_e32 v3, 0
	v_mov_b32_e32 v5, 0
	;; [unrolled: 1-line block ×5, first 2 shown]
	s_mov_b64 s[2:3], 0
	s_branch .LBB215_6
.LBB215_5:                              ;   in Loop: Header=BB215_6 Depth=1
	s_or_b32 exec_lo, exec_lo, s7
	s_waitcnt vmcnt(0)
	ds_write_b64 v21, v[14:15]
	s_waitcnt lgkmcnt(0)
	s_barrier
	buffer_gl0_inv
	ds_read_b128 v[12:15], v25
	ds_read2_b64 v[26:29], v24 offset1:16
	ds_read_b128 v[30:33], v25 offset:1024
	ds_read_b128 v[34:37], v25 offset:16
	ds_read2_b64 v[38:41], v24 offset0:32 offset1:48
	ds_read_b128 v[42:45], v25 offset:1040
	s_add_u32 s2, s2, 8
	s_addc_u32 s3, s3, 0
	v_cmp_gt_i64_e64 s7, s[12:13], s[2:3]
	s_and_b32 vcc_lo, exec_lo, s7
	s_waitcnt lgkmcnt(4)
	v_fma_f64 v[10:11], v[26:27], v[12:13], v[10:11]
	v_fma_f64 v[6:7], v[28:29], v[12:13], v[6:7]
	s_waitcnt lgkmcnt(3)
	v_fma_f64 v[12:13], v[26:27], v[30:31], v[4:5]
	v_fma_f64 v[26:27], v[28:29], v[30:31], v[2:3]
	ds_read2_b64 v[2:5], v24 offset0:64 offset1:80
	s_waitcnt lgkmcnt(2)
	v_fma_f64 v[28:29], v[38:39], v[14:15], v[10:11]
	v_fma_f64 v[6:7], v[40:41], v[14:15], v[6:7]
	;; [unrolled: 1-line block ×4, first 2 shown]
	ds_read2_b64 v[10:13], v24 offset0:96 offset1:112
	s_waitcnt lgkmcnt(1)
	v_fma_f64 v[30:31], v[2:3], v[34:35], v[28:29]
	v_fma_f64 v[6:7], v[4:5], v[34:35], v[6:7]
	;; [unrolled: 1-line block ×4, first 2 shown]
	ds_read_b128 v[2:5], v25 offset:32
	ds_read2_b64 v[26:29], v24 offset0:128 offset1:144
	s_waitcnt lgkmcnt(2)
	v_fma_f64 v[42:43], v[10:11], v[36:37], v[30:31]
	v_fma_f64 v[6:7], v[12:13], v[36:37], v[6:7]
	;; [unrolled: 1-line block ×4, first 2 shown]
	ds_read_b128 v[10:13], v25 offset:1056
	ds_read_b128 v[30:33], v25 offset:48
	ds_read2_b64 v[34:37], v24 offset0:160 offset1:176
	ds_read_b128 v[38:41], v25 offset:1072
	s_waitcnt lgkmcnt(4)
	v_fma_f64 v[42:43], v[26:27], v[2:3], v[42:43]
	v_fma_f64 v[2:3], v[28:29], v[2:3], v[6:7]
	s_waitcnt lgkmcnt(3)
	v_fma_f64 v[6:7], v[26:27], v[10:11], v[14:15]
	v_fma_f64 v[10:11], v[28:29], v[10:11], v[44:45]
	ds_read2_b64 v[26:29], v24 offset0:192 offset1:208
	s_waitcnt lgkmcnt(2)
	v_fma_f64 v[42:43], v[34:35], v[4:5], v[42:43]
	v_fma_f64 v[2:3], v[36:37], v[4:5], v[2:3]
	;; [unrolled: 1-line block ×4, first 2 shown]
	ds_read2_b64 v[12:15], v24 offset0:224 offset1:240
	s_waitcnt lgkmcnt(0)
	s_barrier
	buffer_gl0_inv
	v_fma_f64 v[10:11], v[26:27], v[30:31], v[42:43]
	v_fma_f64 v[2:3], v[28:29], v[30:31], v[2:3]
	v_fma_f64 v[4:5], v[26:27], v[38:39], v[4:5]
	v_fma_f64 v[26:27], v[28:29], v[38:39], v[6:7]
	v_fma_f64 v[10:11], v[12:13], v[32:33], v[10:11]
	v_fma_f64 v[6:7], v[14:15], v[32:33], v[2:3]
	v_fma_f64 v[4:5], v[12:13], v[40:41], v[4:5]
	v_fma_f64 v[2:3], v[14:15], v[40:41], v[26:27]
	s_cbranch_vccz .LBB215_12
.LBB215_6:                              ; =>This Inner Loop Header: Depth=1
	v_mov_b32_e32 v12, 0
	v_mov_b32_e32 v13, 0
	s_and_saveexec_b32 s7, s0
	s_cbranch_execz .LBB215_10
; %bb.7:                                ;   in Loop: Header=BB215_6 Depth=1
	v_mov_b32_e32 v12, 0
	v_add_nc_u32_e32 v8, s2, v17
	v_mov_b32_e32 v13, 0
	s_mov_b32 s9, exec_lo
	v_cmpx_gt_u64_e64 s[12:13], v[8:9]
	s_cbranch_execz .LBB215_9
; %bb.8:                                ;   in Loop: Header=BB215_6 Depth=1
	v_lshlrev_b64 v[12:13], 3, v[8:9]
	v_add_co_u32 v12, vcc_lo, v19, v12
	v_add_co_ci_u32_e64 v13, null, v20, v13, vcc_lo
	global_load_dwordx2 v[12:13], v[12:13], off
.LBB215_9:                              ;   in Loop: Header=BB215_6 Depth=1
	s_or_b32 exec_lo, exec_lo, s9
.LBB215_10:                             ;   in Loop: Header=BB215_6 Depth=1
	s_or_b32 exec_lo, exec_lo, s7
	v_add_nc_u32_e32 v8, s2, v16
	v_mov_b32_e32 v14, 0
	v_mov_b32_e32 v15, 0
	s_waitcnt vmcnt(0)
	ds_write_b64 v18, v[12:13]
	v_cmp_gt_u64_e32 vcc_lo, s[12:13], v[8:9]
	s_and_b32 s9, vcc_lo, s1
	s_and_saveexec_b32 s7, s9
	s_cbranch_execz .LBB215_5
; %bb.11:                               ;   in Loop: Header=BB215_6 Depth=1
	v_mad_u64_u32 v[12:13], null, s24, v8, 0
	v_mad_u64_u32 v[13:14], null, s25, v8, v[13:14]
	v_lshlrev_b64 v[12:13], 3, v[12:13]
	v_add_co_u32 v12, vcc_lo, v22, v12
	v_add_co_ci_u32_e64 v13, null, v23, v13, vcc_lo
	global_load_dwordx2 v[14:15], v[12:13], off
	s_branch .LBB215_5
.LBB215_12:
	v_add_nc_u32_e32 v13, s6, v1
	s_mul_i32 s1, s43, s8
	s_mul_hi_u32 s2, s42, s8
	s_mul_i32 s0, s42, s8
	s_add_i32 s1, s2, s1
	v_ashrrev_i32_e32 v1, 31, v13
	v_cmp_neq_f64_e64 s2, s[36:37], 0
	v_mul_lo_u32 v12, s41, v13
	v_mad_u64_u32 v[8:9], null, s40, v13, 0
	v_mul_lo_u32 v1, s40, v1
	v_add_nc_u32_e32 v0, s5, v0
	s_lshl_b64 s[6:7], s[0:1], 3
	s_add_u32 s3, s38, s6
	s_addc_u32 s5, s39, s7
	v_cmp_le_i32_e32 vcc_lo, v13, v0
	s_waitcnt lgkmcnt(0)
	v_cmp_gt_i32_e64 s0, s4, v0
	v_add3_u32 v9, v9, v1, v12
	v_ashrrev_i32_e32 v1, 31, v0
	s_and_b32 s6, vcc_lo, s0
	v_lshlrev_b64 v[8:9], 3, v[8:9]
	v_cndmask_b32_e64 v12, 0, 1, s2
	v_add_co_u32 v14, s1, s3, v8
	v_add_co_ci_u32_e64 v15, null, s5, v9, s1
	s_and_saveexec_b32 s1, s6
	s_cbranch_execz .LBB215_16
; %bb.13:
	v_mul_f64 v[8:9], s[14:15], v[10:11]
	v_lshlrev_b64 v[10:11], 3, v[0:1]
	v_add_co_u32 v10, vcc_lo, v14, v10
	v_add_co_ci_u32_e64 v11, null, v15, v11, vcc_lo
	s_andn2_b32 vcc_lo, exec_lo, s2
	s_cbranch_vccnz .LBB215_15
; %bb.14:
	global_load_dwordx2 v[16:17], v[10:11], off
	s_waitcnt vmcnt(0)
	v_fma_f64 v[8:9], s[36:37], v[16:17], v[8:9]
.LBB215_15:
	global_store_dwordx2 v[10:11], v[8:9], off
.LBB215_16:
	s_or_b32 exec_lo, exec_lo, s1
	v_add_nc_u32_e32 v8, 16, v0
	v_cmp_le_i32_e32 vcc_lo, v13, v8
	v_cmp_gt_i32_e64 s1, s4, v8
	v_ashrrev_i32_e32 v9, 31, v8
	s_and_b32 s2, vcc_lo, s1
	s_and_saveexec_b32 s4, s2
	s_cbranch_execz .LBB215_20
; %bb.17:
	v_mul_f64 v[6:7], s[14:15], v[6:7]
	v_lshlrev_b64 v[10:11], 3, v[8:9]
	v_cmp_ne_u32_e32 vcc_lo, 1, v12
	v_add_co_u32 v10, s2, v14, v10
	v_add_co_ci_u32_e64 v11, null, v15, v11, s2
	s_cbranch_vccnz .LBB215_19
; %bb.18:
	global_load_dwordx2 v[14:15], v[10:11], off
	s_waitcnt vmcnt(0)
	v_fma_f64 v[6:7], s[36:37], v[14:15], v[6:7]
.LBB215_19:
	global_store_dwordx2 v[10:11], v[6:7], off
.LBB215_20:
	s_or_b32 exec_lo, exec_lo, s4
	v_add_nc_u32_e32 v10, 16, v13
	v_ashrrev_i32_e32 v11, 31, v10
	v_mul_lo_u32 v13, s41, v10
	v_mad_u64_u32 v[6:7], null, s40, v10, 0
	v_cmp_le_i32_e32 vcc_lo, v10, v0
	v_mul_lo_u32 v11, s40, v11
	s_and_b32 s0, vcc_lo, s0
	v_add3_u32 v7, v7, v11, v13
	v_lshlrev_b64 v[6:7], 3, v[6:7]
	v_add_co_u32 v6, s2, s3, v6
	v_add_co_ci_u32_e64 v7, null, s5, v7, s2
	s_and_saveexec_b32 s2, s0
	s_cbranch_execz .LBB215_24
; %bb.21:
	v_mul_f64 v[4:5], s[14:15], v[4:5]
	v_lshlrev_b64 v[0:1], 3, v[0:1]
	v_cmp_ne_u32_e32 vcc_lo, 1, v12
	v_add_co_u32 v0, s0, v6, v0
	v_add_co_ci_u32_e64 v1, null, v7, v1, s0
	s_cbranch_vccnz .LBB215_23
; %bb.22:
	global_load_dwordx2 v[13:14], v[0:1], off
	s_waitcnt vmcnt(0)
	v_fma_f64 v[4:5], s[36:37], v[13:14], v[4:5]
.LBB215_23:
	global_store_dwordx2 v[0:1], v[4:5], off
.LBB215_24:
	s_or_b32 exec_lo, exec_lo, s2
	v_cmp_le_i32_e32 vcc_lo, v10, v8
	s_and_b32 s0, vcc_lo, s1
	s_and_saveexec_b32 s1, s0
	s_cbranch_execz .LBB215_28
; %bb.25:
	v_mul_f64 v[0:1], s[14:15], v[2:3]
	v_lshlrev_b64 v[2:3], 3, v[8:9]
	v_cmp_ne_u32_e32 vcc_lo, 1, v12
	v_add_co_u32 v2, s0, v6, v2
	v_add_co_ci_u32_e64 v3, null, v7, v3, s0
	s_cbranch_vccnz .LBB215_27
; %bb.26:
	global_load_dwordx2 v[4:5], v[2:3], off
	s_waitcnt vmcnt(0)
	v_fma_f64 v[0:1], s[36:37], v[4:5], v[0:1]
.LBB215_27:
	global_store_dwordx2 v[2:3], v[0:1], off
.LBB215_28:
	s_endpgm
	.section	.rodata,"a",@progbits
	.p2align	6, 0x0
	.amdhsa_kernel _ZL29rocblas_internal_gemmt_kernelIlLi16ELi32ELi8ELc67ELc67ELc76ELb0ELb0EddPKdPdEviT_T9_T10_S3_lS5_S3_lS4_T11_S3_li
		.amdhsa_group_segment_fixed_size 4096
		.amdhsa_private_segment_fixed_size 0
		.amdhsa_kernarg_size 108
		.amdhsa_user_sgpr_count 6
		.amdhsa_user_sgpr_private_segment_buffer 1
		.amdhsa_user_sgpr_dispatch_ptr 0
		.amdhsa_user_sgpr_queue_ptr 0
		.amdhsa_user_sgpr_kernarg_segment_ptr 1
		.amdhsa_user_sgpr_dispatch_id 0
		.amdhsa_user_sgpr_flat_scratch_init 0
		.amdhsa_user_sgpr_private_segment_size 0
		.amdhsa_wavefront_size32 1
		.amdhsa_uses_dynamic_stack 0
		.amdhsa_system_sgpr_private_segment_wavefront_offset 0
		.amdhsa_system_sgpr_workgroup_id_x 1
		.amdhsa_system_sgpr_workgroup_id_y 1
		.amdhsa_system_sgpr_workgroup_id_z 1
		.amdhsa_system_sgpr_workgroup_info 0
		.amdhsa_system_vgpr_workitem_id 1
		.amdhsa_next_free_vgpr 46
		.amdhsa_next_free_sgpr 44
		.amdhsa_reserve_vcc 1
		.amdhsa_reserve_flat_scratch 0
		.amdhsa_float_round_mode_32 0
		.amdhsa_float_round_mode_16_64 0
		.amdhsa_float_denorm_mode_32 3
		.amdhsa_float_denorm_mode_16_64 3
		.amdhsa_dx10_clamp 1
		.amdhsa_ieee_mode 1
		.amdhsa_fp16_overflow 0
		.amdhsa_workgroup_processor_mode 1
		.amdhsa_memory_ordered 1
		.amdhsa_forward_progress 1
		.amdhsa_shared_vgpr_count 0
		.amdhsa_exception_fp_ieee_invalid_op 0
		.amdhsa_exception_fp_denorm_src 0
		.amdhsa_exception_fp_ieee_div_zero 0
		.amdhsa_exception_fp_ieee_overflow 0
		.amdhsa_exception_fp_ieee_underflow 0
		.amdhsa_exception_fp_ieee_inexact 0
		.amdhsa_exception_int_div_zero 0
	.end_amdhsa_kernel
	.section	.text._ZL29rocblas_internal_gemmt_kernelIlLi16ELi32ELi8ELc67ELc67ELc76ELb0ELb0EddPKdPdEviT_T9_T10_S3_lS5_S3_lS4_T11_S3_li,"axG",@progbits,_ZL29rocblas_internal_gemmt_kernelIlLi16ELi32ELi8ELc67ELc67ELc76ELb0ELb0EddPKdPdEviT_T9_T10_S3_lS5_S3_lS4_T11_S3_li,comdat
.Lfunc_end215:
	.size	_ZL29rocblas_internal_gemmt_kernelIlLi16ELi32ELi8ELc67ELc67ELc76ELb0ELb0EddPKdPdEviT_T9_T10_S3_lS5_S3_lS4_T11_S3_li, .Lfunc_end215-_ZL29rocblas_internal_gemmt_kernelIlLi16ELi32ELi8ELc67ELc67ELc76ELb0ELb0EddPKdPdEviT_T9_T10_S3_lS5_S3_lS4_T11_S3_li
                                        ; -- End function
	.set _ZL29rocblas_internal_gemmt_kernelIlLi16ELi32ELi8ELc67ELc67ELc76ELb0ELb0EddPKdPdEviT_T9_T10_S3_lS5_S3_lS4_T11_S3_li.num_vgpr, 46
	.set _ZL29rocblas_internal_gemmt_kernelIlLi16ELi32ELi8ELc67ELc67ELc76ELb0ELb0EddPKdPdEviT_T9_T10_S3_lS5_S3_lS4_T11_S3_li.num_agpr, 0
	.set _ZL29rocblas_internal_gemmt_kernelIlLi16ELi32ELi8ELc67ELc67ELc76ELb0ELb0EddPKdPdEviT_T9_T10_S3_lS5_S3_lS4_T11_S3_li.numbered_sgpr, 44
	.set _ZL29rocblas_internal_gemmt_kernelIlLi16ELi32ELi8ELc67ELc67ELc76ELb0ELb0EddPKdPdEviT_T9_T10_S3_lS5_S3_lS4_T11_S3_li.num_named_barrier, 0
	.set _ZL29rocblas_internal_gemmt_kernelIlLi16ELi32ELi8ELc67ELc67ELc76ELb0ELb0EddPKdPdEviT_T9_T10_S3_lS5_S3_lS4_T11_S3_li.private_seg_size, 0
	.set _ZL29rocblas_internal_gemmt_kernelIlLi16ELi32ELi8ELc67ELc67ELc76ELb0ELb0EddPKdPdEviT_T9_T10_S3_lS5_S3_lS4_T11_S3_li.uses_vcc, 1
	.set _ZL29rocblas_internal_gemmt_kernelIlLi16ELi32ELi8ELc67ELc67ELc76ELb0ELb0EddPKdPdEviT_T9_T10_S3_lS5_S3_lS4_T11_S3_li.uses_flat_scratch, 0
	.set _ZL29rocblas_internal_gemmt_kernelIlLi16ELi32ELi8ELc67ELc67ELc76ELb0ELb0EddPKdPdEviT_T9_T10_S3_lS5_S3_lS4_T11_S3_li.has_dyn_sized_stack, 0
	.set _ZL29rocblas_internal_gemmt_kernelIlLi16ELi32ELi8ELc67ELc67ELc76ELb0ELb0EddPKdPdEviT_T9_T10_S3_lS5_S3_lS4_T11_S3_li.has_recursion, 0
	.set _ZL29rocblas_internal_gemmt_kernelIlLi16ELi32ELi8ELc67ELc67ELc76ELb0ELb0EddPKdPdEviT_T9_T10_S3_lS5_S3_lS4_T11_S3_li.has_indirect_call, 0
	.section	.AMDGPU.csdata,"",@progbits
; Kernel info:
; codeLenInByte = 1652
; TotalNumSgprs: 46
; NumVgprs: 46
; ScratchSize: 0
; MemoryBound: 0
; FloatMode: 240
; IeeeMode: 1
; LDSByteSize: 4096 bytes/workgroup (compile time only)
; SGPRBlocks: 0
; VGPRBlocks: 5
; NumSGPRsForWavesPerEU: 46
; NumVGPRsForWavesPerEU: 46
; Occupancy: 16
; WaveLimiterHint : 0
; COMPUTE_PGM_RSRC2:SCRATCH_EN: 0
; COMPUTE_PGM_RSRC2:USER_SGPR: 6
; COMPUTE_PGM_RSRC2:TRAP_HANDLER: 0
; COMPUTE_PGM_RSRC2:TGID_X_EN: 1
; COMPUTE_PGM_RSRC2:TGID_Y_EN: 1
; COMPUTE_PGM_RSRC2:TGID_Z_EN: 1
; COMPUTE_PGM_RSRC2:TIDIG_COMP_CNT: 1
	.section	.text._ZL29rocblas_internal_gemmt_kernelIlLi16ELi32ELi8ELc78ELc78ELc85ELb0ELb0E19rocblas_complex_numIfEPKS1_S3_PS1_EviT_T9_T10_S5_lS7_S5_lS6_T11_S5_li,"axG",@progbits,_ZL29rocblas_internal_gemmt_kernelIlLi16ELi32ELi8ELc78ELc78ELc85ELb0ELb0E19rocblas_complex_numIfEPKS1_S3_PS1_EviT_T9_T10_S5_lS7_S5_lS6_T11_S5_li,comdat
	.globl	_ZL29rocblas_internal_gemmt_kernelIlLi16ELi32ELi8ELc78ELc78ELc85ELb0ELb0E19rocblas_complex_numIfEPKS1_S3_PS1_EviT_T9_T10_S5_lS7_S5_lS6_T11_S5_li ; -- Begin function _ZL29rocblas_internal_gemmt_kernelIlLi16ELi32ELi8ELc78ELc78ELc85ELb0ELb0E19rocblas_complex_numIfEPKS1_S3_PS1_EviT_T9_T10_S5_lS7_S5_lS6_T11_S5_li
	.p2align	8
	.type	_ZL29rocblas_internal_gemmt_kernelIlLi16ELi32ELi8ELc78ELc78ELc85ELb0ELb0E19rocblas_complex_numIfEPKS1_S3_PS1_EviT_T9_T10_S5_lS7_S5_lS6_T11_S5_li,@function
_ZL29rocblas_internal_gemmt_kernelIlLi16ELi32ELi8ELc78ELc78ELc85ELb0ELb0E19rocblas_complex_numIfEPKS1_S3_PS1_EviT_T9_T10_S5_lS7_S5_lS6_T11_S5_li: ; @_ZL29rocblas_internal_gemmt_kernelIlLi16ELi32ELi8ELc78ELc78ELc85ELb0ELb0E19rocblas_complex_numIfEPKS1_S3_PS1_EviT_T9_T10_S5_lS7_S5_lS6_T11_S5_li
; %bb.0:
	s_clause 0x1
	s_load_dwordx8 s[36:43], s[4:5], 0x48
	s_load_dwordx16 s[12:27], s[4:5], 0x8
	s_waitcnt lgkmcnt(0)
	s_load_dwordx2 s[2:3], s[36:37], 0x0
	s_load_dwordx2 s[10:11], s[14:15], 0x0
	s_waitcnt lgkmcnt(0)
	s_and_b32 s0, s3, 0x7fffffff
	v_cmp_eq_f32_e64 s1, s2, 1.0
	s_cmp_eq_u32 s0, 0
	s_mov_b32 s0, 0
	s_cselect_b32 s14, -1, 0
	s_and_b32 s1, s1, s14
	s_andn2_b32 vcc_lo, exec_lo, s1
	s_mov_b32 s1, -1
	s_cbranch_vccnz .LBB216_4
; %bb.1:
	s_cmp_lg_u64 s[12:13], 0
	s_cbranch_scc0 .LBB216_3
; %bb.2:
	v_cmp_neq_f32_e64 s0, s10, 0
	v_cmp_neq_f32_e64 s1, s11, 0
	s_or_b32 s0, s0, s1
.LBB216_3:
	s_mov_b32 s1, s0
.LBB216_4:
	s_and_b32 vcc_lo, exec_lo, s1
	s_cbranch_vccz .LBB216_34
; %bb.5:
	s_load_dword s9, s[4:5], 0x0
	v_cmp_eq_f32_e64 s0, s10, 0
	v_cmp_eq_f32_e64 s1, s11, 0
	v_cmp_lt_i64_e64 s4, s[12:13], 1
	v_mov_b32_e32 v22, 0
	v_mov_b32_e32 v23, 0
	;; [unrolled: 1-line block ×3, first 2 shown]
	s_and_b32 s0, s0, s1
	v_mov_b32_e32 v21, 0
	v_mov_b32_e32 v18, 0
	;; [unrolled: 1-line block ×5, first 2 shown]
	s_or_b32 s0, s0, s4
	s_lshl_b32 s6, s6, 5
	s_and_b32 vcc_lo, exec_lo, s0
	s_lshl_b32 s7, s7, 5
	s_cbranch_vccnz .LBB216_18
; %bb.6:
	v_lshl_add_u32 v3, v1, 4, v0
	s_mul_i32 s1, s27, s8
	s_mul_hi_u32 s4, s26, s8
	s_mul_i32 s0, s26, s8
	s_add_i32 s1, s4, s1
	v_lshrrev_b32_e32 v11, 3, v3
	v_and_b32_e32 v8, 31, v3
	s_lshl_b64 s[0:1], s[0:1], 3
	v_and_b32_e32 v6, 7, v0
	v_lshrrev_b32_e32 v7, 5, v3
	v_add_nc_u32_e32 v12, s7, v11
	v_or_b32_e32 v2, s6, v8
	s_mul_i32 s5, s21, s8
	s_mul_hi_u32 s15, s20, s8
	s_mul_i32 s4, s20, s8
	v_ashrrev_i32_e32 v4, 31, v12
	v_mul_lo_u32 v9, s25, v12
	v_ashrrev_i32_e32 v3, 31, v2
	s_add_u32 s20, s22, s0
	s_addc_u32 s21, s23, s1
	v_mul_lo_u32 v10, s24, v4
	v_mad_u64_u32 v[4:5], null, s24, v12, 0
	s_add_i32 s5, s15, s5
	v_lshlrev_b32_e32 v13, 3, v6
	s_lshl_b64 s[0:1], s[4:5], 3
	s_waitcnt lgkmcnt(0)
	v_cmp_le_i32_e64 s15, s9, v2
	s_add_u32 s4, s16, s0
	v_cmp_gt_i32_e64 s0, s9, v2
	v_add3_u32 v5, v5, v10, v9
	v_lshlrev_b64 v[9:10], 3, v[2:3]
	v_lshlrev_b32_e32 v8, 3, v8
	v_lshl_or_b32 v11, v11, 6, v13
	s_addc_u32 s1, s17, s1
	v_lshlrev_b64 v[2:3], 3, v[4:5]
	v_lshlrev_b32_e32 v14, 3, v0
	v_add_co_u32 v9, vcc_lo, s4, v9
	v_add_co_ci_u32_e64 v10, null, s1, v10, vcc_lo
	v_cmp_gt_i32_e32 vcc_lo, s9, v12
	v_add_co_u32 v12, s1, s20, v2
	v_lshl_or_b32 v8, v7, 8, v8
	v_add_nc_u32_e32 v11, 0x800, v11
	v_add_co_ci_u32_e64 v13, null, s21, v3, s1
	v_lshl_add_u32 v15, v1, 6, 0x800
	v_mov_b32_e32 v3, 0
	v_mov_b32_e32 v17, 0
	;; [unrolled: 1-line block ×9, first 2 shown]
	s_mov_b64 s[4:5], 0
	s_xor_b32 s1, vcc_lo, -1
                                        ; implicit-def: $vgpr4_vgpr5
	s_branch .LBB216_8
.LBB216_7:                              ;   in Loop: Header=BB216_8 Depth=1
	s_or_b32 exec_lo, exec_lo, s16
	s_waitcnt lgkmcnt(0)
	s_barrier
	buffer_gl0_inv
	ds_read_b128 v[24:27], v15
	ds_read2_b64 v[28:31], v14 offset1:16
	ds_read_b128 v[32:35], v15 offset:1024
	ds_read_b128 v[36:39], v15 offset:16
	ds_read_b128 v[40:43], v15 offset:32
	ds_read_b128 v[44:47], v15 offset:48
	ds_read2_b64 v[48:51], v14 offset0:32 offset1:48
	ds_read_b128 v[52:55], v15 offset:1040
	s_add_u32 s4, s4, 8
	s_addc_u32 s5, s5, 0
	v_cmp_gt_i64_e64 s16, s[12:13], s[4:5]
	s_and_b32 vcc_lo, exec_lo, s16
	s_waitcnt lgkmcnt(6)
	v_mul_f32_e32 v2, v25, v29
	v_mul_f32_e32 v56, v24, v29
	;; [unrolled: 1-line block ×4, first 2 shown]
	s_waitcnt lgkmcnt(5)
	v_mul_f32_e32 v59, v33, v29
	v_mul_f32_e32 v29, v32, v29
	;; [unrolled: 1-line block ×3, first 2 shown]
	v_fma_f32 v2, v24, v28, -v2
	v_fmac_f32_e32 v56, v25, v28
	v_fma_f32 v24, v24, v30, -v57
	v_fmac_f32_e32 v58, v25, v30
	;; [unrolled: 2-line block ×3, first 2 shown]
	v_mul_f32_e32 v31, v32, v31
	v_fma_f32 v28, v32, v30, -v60
	v_add_f32_e32 v2, v22, v2
	v_add_f32_e32 v22, v23, v56
	;; [unrolled: 1-line block ×6, first 2 shown]
	s_waitcnt lgkmcnt(1)
	v_mul_f32_e32 v32, v27, v49
	ds_read2_b64 v[18:21], v14 offset0:64 offset1:80
	v_fmac_f32_e32 v31, v33, v30
	v_add_f32_e32 v16, v16, v28
	v_mul_f32_e32 v28, v26, v49
	v_fma_f32 v30, v26, v48, -v32
	v_mul_f32_e32 v32, v27, v51
	v_add_f32_e32 v17, v17, v31
	v_mul_f32_e32 v31, v26, v51
	v_fmac_f32_e32 v28, v27, v48
	v_add_f32_e32 v2, v2, v30
	v_fma_f32 v26, v26, v50, -v32
	v_mul_f32_e32 v30, v35, v49
	v_fmac_f32_e32 v31, v27, v50
	v_add_f32_e32 v28, v22, v28
	v_mul_f32_e32 v22, v34, v49
	v_add_f32_e32 v26, v23, v26
	v_fma_f32 v23, v34, v48, -v30
	v_mul_f32_e32 v27, v35, v51
	v_add_f32_e32 v30, v24, v31
	v_fmac_f32_e32 v22, v35, v48
	v_mul_f32_e32 v31, v34, v51
	v_add_f32_e32 v32, v25, v23
	v_fma_f32 v23, v34, v50, -v27
	s_waitcnt lgkmcnt(0)
	v_mul_f32_e32 v24, v37, v19
	v_add_f32_e32 v27, v29, v22
	v_fmac_f32_e32 v31, v35, v50
	v_mul_f32_e32 v29, v36, v19
	v_add_f32_e32 v16, v16, v23
	v_fma_f32 v33, v36, v18, -v24
	v_mul_f32_e32 v34, v37, v21
	ds_read2_b64 v[22:25], v14 offset0:96 offset1:112
	v_fmac_f32_e32 v29, v37, v18
	v_add_f32_e32 v31, v17, v31
	v_add_f32_e32 v2, v2, v33
	v_mul_f32_e32 v17, v36, v21
	v_fma_f32 v33, v36, v20, -v34
	v_add_f32_e32 v28, v28, v29
	v_mul_f32_e32 v29, v53, v19
	v_mul_f32_e32 v19, v52, v19
	v_fmac_f32_e32 v17, v37, v20
	v_add_f32_e32 v26, v26, v33
	v_mul_f32_e32 v33, v53, v21
	v_mul_f32_e32 v21, v52, v21
	v_fmac_f32_e32 v19, v53, v18
	v_add_f32_e32 v30, v30, v17
	v_fma_f32 v29, v52, v18, -v29
	v_fma_f32 v17, v52, v20, -v33
	v_fmac_f32_e32 v21, v53, v20
	v_add_f32_e32 v33, v27, v19
	s_waitcnt lgkmcnt(0)
	v_mul_f32_e32 v20, v39, v23
	v_add_f32_e32 v34, v16, v17
	ds_read2_b64 v[16:19], v14 offset0:128 offset1:144
	v_add_f32_e32 v32, v32, v29
	v_mul_f32_e32 v27, v38, v23
	v_mul_f32_e32 v29, v39, v25
	v_fma_f32 v20, v38, v22, -v20
	v_add_f32_e32 v31, v31, v21
	v_mul_f32_e32 v21, v38, v25
	v_fmac_f32_e32 v27, v39, v22
	v_fma_f32 v29, v38, v24, -v29
	v_add_f32_e32 v2, v2, v20
	v_mul_f32_e32 v20, v55, v23
	v_fmac_f32_e32 v21, v39, v24
	v_add_f32_e32 v35, v28, v27
	v_add_f32_e32 v36, v26, v29
	v_mul_f32_e32 v23, v54, v23
	v_fma_f32 v20, v54, v22, -v20
	v_mul_f32_e32 v37, v55, v25
	ds_read_b128 v[26:29], v15 offset:1056
	v_add_f32_e32 v38, v30, v21
	v_fmac_f32_e32 v23, v55, v22
	v_mul_f32_e32 v25, v54, v25
	v_fma_f32 v21, v54, v24, -v37
	v_add_f32_e32 v37, v32, v20
	s_waitcnt lgkmcnt(1)
	v_mul_f32_e32 v20, v41, v17
	v_add_f32_e32 v39, v33, v23
	v_fmac_f32_e32 v25, v55, v24
	v_add_f32_e32 v24, v34, v21
	v_mul_f32_e32 v32, v41, v19
	v_fma_f32 v30, v40, v16, -v20
	ds_read2_b64 v[20:23], v14 offset0:160 offset1:176
	v_mul_f32_e32 v34, v40, v17
	v_add_f32_e32 v25, v31, v25
	v_fma_f32 v48, v40, v18, -v32
	v_mul_f32_e32 v40, v40, v19
	v_add_f32_e32 v2, v2, v30
	v_fmac_f32_e32 v34, v41, v16
	ds_read_b128 v[30:33], v15 offset:1072
	s_waitcnt lgkmcnt(2)
	v_mul_f32_e32 v49, v27, v17
	v_mul_f32_e32 v17, v26, v17
	v_fmac_f32_e32 v40, v41, v18
	v_mul_f32_e32 v41, v27, v19
	v_add_f32_e32 v34, v35, v34
	v_add_f32_e32 v35, v36, v48
	v_fma_f32 v36, v26, v16, -v49
	v_fmac_f32_e32 v17, v27, v16
	v_add_f32_e32 v38, v38, v40
	v_mul_f32_e32 v40, v26, v19
	v_fma_f32 v16, v26, v18, -v41
	v_add_f32_e32 v36, v37, v36
	v_add_f32_e32 v26, v39, v17
	s_waitcnt lgkmcnt(1)
	v_mul_f32_e32 v37, v43, v21
	v_fmac_f32_e32 v40, v27, v18
	v_add_f32_e32 v24, v24, v16
	ds_read2_b64 v[16:19], v14 offset0:192 offset1:208
	v_mul_f32_e32 v27, v42, v21
	v_fma_f32 v37, v42, v20, -v37
	v_mul_f32_e32 v39, v43, v23
	v_add_f32_e32 v40, v25, v40
	v_mul_f32_e32 v25, v42, v23
	v_fmac_f32_e32 v27, v43, v20
	v_add_f32_e32 v2, v2, v37
	v_fma_f32 v37, v42, v22, -v39
	v_fmac_f32_e32 v25, v43, v22
	v_add_f32_e32 v34, v34, v27
	v_mul_f32_e32 v27, v29, v21
	v_mul_f32_e32 v21, v28, v21
	v_add_f32_e32 v35, v35, v37
	v_mul_f32_e32 v37, v29, v23
	v_add_f32_e32 v38, v38, v25
	v_fma_f32 v27, v28, v20, -v27
	v_fmac_f32_e32 v21, v29, v20
	v_mul_f32_e32 v20, v28, v23
	v_fma_f32 v23, v28, v22, -v37
	s_waitcnt lgkmcnt(0)
	v_mul_f32_e32 v25, v45, v17
	v_add_f32_e32 v28, v36, v27
	v_add_f32_e32 v21, v26, v21
	v_fmac_f32_e32 v20, v29, v22
	v_add_f32_e32 v22, v24, v23
	v_fma_f32 v29, v44, v16, -v25
	ds_read2_b64 v[24:27], v14 offset0:224 offset1:240
	v_mul_f32_e32 v23, v44, v17
	v_mul_f32_e32 v37, v31, v17
	v_mul_f32_e32 v17, v30, v17
	v_mul_f32_e32 v36, v45, v19
	v_add_f32_e32 v2, v2, v29
	v_fmac_f32_e32 v23, v45, v16
	v_mul_f32_e32 v29, v44, v19
	v_fmac_f32_e32 v17, v31, v16
	v_fma_f32 v36, v44, v18, -v36
	v_add_f32_e32 v20, v40, v20
	v_add_f32_e32 v23, v34, v23
	v_fma_f32 v34, v30, v16, -v37
	v_mul_f32_e32 v16, v31, v19
	v_mul_f32_e32 v19, v30, v19
	v_fmac_f32_e32 v29, v45, v18
	v_add_f32_e32 v17, v21, v17
	v_add_f32_e32 v35, v35, v36
	v_fma_f32 v16, v30, v18, -v16
	v_fmac_f32_e32 v19, v31, v18
	s_waitcnt lgkmcnt(0)
	v_mul_f32_e32 v21, v47, v25
	v_mul_f32_e32 v18, v47, v27
	v_add_f32_e32 v28, v28, v34
	v_mul_f32_e32 v30, v46, v25
	v_add_f32_e32 v16, v22, v16
	v_fma_f32 v21, v46, v24, -v21
	v_fma_f32 v18, v46, v26, -v18
	v_mul_f32_e32 v31, v46, v27
	v_add_f32_e32 v34, v20, v19
	v_mul_f32_e32 v19, v32, v25
	v_add_f32_e32 v22, v2, v21
	v_add_f32_e32 v20, v35, v18
	v_mul_f32_e32 v2, v33, v25
	v_mul_f32_e32 v18, v33, v27
	;; [unrolled: 1-line block ×3, first 2 shown]
	v_add_f32_e32 v29, v38, v29
	v_fmac_f32_e32 v30, v47, v24
	v_fmac_f32_e32 v31, v47, v26
	v_fma_f32 v2, v32, v24, -v2
	v_fmac_f32_e32 v19, v33, v24
	v_fma_f32 v24, v32, v26, -v18
	v_fmac_f32_e32 v25, v33, v26
	v_add_f32_e32 v23, v23, v30
	v_add_f32_e32 v21, v29, v31
	;; [unrolled: 1-line block ×6, first 2 shown]
	s_barrier
	buffer_gl0_inv
	s_cbranch_vccz .LBB216_18
.LBB216_8:                              ; =>This Inner Loop Header: Depth=1
	s_mov_b32 s20, s15
	s_mov_b32 s16, 0
	s_and_saveexec_b32 s17, s0
	s_cbranch_execnz .LBB216_16
; %bb.9:                                ;   in Loop: Header=BB216_8 Depth=1
	s_or_b32 exec_lo, exec_lo, s17
	s_and_saveexec_b32 s17, s20
	s_xor_b32 s17, exec_lo, s17
	s_cbranch_execnz .LBB216_17
.LBB216_10:                             ;   in Loop: Header=BB216_8 Depth=1
	s_or_b32 exec_lo, exec_lo, s17
	s_and_saveexec_b32 s17, s16
	s_cbranch_execz .LBB216_12
.LBB216_11:                             ;   in Loop: Header=BB216_8 Depth=1
	v_mul_lo_u32 v2, s19, v4
	v_mul_lo_u32 v26, s18, v5
	v_mad_u64_u32 v[24:25], null, s18, v4, 0
	v_add3_u32 v25, v25, v26, v2
	v_lshlrev_b64 v[24:25], 3, v[24:25]
	v_add_co_u32 v24, vcc_lo, v9, v24
	v_add_co_ci_u32_e64 v25, null, v10, v25, vcc_lo
	global_load_dwordx2 v[24:25], v[24:25], off
	s_waitcnt vmcnt(0)
	ds_write_b64 v8, v[24:25]
.LBB216_12:                             ;   in Loop: Header=BB216_8 Depth=1
	s_or_b32 exec_lo, exec_lo, s17
	v_add_nc_u32_e32 v2, s4, v6
	v_cmp_le_u64_e32 vcc_lo, s[12:13], v[2:3]
	s_or_b32 s16, vcc_lo, s1
	s_and_saveexec_b32 s17, s16
	s_xor_b32 s16, exec_lo, s17
; %bb.13:                               ;   in Loop: Header=BB216_8 Depth=1
	v_mov_b32_e32 v2, v3
	ds_write_b64 v11, v[2:3]
; %bb.14:                               ;   in Loop: Header=BB216_8 Depth=1
	s_andn2_saveexec_b32 s16, s16
	s_cbranch_execz .LBB216_7
; %bb.15:                               ;   in Loop: Header=BB216_8 Depth=1
	v_lshlrev_b64 v[24:25], 3, v[2:3]
	v_add_co_u32 v24, vcc_lo, v12, v24
	v_add_co_ci_u32_e64 v25, null, v13, v25, vcc_lo
	global_load_dwordx2 v[24:25], v[24:25], off
	s_waitcnt vmcnt(0)
	ds_write_b64 v11, v[24:25]
	s_branch .LBB216_7
.LBB216_16:                             ;   in Loop: Header=BB216_8 Depth=1
	v_add_nc_u32_e32 v2, s4, v7
	v_mov_b32_e32 v5, v3
	s_andn2_b32 s20, s15, exec_lo
	s_mov_b32 s16, exec_lo
	v_cmp_le_u64_e32 vcc_lo, s[12:13], v[2:3]
	v_mov_b32_e32 v4, v2
	s_and_b32 s21, vcc_lo, exec_lo
	s_or_b32 s20, s20, s21
	s_or_b32 exec_lo, exec_lo, s17
	s_and_saveexec_b32 s17, s20
	s_xor_b32 s17, exec_lo, s17
	s_cbranch_execz .LBB216_10
.LBB216_17:                             ;   in Loop: Header=BB216_8 Depth=1
	v_mov_b32_e32 v2, v3
	s_andn2_b32 s16, s16, exec_lo
	ds_write_b64 v8, v[2:3]
	s_or_b32 exec_lo, exec_lo, s17
	s_and_saveexec_b32 s17, s16
	s_cbranch_execnz .LBB216_11
	s_branch .LBB216_12
.LBB216_18:
	v_add_nc_u32_e32 v9, s7, v1
	s_mul_i32 s1, s43, s8
	s_mul_hi_u32 s4, s42, s8
	s_mul_i32 s0, s42, s8
	s_add_i32 s1, s4, s1
	v_ashrrev_i32_e32 v3, 31, v9
	v_mul_lo_u32 v4, s41, v9
	v_mad_u64_u32 v[1:2], null, s40, v9, 0
	v_add_nc_u32_e32 v0, s6, v0
	v_mul_lo_u32 v3, s40, v3
	v_cmp_neq_f32_e64 s6, s2, 0
	s_lshl_b64 s[4:5], s[0:1], 3
	s_waitcnt lgkmcnt(0)
	v_cmp_gt_i32_e64 s0, s9, v9
	s_add_u32 s4, s38, s4
	s_addc_u32 s5, s39, s5
	s_xor_b32 s7, s14, -1
	v_cmp_le_i32_e32 vcc_lo, v0, v9
	v_add3_u32 v2, v2, v3, v4
	s_or_b32 s6, s6, s7
	v_cndmask_b32_e64 v8, 0, 1, s6
	s_and_b32 s7, s0, vcc_lo
	v_lshlrev_b64 v[2:3], 3, v[1:2]
	v_ashrrev_i32_e32 v1, 31, v0
	v_add_co_u32 v6, s1, s4, v2
	v_add_co_ci_u32_e64 v7, null, s5, v3, s1
	s_and_saveexec_b32 s1, s7
	s_cbranch_execz .LBB216_22
; %bb.19:
	v_lshlrev_b64 v[4:5], 3, v[0:1]
	v_mul_f32_e32 v2, s11, v23
	v_mul_f32_e32 v3, s10, v23
	v_fma_f32 v2, v22, s10, -v2
	v_add_co_u32 v4, vcc_lo, v6, v4
	v_fmac_f32_e32 v3, s11, v22
	v_add_co_ci_u32_e64 v5, null, v7, v5, vcc_lo
	s_andn2_b32 vcc_lo, exec_lo, s6
	s_cbranch_vccnz .LBB216_21
; %bb.20:
	global_load_dwordx2 v[10:11], v[4:5], off
	s_waitcnt vmcnt(0)
	v_mul_f32_e32 v12, s3, v11
	v_mul_f32_e32 v11, s2, v11
	v_fma_f32 v12, v10, s2, -v12
	v_fmac_f32_e32 v11, s3, v10
	v_add_f32_e32 v2, v2, v12
	v_add_f32_e32 v3, v3, v11
.LBB216_21:
	global_store_dwordx2 v[4:5], v[2:3], off
.LBB216_22:
	s_or_b32 exec_lo, exec_lo, s1
	v_add_nc_u32_e32 v2, 16, v0
	v_cmp_le_i32_e32 vcc_lo, v2, v9
	v_ashrrev_i32_e32 v3, 31, v2
	s_and_b32 s0, s0, vcc_lo
	s_and_saveexec_b32 s1, s0
	s_cbranch_execz .LBB216_26
; %bb.23:
	v_lshlrev_b64 v[10:11], 3, v[2:3]
	v_mul_f32_e32 v4, s11, v21
	v_mul_f32_e32 v5, s10, v21
	v_cmp_ne_u32_e32 vcc_lo, 1, v8
	v_fma_f32 v4, v20, s10, -v4
	v_add_co_u32 v6, s0, v6, v10
	v_fmac_f32_e32 v5, s11, v20
	v_add_co_ci_u32_e64 v7, null, v7, v11, s0
	s_cbranch_vccnz .LBB216_25
; %bb.24:
	global_load_dwordx2 v[10:11], v[6:7], off
	s_waitcnt vmcnt(0)
	v_mul_f32_e32 v12, s3, v11
	v_mul_f32_e32 v11, s2, v11
	v_fma_f32 v12, v10, s2, -v12
	v_fmac_f32_e32 v11, s3, v10
	v_add_f32_e32 v4, v4, v12
	v_add_f32_e32 v5, v5, v11
.LBB216_25:
	global_store_dwordx2 v[6:7], v[4:5], off
.LBB216_26:
	s_or_b32 exec_lo, exec_lo, s1
	v_add_nc_u32_e32 v9, 16, v9
	v_ashrrev_i32_e32 v6, 31, v9
	v_mul_lo_u32 v7, s41, v9
	v_mad_u64_u32 v[4:5], null, s40, v9, 0
	v_cmp_gt_i32_e64 s0, s9, v9
	v_mul_lo_u32 v6, s40, v6
	v_cmp_le_i32_e32 vcc_lo, v0, v9
	v_add3_u32 v5, v5, v6, v7
	v_lshlrev_b64 v[4:5], 3, v[4:5]
	v_add_co_u32 v6, s1, s4, v4
	v_add_co_ci_u32_e64 v7, null, s5, v5, s1
	s_and_b32 s1, s0, vcc_lo
	s_and_saveexec_b32 s4, s1
	s_cbranch_execz .LBB216_30
; %bb.27:
	v_lshlrev_b64 v[0:1], 3, v[0:1]
	v_mul_f32_e32 v4, s11, v19
	v_mul_f32_e32 v5, s10, v19
	v_cmp_ne_u32_e32 vcc_lo, 1, v8
	v_fma_f32 v4, v18, s10, -v4
	v_add_co_u32 v0, s1, v6, v0
	v_fmac_f32_e32 v5, s11, v18
	v_add_co_ci_u32_e64 v1, null, v7, v1, s1
	s_cbranch_vccnz .LBB216_29
; %bb.28:
	global_load_dwordx2 v[10:11], v[0:1], off
	s_waitcnt vmcnt(0)
	v_mul_f32_e32 v12, s3, v11
	v_mul_f32_e32 v11, s2, v11
	v_fma_f32 v12, v10, s2, -v12
	v_fmac_f32_e32 v11, s3, v10
	v_add_f32_e32 v4, v4, v12
	v_add_f32_e32 v5, v5, v11
.LBB216_29:
	global_store_dwordx2 v[0:1], v[4:5], off
.LBB216_30:
	s_or_b32 exec_lo, exec_lo, s4
	v_cmp_le_i32_e32 vcc_lo, v2, v9
	s_and_b32 s0, s0, vcc_lo
	s_and_saveexec_b32 s1, s0
	s_cbranch_execz .LBB216_34
; %bb.31:
	v_lshlrev_b64 v[2:3], 3, v[2:3]
	v_mul_f32_e32 v0, s11, v17
	v_mul_f32_e32 v1, s10, v17
	v_cmp_ne_u32_e32 vcc_lo, 1, v8
	v_fma_f32 v0, v16, s10, -v0
	v_add_co_u32 v2, s0, v6, v2
	v_fmac_f32_e32 v1, s11, v16
	v_add_co_ci_u32_e64 v3, null, v7, v3, s0
	s_cbranch_vccnz .LBB216_33
; %bb.32:
	global_load_dwordx2 v[4:5], v[2:3], off
	s_waitcnt vmcnt(0)
	v_mul_f32_e32 v6, s3, v5
	v_mul_f32_e32 v5, s2, v5
	v_fma_f32 v6, v4, s2, -v6
	v_fmac_f32_e32 v5, s3, v4
	v_add_f32_e32 v0, v0, v6
	v_add_f32_e32 v1, v1, v5
.LBB216_33:
	global_store_dwordx2 v[2:3], v[0:1], off
.LBB216_34:
	s_endpgm
	.section	.rodata,"a",@progbits
	.p2align	6, 0x0
	.amdhsa_kernel _ZL29rocblas_internal_gemmt_kernelIlLi16ELi32ELi8ELc78ELc78ELc85ELb0ELb0E19rocblas_complex_numIfEPKS1_S3_PS1_EviT_T9_T10_S5_lS7_S5_lS6_T11_S5_li
		.amdhsa_group_segment_fixed_size 4096
		.amdhsa_private_segment_fixed_size 0
		.amdhsa_kernarg_size 108
		.amdhsa_user_sgpr_count 6
		.amdhsa_user_sgpr_private_segment_buffer 1
		.amdhsa_user_sgpr_dispatch_ptr 0
		.amdhsa_user_sgpr_queue_ptr 0
		.amdhsa_user_sgpr_kernarg_segment_ptr 1
		.amdhsa_user_sgpr_dispatch_id 0
		.amdhsa_user_sgpr_flat_scratch_init 0
		.amdhsa_user_sgpr_private_segment_size 0
		.amdhsa_wavefront_size32 1
		.amdhsa_uses_dynamic_stack 0
		.amdhsa_system_sgpr_private_segment_wavefront_offset 0
		.amdhsa_system_sgpr_workgroup_id_x 1
		.amdhsa_system_sgpr_workgroup_id_y 1
		.amdhsa_system_sgpr_workgroup_id_z 1
		.amdhsa_system_sgpr_workgroup_info 0
		.amdhsa_system_vgpr_workitem_id 1
		.amdhsa_next_free_vgpr 61
		.amdhsa_next_free_sgpr 44
		.amdhsa_reserve_vcc 1
		.amdhsa_reserve_flat_scratch 0
		.amdhsa_float_round_mode_32 0
		.amdhsa_float_round_mode_16_64 0
		.amdhsa_float_denorm_mode_32 3
		.amdhsa_float_denorm_mode_16_64 3
		.amdhsa_dx10_clamp 1
		.amdhsa_ieee_mode 1
		.amdhsa_fp16_overflow 0
		.amdhsa_workgroup_processor_mode 1
		.amdhsa_memory_ordered 1
		.amdhsa_forward_progress 1
		.amdhsa_shared_vgpr_count 0
		.amdhsa_exception_fp_ieee_invalid_op 0
		.amdhsa_exception_fp_denorm_src 0
		.amdhsa_exception_fp_ieee_div_zero 0
		.amdhsa_exception_fp_ieee_overflow 0
		.amdhsa_exception_fp_ieee_underflow 0
		.amdhsa_exception_fp_ieee_inexact 0
		.amdhsa_exception_int_div_zero 0
	.end_amdhsa_kernel
	.section	.text._ZL29rocblas_internal_gemmt_kernelIlLi16ELi32ELi8ELc78ELc78ELc85ELb0ELb0E19rocblas_complex_numIfEPKS1_S3_PS1_EviT_T9_T10_S5_lS7_S5_lS6_T11_S5_li,"axG",@progbits,_ZL29rocblas_internal_gemmt_kernelIlLi16ELi32ELi8ELc78ELc78ELc85ELb0ELb0E19rocblas_complex_numIfEPKS1_S3_PS1_EviT_T9_T10_S5_lS7_S5_lS6_T11_S5_li,comdat
.Lfunc_end216:
	.size	_ZL29rocblas_internal_gemmt_kernelIlLi16ELi32ELi8ELc78ELc78ELc85ELb0ELb0E19rocblas_complex_numIfEPKS1_S3_PS1_EviT_T9_T10_S5_lS7_S5_lS6_T11_S5_li, .Lfunc_end216-_ZL29rocblas_internal_gemmt_kernelIlLi16ELi32ELi8ELc78ELc78ELc85ELb0ELb0E19rocblas_complex_numIfEPKS1_S3_PS1_EviT_T9_T10_S5_lS7_S5_lS6_T11_S5_li
                                        ; -- End function
	.set _ZL29rocblas_internal_gemmt_kernelIlLi16ELi32ELi8ELc78ELc78ELc85ELb0ELb0E19rocblas_complex_numIfEPKS1_S3_PS1_EviT_T9_T10_S5_lS7_S5_lS6_T11_S5_li.num_vgpr, 61
	.set _ZL29rocblas_internal_gemmt_kernelIlLi16ELi32ELi8ELc78ELc78ELc85ELb0ELb0E19rocblas_complex_numIfEPKS1_S3_PS1_EviT_T9_T10_S5_lS7_S5_lS6_T11_S5_li.num_agpr, 0
	.set _ZL29rocblas_internal_gemmt_kernelIlLi16ELi32ELi8ELc78ELc78ELc85ELb0ELb0E19rocblas_complex_numIfEPKS1_S3_PS1_EviT_T9_T10_S5_lS7_S5_lS6_T11_S5_li.numbered_sgpr, 44
	.set _ZL29rocblas_internal_gemmt_kernelIlLi16ELi32ELi8ELc78ELc78ELc85ELb0ELb0E19rocblas_complex_numIfEPKS1_S3_PS1_EviT_T9_T10_S5_lS7_S5_lS6_T11_S5_li.num_named_barrier, 0
	.set _ZL29rocblas_internal_gemmt_kernelIlLi16ELi32ELi8ELc78ELc78ELc85ELb0ELb0E19rocblas_complex_numIfEPKS1_S3_PS1_EviT_T9_T10_S5_lS7_S5_lS6_T11_S5_li.private_seg_size, 0
	.set _ZL29rocblas_internal_gemmt_kernelIlLi16ELi32ELi8ELc78ELc78ELc85ELb0ELb0E19rocblas_complex_numIfEPKS1_S3_PS1_EviT_T9_T10_S5_lS7_S5_lS6_T11_S5_li.uses_vcc, 1
	.set _ZL29rocblas_internal_gemmt_kernelIlLi16ELi32ELi8ELc78ELc78ELc85ELb0ELb0E19rocblas_complex_numIfEPKS1_S3_PS1_EviT_T9_T10_S5_lS7_S5_lS6_T11_S5_li.uses_flat_scratch, 0
	.set _ZL29rocblas_internal_gemmt_kernelIlLi16ELi32ELi8ELc78ELc78ELc85ELb0ELb0E19rocblas_complex_numIfEPKS1_S3_PS1_EviT_T9_T10_S5_lS7_S5_lS6_T11_S5_li.has_dyn_sized_stack, 0
	.set _ZL29rocblas_internal_gemmt_kernelIlLi16ELi32ELi8ELc78ELc78ELc85ELb0ELb0E19rocblas_complex_numIfEPKS1_S3_PS1_EviT_T9_T10_S5_lS7_S5_lS6_T11_S5_li.has_recursion, 0
	.set _ZL29rocblas_internal_gemmt_kernelIlLi16ELi32ELi8ELc78ELc78ELc85ELb0ELb0E19rocblas_complex_numIfEPKS1_S3_PS1_EviT_T9_T10_S5_lS7_S5_lS6_T11_S5_li.has_indirect_call, 0
	.section	.AMDGPU.csdata,"",@progbits
; Kernel info:
; codeLenInByte = 2620
; TotalNumSgprs: 46
; NumVgprs: 61
; ScratchSize: 0
; MemoryBound: 0
; FloatMode: 240
; IeeeMode: 1
; LDSByteSize: 4096 bytes/workgroup (compile time only)
; SGPRBlocks: 0
; VGPRBlocks: 7
; NumSGPRsForWavesPerEU: 46
; NumVGPRsForWavesPerEU: 61
; Occupancy: 16
; WaveLimiterHint : 0
; COMPUTE_PGM_RSRC2:SCRATCH_EN: 0
; COMPUTE_PGM_RSRC2:USER_SGPR: 6
; COMPUTE_PGM_RSRC2:TRAP_HANDLER: 0
; COMPUTE_PGM_RSRC2:TGID_X_EN: 1
; COMPUTE_PGM_RSRC2:TGID_Y_EN: 1
; COMPUTE_PGM_RSRC2:TGID_Z_EN: 1
; COMPUTE_PGM_RSRC2:TIDIG_COMP_CNT: 1
	.section	.text._ZL29rocblas_internal_gemmt_kernelIlLi16ELi32ELi8ELc78ELc84ELc85ELb0ELb0E19rocblas_complex_numIfEPKS1_S3_PS1_EviT_T9_T10_S5_lS7_S5_lS6_T11_S5_li,"axG",@progbits,_ZL29rocblas_internal_gemmt_kernelIlLi16ELi32ELi8ELc78ELc84ELc85ELb0ELb0E19rocblas_complex_numIfEPKS1_S3_PS1_EviT_T9_T10_S5_lS7_S5_lS6_T11_S5_li,comdat
	.globl	_ZL29rocblas_internal_gemmt_kernelIlLi16ELi32ELi8ELc78ELc84ELc85ELb0ELb0E19rocblas_complex_numIfEPKS1_S3_PS1_EviT_T9_T10_S5_lS7_S5_lS6_T11_S5_li ; -- Begin function _ZL29rocblas_internal_gemmt_kernelIlLi16ELi32ELi8ELc78ELc84ELc85ELb0ELb0E19rocblas_complex_numIfEPKS1_S3_PS1_EviT_T9_T10_S5_lS7_S5_lS6_T11_S5_li
	.p2align	8
	.type	_ZL29rocblas_internal_gemmt_kernelIlLi16ELi32ELi8ELc78ELc84ELc85ELb0ELb0E19rocblas_complex_numIfEPKS1_S3_PS1_EviT_T9_T10_S5_lS7_S5_lS6_T11_S5_li,@function
_ZL29rocblas_internal_gemmt_kernelIlLi16ELi32ELi8ELc78ELc84ELc85ELb0ELb0E19rocblas_complex_numIfEPKS1_S3_PS1_EviT_T9_T10_S5_lS7_S5_lS6_T11_S5_li: ; @_ZL29rocblas_internal_gemmt_kernelIlLi16ELi32ELi8ELc78ELc84ELc85ELb0ELb0E19rocblas_complex_numIfEPKS1_S3_PS1_EviT_T9_T10_S5_lS7_S5_lS6_T11_S5_li
; %bb.0:
	s_clause 0x1
	s_load_dwordx8 s[36:43], s[4:5], 0x48
	s_load_dwordx16 s[12:27], s[4:5], 0x8
	s_waitcnt lgkmcnt(0)
	s_load_dwordx2 s[2:3], s[36:37], 0x0
	s_load_dwordx2 s[10:11], s[14:15], 0x0
	s_waitcnt lgkmcnt(0)
	s_and_b32 s0, s3, 0x7fffffff
	v_cmp_eq_f32_e64 s1, s2, 1.0
	s_cmp_eq_u32 s0, 0
	s_mov_b32 s0, 0
	s_cselect_b32 s14, -1, 0
	s_and_b32 s1, s1, s14
	s_andn2_b32 vcc_lo, exec_lo, s1
	s_mov_b32 s1, -1
	s_cbranch_vccnz .LBB217_4
; %bb.1:
	s_cmp_lg_u64 s[12:13], 0
	s_cbranch_scc0 .LBB217_3
; %bb.2:
	v_cmp_neq_f32_e64 s0, s10, 0
	v_cmp_neq_f32_e64 s1, s11, 0
	s_or_b32 s0, s0, s1
.LBB217_3:
	s_mov_b32 s1, s0
.LBB217_4:
	s_and_b32 vcc_lo, exec_lo, s1
	s_cbranch_vccz .LBB217_34
; %bb.5:
	s_load_dword s9, s[4:5], 0x0
	v_cmp_eq_f32_e64 s0, s10, 0
	v_cmp_eq_f32_e64 s1, s11, 0
	v_cmp_lt_i64_e64 s4, s[12:13], 1
	v_mov_b32_e32 v22, 0
	v_mov_b32_e32 v23, 0
	;; [unrolled: 1-line block ×3, first 2 shown]
	s_and_b32 s0, s0, s1
	v_mov_b32_e32 v21, 0
	v_mov_b32_e32 v18, 0
	;; [unrolled: 1-line block ×5, first 2 shown]
	s_or_b32 s0, s0, s4
	s_lshl_b32 s6, s6, 5
	s_and_b32 vcc_lo, exec_lo, s0
	s_lshl_b32 s7, s7, 5
	s_cbranch_vccnz .LBB217_18
; %bb.6:
	v_lshl_add_u32 v2, v1, 4, v0
	s_mul_i32 s0, s27, s8
	s_mul_hi_u32 s1, s26, s8
	v_and_b32_e32 v6, 7, v0
	s_add_i32 s1, s1, s0
	v_and_b32_e32 v5, 31, v2
	v_lshrrev_b32_e32 v11, 3, v2
	v_lshrrev_b32_e32 v7, 5, v2
	s_mul_i32 s0, s26, s8
	s_mul_hi_u32 s5, s20, s8
	v_or_b32_e32 v2, s6, v5
	v_add_nc_u32_e32 v4, s7, v11
	s_lshl_b64 s[0:1], s[0:1], 3
	v_lshlrev_b32_e32 v8, 3, v5
	s_add_u32 s4, s22, s0
	v_ashrrev_i32_e32 v3, 31, v2
	s_mul_i32 s0, s21, s8
	v_ashrrev_i32_e32 v5, 31, v4
	s_addc_u32 s21, s23, s1
	s_add_i32 s1, s5, s0
	s_mul_i32 s0, s20, s8
	v_lshlrev_b32_e32 v12, 3, v6
	s_lshl_b64 s[0:1], s[0:1], 3
	v_lshlrev_b64 v[9:10], 3, v[2:3]
	s_add_u32 s5, s16, s0
	s_waitcnt lgkmcnt(0)
	v_cmp_gt_i32_e64 s0, s9, v2
	v_cmp_le_i32_e64 s15, s9, v2
	v_lshlrev_b64 v[2:3], 3, v[4:5]
	v_lshl_or_b32 v11, v11, 6, v12
	s_addc_u32 s1, s17, s1
	v_add_co_u32 v9, vcc_lo, s5, v9
	v_add_co_ci_u32_e64 v10, null, s1, v10, vcc_lo
	v_cmp_gt_i32_e32 vcc_lo, s9, v4
	v_add_co_u32 v12, s1, s4, v2
	v_lshl_or_b32 v8, v7, 8, v8
	v_add_nc_u32_e32 v11, 0x800, v11
	v_add_co_ci_u32_e64 v13, null, s21, v3, s1
	v_lshlrev_b32_e32 v14, 3, v0
	v_lshl_add_u32 v15, v1, 6, 0x800
	v_mov_b32_e32 v3, 0
	v_mov_b32_e32 v17, 0
	;; [unrolled: 1-line block ×9, first 2 shown]
	s_mov_b64 s[4:5], 0
	s_xor_b32 s1, vcc_lo, -1
                                        ; implicit-def: $vgpr4_vgpr5
	s_branch .LBB217_8
.LBB217_7:                              ;   in Loop: Header=BB217_8 Depth=1
	s_or_b32 exec_lo, exec_lo, s16
	s_waitcnt lgkmcnt(0)
	s_barrier
	buffer_gl0_inv
	ds_read_b128 v[24:27], v15
	ds_read2_b64 v[28:31], v14 offset1:16
	ds_read_b128 v[32:35], v15 offset:1024
	ds_read_b128 v[36:39], v15 offset:16
	;; [unrolled: 1-line block ×4, first 2 shown]
	ds_read2_b64 v[48:51], v14 offset0:32 offset1:48
	ds_read_b128 v[52:55], v15 offset:1040
	s_add_u32 s4, s4, 8
	s_addc_u32 s5, s5, 0
	v_cmp_gt_i64_e64 s16, s[12:13], s[4:5]
	s_and_b32 vcc_lo, exec_lo, s16
	s_waitcnt lgkmcnt(6)
	v_mul_f32_e32 v2, v25, v29
	v_mul_f32_e32 v56, v24, v29
	;; [unrolled: 1-line block ×4, first 2 shown]
	s_waitcnt lgkmcnt(5)
	v_mul_f32_e32 v59, v33, v29
	v_mul_f32_e32 v29, v32, v29
	;; [unrolled: 1-line block ×3, first 2 shown]
	v_fma_f32 v2, v24, v28, -v2
	v_fmac_f32_e32 v56, v25, v28
	v_fma_f32 v24, v24, v30, -v57
	v_fmac_f32_e32 v58, v25, v30
	;; [unrolled: 2-line block ×3, first 2 shown]
	v_mul_f32_e32 v31, v32, v31
	v_fma_f32 v28, v32, v30, -v60
	v_add_f32_e32 v2, v22, v2
	v_add_f32_e32 v22, v23, v56
	;; [unrolled: 1-line block ×6, first 2 shown]
	s_waitcnt lgkmcnt(1)
	v_mul_f32_e32 v32, v27, v49
	ds_read2_b64 v[18:21], v14 offset0:64 offset1:80
	v_fmac_f32_e32 v31, v33, v30
	v_add_f32_e32 v16, v16, v28
	v_mul_f32_e32 v28, v26, v49
	v_fma_f32 v30, v26, v48, -v32
	v_mul_f32_e32 v32, v27, v51
	v_add_f32_e32 v17, v17, v31
	v_mul_f32_e32 v31, v26, v51
	v_fmac_f32_e32 v28, v27, v48
	v_add_f32_e32 v2, v2, v30
	v_fma_f32 v26, v26, v50, -v32
	v_mul_f32_e32 v30, v35, v49
	v_fmac_f32_e32 v31, v27, v50
	v_add_f32_e32 v28, v22, v28
	v_mul_f32_e32 v22, v34, v49
	v_add_f32_e32 v26, v23, v26
	v_fma_f32 v23, v34, v48, -v30
	v_mul_f32_e32 v27, v35, v51
	v_add_f32_e32 v30, v24, v31
	v_fmac_f32_e32 v22, v35, v48
	v_mul_f32_e32 v31, v34, v51
	v_add_f32_e32 v32, v25, v23
	v_fma_f32 v23, v34, v50, -v27
	s_waitcnt lgkmcnt(0)
	v_mul_f32_e32 v24, v37, v19
	v_add_f32_e32 v27, v29, v22
	v_fmac_f32_e32 v31, v35, v50
	v_mul_f32_e32 v29, v36, v19
	v_add_f32_e32 v16, v16, v23
	v_fma_f32 v33, v36, v18, -v24
	v_mul_f32_e32 v34, v37, v21
	ds_read2_b64 v[22:25], v14 offset0:96 offset1:112
	v_fmac_f32_e32 v29, v37, v18
	v_add_f32_e32 v31, v17, v31
	v_add_f32_e32 v2, v2, v33
	v_mul_f32_e32 v17, v36, v21
	v_fma_f32 v33, v36, v20, -v34
	v_add_f32_e32 v28, v28, v29
	v_mul_f32_e32 v29, v53, v19
	v_mul_f32_e32 v19, v52, v19
	v_fmac_f32_e32 v17, v37, v20
	v_add_f32_e32 v26, v26, v33
	v_mul_f32_e32 v33, v53, v21
	v_mul_f32_e32 v21, v52, v21
	v_fmac_f32_e32 v19, v53, v18
	v_add_f32_e32 v30, v30, v17
	v_fma_f32 v29, v52, v18, -v29
	v_fma_f32 v17, v52, v20, -v33
	v_fmac_f32_e32 v21, v53, v20
	v_add_f32_e32 v33, v27, v19
	s_waitcnt lgkmcnt(0)
	v_mul_f32_e32 v20, v39, v23
	v_add_f32_e32 v34, v16, v17
	ds_read2_b64 v[16:19], v14 offset0:128 offset1:144
	v_add_f32_e32 v32, v32, v29
	v_mul_f32_e32 v27, v38, v23
	v_mul_f32_e32 v29, v39, v25
	v_fma_f32 v20, v38, v22, -v20
	v_add_f32_e32 v31, v31, v21
	v_mul_f32_e32 v21, v38, v25
	v_fmac_f32_e32 v27, v39, v22
	v_fma_f32 v29, v38, v24, -v29
	v_add_f32_e32 v2, v2, v20
	v_mul_f32_e32 v20, v55, v23
	v_fmac_f32_e32 v21, v39, v24
	v_add_f32_e32 v35, v28, v27
	v_add_f32_e32 v36, v26, v29
	v_mul_f32_e32 v23, v54, v23
	v_fma_f32 v20, v54, v22, -v20
	v_mul_f32_e32 v37, v55, v25
	ds_read_b128 v[26:29], v15 offset:1056
	v_add_f32_e32 v38, v30, v21
	v_fmac_f32_e32 v23, v55, v22
	v_mul_f32_e32 v25, v54, v25
	v_fma_f32 v21, v54, v24, -v37
	v_add_f32_e32 v37, v32, v20
	s_waitcnt lgkmcnt(1)
	v_mul_f32_e32 v20, v41, v17
	v_add_f32_e32 v39, v33, v23
	v_fmac_f32_e32 v25, v55, v24
	v_add_f32_e32 v24, v34, v21
	v_mul_f32_e32 v32, v41, v19
	v_fma_f32 v30, v40, v16, -v20
	ds_read2_b64 v[20:23], v14 offset0:160 offset1:176
	v_mul_f32_e32 v34, v40, v17
	v_add_f32_e32 v25, v31, v25
	v_fma_f32 v48, v40, v18, -v32
	v_mul_f32_e32 v40, v40, v19
	v_add_f32_e32 v2, v2, v30
	v_fmac_f32_e32 v34, v41, v16
	ds_read_b128 v[30:33], v15 offset:1072
	s_waitcnt lgkmcnt(2)
	v_mul_f32_e32 v49, v27, v17
	v_mul_f32_e32 v17, v26, v17
	v_fmac_f32_e32 v40, v41, v18
	v_mul_f32_e32 v41, v27, v19
	v_add_f32_e32 v34, v35, v34
	v_add_f32_e32 v35, v36, v48
	v_fma_f32 v36, v26, v16, -v49
	v_fmac_f32_e32 v17, v27, v16
	v_add_f32_e32 v38, v38, v40
	v_mul_f32_e32 v40, v26, v19
	v_fma_f32 v16, v26, v18, -v41
	v_add_f32_e32 v36, v37, v36
	v_add_f32_e32 v26, v39, v17
	s_waitcnt lgkmcnt(1)
	v_mul_f32_e32 v37, v43, v21
	v_fmac_f32_e32 v40, v27, v18
	v_add_f32_e32 v24, v24, v16
	ds_read2_b64 v[16:19], v14 offset0:192 offset1:208
	v_mul_f32_e32 v27, v42, v21
	v_fma_f32 v37, v42, v20, -v37
	v_mul_f32_e32 v39, v43, v23
	v_add_f32_e32 v40, v25, v40
	v_mul_f32_e32 v25, v42, v23
	v_fmac_f32_e32 v27, v43, v20
	v_add_f32_e32 v2, v2, v37
	v_fma_f32 v37, v42, v22, -v39
	v_fmac_f32_e32 v25, v43, v22
	v_add_f32_e32 v34, v34, v27
	v_mul_f32_e32 v27, v29, v21
	v_mul_f32_e32 v21, v28, v21
	v_add_f32_e32 v35, v35, v37
	v_mul_f32_e32 v37, v29, v23
	v_add_f32_e32 v38, v38, v25
	v_fma_f32 v27, v28, v20, -v27
	v_fmac_f32_e32 v21, v29, v20
	v_mul_f32_e32 v20, v28, v23
	v_fma_f32 v23, v28, v22, -v37
	s_waitcnt lgkmcnt(0)
	v_mul_f32_e32 v25, v45, v17
	v_add_f32_e32 v28, v36, v27
	v_add_f32_e32 v21, v26, v21
	v_fmac_f32_e32 v20, v29, v22
	v_add_f32_e32 v22, v24, v23
	v_fma_f32 v29, v44, v16, -v25
	ds_read2_b64 v[24:27], v14 offset0:224 offset1:240
	v_mul_f32_e32 v23, v44, v17
	v_mul_f32_e32 v37, v31, v17
	;; [unrolled: 1-line block ×4, first 2 shown]
	v_add_f32_e32 v2, v2, v29
	v_fmac_f32_e32 v23, v45, v16
	v_mul_f32_e32 v29, v44, v19
	v_fmac_f32_e32 v17, v31, v16
	v_fma_f32 v36, v44, v18, -v36
	v_add_f32_e32 v20, v40, v20
	v_add_f32_e32 v23, v34, v23
	v_fma_f32 v34, v30, v16, -v37
	v_mul_f32_e32 v16, v31, v19
	v_mul_f32_e32 v19, v30, v19
	v_fmac_f32_e32 v29, v45, v18
	v_add_f32_e32 v17, v21, v17
	v_add_f32_e32 v35, v35, v36
	v_fma_f32 v16, v30, v18, -v16
	v_fmac_f32_e32 v19, v31, v18
	s_waitcnt lgkmcnt(0)
	v_mul_f32_e32 v21, v47, v25
	v_mul_f32_e32 v18, v47, v27
	v_add_f32_e32 v28, v28, v34
	v_mul_f32_e32 v30, v46, v25
	v_add_f32_e32 v16, v22, v16
	v_fma_f32 v21, v46, v24, -v21
	v_fma_f32 v18, v46, v26, -v18
	v_mul_f32_e32 v31, v46, v27
	v_add_f32_e32 v34, v20, v19
	v_mul_f32_e32 v19, v32, v25
	v_add_f32_e32 v22, v2, v21
	v_add_f32_e32 v20, v35, v18
	v_mul_f32_e32 v2, v33, v25
	v_mul_f32_e32 v18, v33, v27
	;; [unrolled: 1-line block ×3, first 2 shown]
	v_add_f32_e32 v29, v38, v29
	v_fmac_f32_e32 v30, v47, v24
	v_fmac_f32_e32 v31, v47, v26
	v_fma_f32 v2, v32, v24, -v2
	v_fmac_f32_e32 v19, v33, v24
	v_fma_f32 v24, v32, v26, -v18
	v_fmac_f32_e32 v25, v33, v26
	v_add_f32_e32 v23, v23, v30
	v_add_f32_e32 v21, v29, v31
	;; [unrolled: 1-line block ×6, first 2 shown]
	s_barrier
	buffer_gl0_inv
	s_cbranch_vccz .LBB217_18
.LBB217_8:                              ; =>This Inner Loop Header: Depth=1
	s_mov_b32 s20, s15
	s_mov_b32 s16, 0
	s_and_saveexec_b32 s17, s0
	s_cbranch_execnz .LBB217_16
; %bb.9:                                ;   in Loop: Header=BB217_8 Depth=1
	s_or_b32 exec_lo, exec_lo, s17
	s_and_saveexec_b32 s17, s20
	s_xor_b32 s17, exec_lo, s17
	s_cbranch_execnz .LBB217_17
.LBB217_10:                             ;   in Loop: Header=BB217_8 Depth=1
	s_or_b32 exec_lo, exec_lo, s17
	s_and_saveexec_b32 s17, s16
	s_cbranch_execz .LBB217_12
.LBB217_11:                             ;   in Loop: Header=BB217_8 Depth=1
	v_mul_lo_u32 v2, s19, v4
	v_mul_lo_u32 v26, s18, v5
	v_mad_u64_u32 v[24:25], null, s18, v4, 0
	v_add3_u32 v25, v25, v26, v2
	v_lshlrev_b64 v[24:25], 3, v[24:25]
	v_add_co_u32 v24, vcc_lo, v9, v24
	v_add_co_ci_u32_e64 v25, null, v10, v25, vcc_lo
	global_load_dwordx2 v[24:25], v[24:25], off
	s_waitcnt vmcnt(0)
	ds_write_b64 v8, v[24:25]
.LBB217_12:                             ;   in Loop: Header=BB217_8 Depth=1
	s_or_b32 exec_lo, exec_lo, s17
	v_add_nc_u32_e32 v2, s4, v6
	v_cmp_le_u64_e32 vcc_lo, s[12:13], v[2:3]
	s_or_b32 s16, vcc_lo, s1
	s_and_saveexec_b32 s17, s16
	s_xor_b32 s16, exec_lo, s17
; %bb.13:                               ;   in Loop: Header=BB217_8 Depth=1
	v_mov_b32_e32 v2, v3
	ds_write_b64 v11, v[2:3]
; %bb.14:                               ;   in Loop: Header=BB217_8 Depth=1
	s_andn2_saveexec_b32 s16, s16
	s_cbranch_execz .LBB217_7
; %bb.15:                               ;   in Loop: Header=BB217_8 Depth=1
	v_mad_u64_u32 v[24:25], null, s24, v2, 0
	v_mad_u64_u32 v[25:26], null, s25, v2, v[25:26]
	v_lshlrev_b64 v[24:25], 3, v[24:25]
	v_add_co_u32 v24, vcc_lo, v12, v24
	v_add_co_ci_u32_e64 v25, null, v13, v25, vcc_lo
	global_load_dwordx2 v[24:25], v[24:25], off
	s_waitcnt vmcnt(0)
	ds_write_b64 v11, v[24:25]
	s_branch .LBB217_7
.LBB217_16:                             ;   in Loop: Header=BB217_8 Depth=1
	v_add_nc_u32_e32 v2, s4, v7
	v_mov_b32_e32 v5, v3
	s_andn2_b32 s20, s15, exec_lo
	s_mov_b32 s16, exec_lo
	v_cmp_le_u64_e32 vcc_lo, s[12:13], v[2:3]
	v_mov_b32_e32 v4, v2
	s_and_b32 s21, vcc_lo, exec_lo
	s_or_b32 s20, s20, s21
	s_or_b32 exec_lo, exec_lo, s17
	s_and_saveexec_b32 s17, s20
	s_xor_b32 s17, exec_lo, s17
	s_cbranch_execz .LBB217_10
.LBB217_17:                             ;   in Loop: Header=BB217_8 Depth=1
	v_mov_b32_e32 v2, v3
	s_andn2_b32 s16, s16, exec_lo
	ds_write_b64 v8, v[2:3]
	s_or_b32 exec_lo, exec_lo, s17
	s_and_saveexec_b32 s17, s16
	s_cbranch_execnz .LBB217_11
	s_branch .LBB217_12
.LBB217_18:
	v_add_nc_u32_e32 v9, s7, v1
	s_mul_i32 s1, s43, s8
	s_mul_hi_u32 s4, s42, s8
	s_mul_i32 s0, s42, s8
	s_add_i32 s1, s4, s1
	v_ashrrev_i32_e32 v3, 31, v9
	v_mul_lo_u32 v4, s41, v9
	v_mad_u64_u32 v[1:2], null, s40, v9, 0
	v_add_nc_u32_e32 v0, s6, v0
	v_mul_lo_u32 v3, s40, v3
	v_cmp_neq_f32_e64 s6, s2, 0
	s_lshl_b64 s[4:5], s[0:1], 3
	s_waitcnt lgkmcnt(0)
	v_cmp_gt_i32_e64 s0, s9, v9
	s_add_u32 s4, s38, s4
	s_addc_u32 s5, s39, s5
	s_xor_b32 s7, s14, -1
	v_cmp_le_i32_e32 vcc_lo, v0, v9
	v_add3_u32 v2, v2, v3, v4
	s_or_b32 s6, s6, s7
	v_cndmask_b32_e64 v8, 0, 1, s6
	s_and_b32 s7, s0, vcc_lo
	v_lshlrev_b64 v[2:3], 3, v[1:2]
	v_ashrrev_i32_e32 v1, 31, v0
	v_add_co_u32 v6, s1, s4, v2
	v_add_co_ci_u32_e64 v7, null, s5, v3, s1
	s_and_saveexec_b32 s1, s7
	s_cbranch_execz .LBB217_22
; %bb.19:
	v_lshlrev_b64 v[4:5], 3, v[0:1]
	v_mul_f32_e32 v2, s11, v23
	v_mul_f32_e32 v3, s10, v23
	v_fma_f32 v2, v22, s10, -v2
	v_add_co_u32 v4, vcc_lo, v6, v4
	v_fmac_f32_e32 v3, s11, v22
	v_add_co_ci_u32_e64 v5, null, v7, v5, vcc_lo
	s_andn2_b32 vcc_lo, exec_lo, s6
	s_cbranch_vccnz .LBB217_21
; %bb.20:
	global_load_dwordx2 v[10:11], v[4:5], off
	s_waitcnt vmcnt(0)
	v_mul_f32_e32 v12, s3, v11
	v_mul_f32_e32 v11, s2, v11
	v_fma_f32 v12, v10, s2, -v12
	v_fmac_f32_e32 v11, s3, v10
	v_add_f32_e32 v2, v2, v12
	v_add_f32_e32 v3, v3, v11
.LBB217_21:
	global_store_dwordx2 v[4:5], v[2:3], off
.LBB217_22:
	s_or_b32 exec_lo, exec_lo, s1
	v_add_nc_u32_e32 v2, 16, v0
	v_cmp_le_i32_e32 vcc_lo, v2, v9
	v_ashrrev_i32_e32 v3, 31, v2
	s_and_b32 s0, s0, vcc_lo
	s_and_saveexec_b32 s1, s0
	s_cbranch_execz .LBB217_26
; %bb.23:
	v_lshlrev_b64 v[10:11], 3, v[2:3]
	v_mul_f32_e32 v4, s11, v21
	v_mul_f32_e32 v5, s10, v21
	v_cmp_ne_u32_e32 vcc_lo, 1, v8
	v_fma_f32 v4, v20, s10, -v4
	v_add_co_u32 v6, s0, v6, v10
	v_fmac_f32_e32 v5, s11, v20
	v_add_co_ci_u32_e64 v7, null, v7, v11, s0
	s_cbranch_vccnz .LBB217_25
; %bb.24:
	global_load_dwordx2 v[10:11], v[6:7], off
	s_waitcnt vmcnt(0)
	v_mul_f32_e32 v12, s3, v11
	v_mul_f32_e32 v11, s2, v11
	v_fma_f32 v12, v10, s2, -v12
	v_fmac_f32_e32 v11, s3, v10
	v_add_f32_e32 v4, v4, v12
	v_add_f32_e32 v5, v5, v11
.LBB217_25:
	global_store_dwordx2 v[6:7], v[4:5], off
.LBB217_26:
	s_or_b32 exec_lo, exec_lo, s1
	v_add_nc_u32_e32 v9, 16, v9
	v_ashrrev_i32_e32 v6, 31, v9
	v_mul_lo_u32 v7, s41, v9
	v_mad_u64_u32 v[4:5], null, s40, v9, 0
	v_cmp_gt_i32_e64 s0, s9, v9
	v_mul_lo_u32 v6, s40, v6
	v_cmp_le_i32_e32 vcc_lo, v0, v9
	v_add3_u32 v5, v5, v6, v7
	v_lshlrev_b64 v[4:5], 3, v[4:5]
	v_add_co_u32 v6, s1, s4, v4
	v_add_co_ci_u32_e64 v7, null, s5, v5, s1
	s_and_b32 s1, s0, vcc_lo
	s_and_saveexec_b32 s4, s1
	s_cbranch_execz .LBB217_30
; %bb.27:
	v_lshlrev_b64 v[0:1], 3, v[0:1]
	v_mul_f32_e32 v4, s11, v19
	v_mul_f32_e32 v5, s10, v19
	v_cmp_ne_u32_e32 vcc_lo, 1, v8
	v_fma_f32 v4, v18, s10, -v4
	v_add_co_u32 v0, s1, v6, v0
	v_fmac_f32_e32 v5, s11, v18
	v_add_co_ci_u32_e64 v1, null, v7, v1, s1
	s_cbranch_vccnz .LBB217_29
; %bb.28:
	global_load_dwordx2 v[10:11], v[0:1], off
	s_waitcnt vmcnt(0)
	v_mul_f32_e32 v12, s3, v11
	v_mul_f32_e32 v11, s2, v11
	v_fma_f32 v12, v10, s2, -v12
	v_fmac_f32_e32 v11, s3, v10
	v_add_f32_e32 v4, v4, v12
	v_add_f32_e32 v5, v5, v11
.LBB217_29:
	global_store_dwordx2 v[0:1], v[4:5], off
.LBB217_30:
	s_or_b32 exec_lo, exec_lo, s4
	v_cmp_le_i32_e32 vcc_lo, v2, v9
	s_and_b32 s0, s0, vcc_lo
	s_and_saveexec_b32 s1, s0
	s_cbranch_execz .LBB217_34
; %bb.31:
	v_lshlrev_b64 v[2:3], 3, v[2:3]
	v_mul_f32_e32 v0, s11, v17
	v_mul_f32_e32 v1, s10, v17
	v_cmp_ne_u32_e32 vcc_lo, 1, v8
	v_fma_f32 v0, v16, s10, -v0
	v_add_co_u32 v2, s0, v6, v2
	v_fmac_f32_e32 v1, s11, v16
	v_add_co_ci_u32_e64 v3, null, v7, v3, s0
	s_cbranch_vccnz .LBB217_33
; %bb.32:
	global_load_dwordx2 v[4:5], v[2:3], off
	s_waitcnt vmcnt(0)
	v_mul_f32_e32 v6, s3, v5
	v_mul_f32_e32 v5, s2, v5
	v_fma_f32 v6, v4, s2, -v6
	v_fmac_f32_e32 v5, s3, v4
	v_add_f32_e32 v0, v0, v6
	v_add_f32_e32 v1, v1, v5
.LBB217_33:
	global_store_dwordx2 v[2:3], v[0:1], off
.LBB217_34:
	s_endpgm
	.section	.rodata,"a",@progbits
	.p2align	6, 0x0
	.amdhsa_kernel _ZL29rocblas_internal_gemmt_kernelIlLi16ELi32ELi8ELc78ELc84ELc85ELb0ELb0E19rocblas_complex_numIfEPKS1_S3_PS1_EviT_T9_T10_S5_lS7_S5_lS6_T11_S5_li
		.amdhsa_group_segment_fixed_size 4096
		.amdhsa_private_segment_fixed_size 0
		.amdhsa_kernarg_size 108
		.amdhsa_user_sgpr_count 6
		.amdhsa_user_sgpr_private_segment_buffer 1
		.amdhsa_user_sgpr_dispatch_ptr 0
		.amdhsa_user_sgpr_queue_ptr 0
		.amdhsa_user_sgpr_kernarg_segment_ptr 1
		.amdhsa_user_sgpr_dispatch_id 0
		.amdhsa_user_sgpr_flat_scratch_init 0
		.amdhsa_user_sgpr_private_segment_size 0
		.amdhsa_wavefront_size32 1
		.amdhsa_uses_dynamic_stack 0
		.amdhsa_system_sgpr_private_segment_wavefront_offset 0
		.amdhsa_system_sgpr_workgroup_id_x 1
		.amdhsa_system_sgpr_workgroup_id_y 1
		.amdhsa_system_sgpr_workgroup_id_z 1
		.amdhsa_system_sgpr_workgroup_info 0
		.amdhsa_system_vgpr_workitem_id 1
		.amdhsa_next_free_vgpr 61
		.amdhsa_next_free_sgpr 44
		.amdhsa_reserve_vcc 1
		.amdhsa_reserve_flat_scratch 0
		.amdhsa_float_round_mode_32 0
		.amdhsa_float_round_mode_16_64 0
		.amdhsa_float_denorm_mode_32 3
		.amdhsa_float_denorm_mode_16_64 3
		.amdhsa_dx10_clamp 1
		.amdhsa_ieee_mode 1
		.amdhsa_fp16_overflow 0
		.amdhsa_workgroup_processor_mode 1
		.amdhsa_memory_ordered 1
		.amdhsa_forward_progress 1
		.amdhsa_shared_vgpr_count 0
		.amdhsa_exception_fp_ieee_invalid_op 0
		.amdhsa_exception_fp_denorm_src 0
		.amdhsa_exception_fp_ieee_div_zero 0
		.amdhsa_exception_fp_ieee_overflow 0
		.amdhsa_exception_fp_ieee_underflow 0
		.amdhsa_exception_fp_ieee_inexact 0
		.amdhsa_exception_int_div_zero 0
	.end_amdhsa_kernel
	.section	.text._ZL29rocblas_internal_gemmt_kernelIlLi16ELi32ELi8ELc78ELc84ELc85ELb0ELb0E19rocblas_complex_numIfEPKS1_S3_PS1_EviT_T9_T10_S5_lS7_S5_lS6_T11_S5_li,"axG",@progbits,_ZL29rocblas_internal_gemmt_kernelIlLi16ELi32ELi8ELc78ELc84ELc85ELb0ELb0E19rocblas_complex_numIfEPKS1_S3_PS1_EviT_T9_T10_S5_lS7_S5_lS6_T11_S5_li,comdat
.Lfunc_end217:
	.size	_ZL29rocblas_internal_gemmt_kernelIlLi16ELi32ELi8ELc78ELc84ELc85ELb0ELb0E19rocblas_complex_numIfEPKS1_S3_PS1_EviT_T9_T10_S5_lS7_S5_lS6_T11_S5_li, .Lfunc_end217-_ZL29rocblas_internal_gemmt_kernelIlLi16ELi32ELi8ELc78ELc84ELc85ELb0ELb0E19rocblas_complex_numIfEPKS1_S3_PS1_EviT_T9_T10_S5_lS7_S5_lS6_T11_S5_li
                                        ; -- End function
	.set _ZL29rocblas_internal_gemmt_kernelIlLi16ELi32ELi8ELc78ELc84ELc85ELb0ELb0E19rocblas_complex_numIfEPKS1_S3_PS1_EviT_T9_T10_S5_lS7_S5_lS6_T11_S5_li.num_vgpr, 61
	.set _ZL29rocblas_internal_gemmt_kernelIlLi16ELi32ELi8ELc78ELc84ELc85ELb0ELb0E19rocblas_complex_numIfEPKS1_S3_PS1_EviT_T9_T10_S5_lS7_S5_lS6_T11_S5_li.num_agpr, 0
	.set _ZL29rocblas_internal_gemmt_kernelIlLi16ELi32ELi8ELc78ELc84ELc85ELb0ELb0E19rocblas_complex_numIfEPKS1_S3_PS1_EviT_T9_T10_S5_lS7_S5_lS6_T11_S5_li.numbered_sgpr, 44
	.set _ZL29rocblas_internal_gemmt_kernelIlLi16ELi32ELi8ELc78ELc84ELc85ELb0ELb0E19rocblas_complex_numIfEPKS1_S3_PS1_EviT_T9_T10_S5_lS7_S5_lS6_T11_S5_li.num_named_barrier, 0
	.set _ZL29rocblas_internal_gemmt_kernelIlLi16ELi32ELi8ELc78ELc84ELc85ELb0ELb0E19rocblas_complex_numIfEPKS1_S3_PS1_EviT_T9_T10_S5_lS7_S5_lS6_T11_S5_li.private_seg_size, 0
	.set _ZL29rocblas_internal_gemmt_kernelIlLi16ELi32ELi8ELc78ELc84ELc85ELb0ELb0E19rocblas_complex_numIfEPKS1_S3_PS1_EviT_T9_T10_S5_lS7_S5_lS6_T11_S5_li.uses_vcc, 1
	.set _ZL29rocblas_internal_gemmt_kernelIlLi16ELi32ELi8ELc78ELc84ELc85ELb0ELb0E19rocblas_complex_numIfEPKS1_S3_PS1_EviT_T9_T10_S5_lS7_S5_lS6_T11_S5_li.uses_flat_scratch, 0
	.set _ZL29rocblas_internal_gemmt_kernelIlLi16ELi32ELi8ELc78ELc84ELc85ELb0ELb0E19rocblas_complex_numIfEPKS1_S3_PS1_EviT_T9_T10_S5_lS7_S5_lS6_T11_S5_li.has_dyn_sized_stack, 0
	.set _ZL29rocblas_internal_gemmt_kernelIlLi16ELi32ELi8ELc78ELc84ELc85ELb0ELb0E19rocblas_complex_numIfEPKS1_S3_PS1_EviT_T9_T10_S5_lS7_S5_lS6_T11_S5_li.has_recursion, 0
	.set _ZL29rocblas_internal_gemmt_kernelIlLi16ELi32ELi8ELc78ELc84ELc85ELb0ELb0E19rocblas_complex_numIfEPKS1_S3_PS1_EviT_T9_T10_S5_lS7_S5_lS6_T11_S5_li.has_indirect_call, 0
	.section	.AMDGPU.csdata,"",@progbits
; Kernel info:
; codeLenInByte = 2604
; TotalNumSgprs: 46
; NumVgprs: 61
; ScratchSize: 0
; MemoryBound: 0
; FloatMode: 240
; IeeeMode: 1
; LDSByteSize: 4096 bytes/workgroup (compile time only)
; SGPRBlocks: 0
; VGPRBlocks: 7
; NumSGPRsForWavesPerEU: 46
; NumVGPRsForWavesPerEU: 61
; Occupancy: 16
; WaveLimiterHint : 0
; COMPUTE_PGM_RSRC2:SCRATCH_EN: 0
; COMPUTE_PGM_RSRC2:USER_SGPR: 6
; COMPUTE_PGM_RSRC2:TRAP_HANDLER: 0
; COMPUTE_PGM_RSRC2:TGID_X_EN: 1
; COMPUTE_PGM_RSRC2:TGID_Y_EN: 1
; COMPUTE_PGM_RSRC2:TGID_Z_EN: 1
; COMPUTE_PGM_RSRC2:TIDIG_COMP_CNT: 1
	.section	.text._ZL29rocblas_internal_gemmt_kernelIlLi16ELi32ELi8ELc78ELc67ELc85ELb0ELb1E19rocblas_complex_numIfEPKS1_S3_PS1_EviT_T9_T10_S5_lS7_S5_lS6_T11_S5_li,"axG",@progbits,_ZL29rocblas_internal_gemmt_kernelIlLi16ELi32ELi8ELc78ELc67ELc85ELb0ELb1E19rocblas_complex_numIfEPKS1_S3_PS1_EviT_T9_T10_S5_lS7_S5_lS6_T11_S5_li,comdat
	.globl	_ZL29rocblas_internal_gemmt_kernelIlLi16ELi32ELi8ELc78ELc67ELc85ELb0ELb1E19rocblas_complex_numIfEPKS1_S3_PS1_EviT_T9_T10_S5_lS7_S5_lS6_T11_S5_li ; -- Begin function _ZL29rocblas_internal_gemmt_kernelIlLi16ELi32ELi8ELc78ELc67ELc85ELb0ELb1E19rocblas_complex_numIfEPKS1_S3_PS1_EviT_T9_T10_S5_lS7_S5_lS6_T11_S5_li
	.p2align	8
	.type	_ZL29rocblas_internal_gemmt_kernelIlLi16ELi32ELi8ELc78ELc67ELc85ELb0ELb1E19rocblas_complex_numIfEPKS1_S3_PS1_EviT_T9_T10_S5_lS7_S5_lS6_T11_S5_li,@function
_ZL29rocblas_internal_gemmt_kernelIlLi16ELi32ELi8ELc78ELc67ELc85ELb0ELb1E19rocblas_complex_numIfEPKS1_S3_PS1_EviT_T9_T10_S5_lS7_S5_lS6_T11_S5_li: ; @_ZL29rocblas_internal_gemmt_kernelIlLi16ELi32ELi8ELc78ELc67ELc85ELb0ELb1E19rocblas_complex_numIfEPKS1_S3_PS1_EviT_T9_T10_S5_lS7_S5_lS6_T11_S5_li
; %bb.0:
	s_clause 0x1
	s_load_dwordx8 s[36:43], s[4:5], 0x48
	s_load_dwordx16 s[12:27], s[4:5], 0x8
	s_waitcnt lgkmcnt(0)
	s_load_dwordx2 s[2:3], s[36:37], 0x0
	s_load_dwordx2 s[10:11], s[14:15], 0x0
	s_waitcnt lgkmcnt(0)
	s_and_b32 s0, s3, 0x7fffffff
	v_cmp_eq_f32_e64 s1, s2, 1.0
	s_cmp_eq_u32 s0, 0
	s_mov_b32 s0, 0
	s_cselect_b32 s14, -1, 0
	s_and_b32 s1, s1, s14
	s_andn2_b32 vcc_lo, exec_lo, s1
	s_mov_b32 s1, -1
	s_cbranch_vccnz .LBB218_4
; %bb.1:
	s_cmp_lg_u64 s[12:13], 0
	s_cbranch_scc0 .LBB218_3
; %bb.2:
	v_cmp_neq_f32_e64 s0, s10, 0
	v_cmp_neq_f32_e64 s1, s11, 0
	s_or_b32 s0, s0, s1
.LBB218_3:
	s_mov_b32 s1, s0
.LBB218_4:
	s_and_b32 vcc_lo, exec_lo, s1
	s_cbranch_vccz .LBB218_34
; %bb.5:
	s_load_dword s9, s[4:5], 0x0
	v_cmp_eq_f32_e64 s0, s10, 0
	v_cmp_eq_f32_e64 s1, s11, 0
	v_cmp_lt_i64_e64 s4, s[12:13], 1
	v_mov_b32_e32 v22, 0
	v_mov_b32_e32 v23, 0
	;; [unrolled: 1-line block ×3, first 2 shown]
	s_and_b32 s0, s0, s1
	v_mov_b32_e32 v21, 0
	v_mov_b32_e32 v18, 0
	;; [unrolled: 1-line block ×5, first 2 shown]
	s_or_b32 s0, s0, s4
	s_lshl_b32 s6, s6, 5
	s_and_b32 vcc_lo, exec_lo, s0
	s_lshl_b32 s7, s7, 5
	s_cbranch_vccnz .LBB218_18
; %bb.6:
	v_lshl_add_u32 v2, v1, 4, v0
	s_mul_i32 s0, s27, s8
	s_mul_hi_u32 s1, s26, s8
	v_and_b32_e32 v6, 7, v0
	s_add_i32 s1, s1, s0
	v_and_b32_e32 v5, 31, v2
	v_lshrrev_b32_e32 v11, 3, v2
	v_lshrrev_b32_e32 v7, 5, v2
	s_mul_i32 s0, s26, s8
	s_mul_hi_u32 s5, s20, s8
	v_or_b32_e32 v2, s6, v5
	v_add_nc_u32_e32 v4, s7, v11
	s_lshl_b64 s[0:1], s[0:1], 3
	v_lshlrev_b32_e32 v8, 3, v5
	s_add_u32 s4, s22, s0
	v_ashrrev_i32_e32 v3, 31, v2
	s_mul_i32 s0, s21, s8
	v_ashrrev_i32_e32 v5, 31, v4
	s_addc_u32 s21, s23, s1
	s_add_i32 s1, s5, s0
	s_mul_i32 s0, s20, s8
	v_lshlrev_b32_e32 v12, 3, v6
	s_lshl_b64 s[0:1], s[0:1], 3
	v_lshlrev_b64 v[9:10], 3, v[2:3]
	s_add_u32 s5, s16, s0
	s_waitcnt lgkmcnt(0)
	v_cmp_gt_i32_e64 s0, s9, v2
	v_cmp_le_i32_e64 s15, s9, v2
	v_lshlrev_b64 v[2:3], 3, v[4:5]
	v_lshl_or_b32 v11, v11, 6, v12
	s_addc_u32 s1, s17, s1
	v_add_co_u32 v9, vcc_lo, s5, v9
	v_add_co_ci_u32_e64 v10, null, s1, v10, vcc_lo
	v_cmp_gt_i32_e32 vcc_lo, s9, v4
	v_add_co_u32 v12, s1, s4, v2
	v_lshl_or_b32 v8, v7, 8, v8
	v_add_nc_u32_e32 v11, 0x800, v11
	v_add_co_ci_u32_e64 v13, null, s21, v3, s1
	v_lshlrev_b32_e32 v14, 3, v0
	v_lshl_add_u32 v15, v1, 6, 0x800
	v_mov_b32_e32 v3, 0
	v_mov_b32_e32 v17, 0
	;; [unrolled: 1-line block ×9, first 2 shown]
	s_mov_b64 s[4:5], 0
	s_xor_b32 s1, vcc_lo, -1
                                        ; implicit-def: $vgpr4_vgpr5
	s_branch .LBB218_8
.LBB218_7:                              ;   in Loop: Header=BB218_8 Depth=1
	s_or_b32 exec_lo, exec_lo, s16
	ds_write_b32 v11, v24 offset:4
	s_waitcnt lgkmcnt(0)
	s_barrier
	buffer_gl0_inv
	ds_read_b128 v[24:27], v15
	ds_read2_b64 v[28:31], v14 offset1:16
	ds_read_b128 v[32:35], v15 offset:1024
	ds_read_b128 v[36:39], v15 offset:16
	;; [unrolled: 1-line block ×4, first 2 shown]
	ds_read2_b64 v[48:51], v14 offset0:32 offset1:48
	ds_read_b128 v[52:55], v15 offset:1040
	s_add_u32 s4, s4, 8
	s_addc_u32 s5, s5, 0
	v_cmp_gt_i64_e64 s16, s[12:13], s[4:5]
	s_and_b32 vcc_lo, exec_lo, s16
	s_waitcnt lgkmcnt(6)
	v_mul_f32_e32 v2, v25, v29
	v_mul_f32_e32 v56, v24, v29
	;; [unrolled: 1-line block ×4, first 2 shown]
	s_waitcnt lgkmcnt(5)
	v_mul_f32_e32 v59, v33, v29
	v_mul_f32_e32 v29, v32, v29
	;; [unrolled: 1-line block ×3, first 2 shown]
	v_fma_f32 v2, v24, v28, -v2
	v_fmac_f32_e32 v56, v25, v28
	v_fma_f32 v24, v24, v30, -v57
	v_fmac_f32_e32 v58, v25, v30
	;; [unrolled: 2-line block ×3, first 2 shown]
	v_mul_f32_e32 v31, v32, v31
	v_fma_f32 v28, v32, v30, -v60
	v_add_f32_e32 v2, v22, v2
	v_add_f32_e32 v22, v23, v56
	v_add_f32_e32 v23, v20, v24
	v_add_f32_e32 v24, v21, v58
	v_add_f32_e32 v25, v18, v25
	v_add_f32_e32 v29, v19, v29
	s_waitcnt lgkmcnt(1)
	v_mul_f32_e32 v32, v27, v49
	ds_read2_b64 v[18:21], v14 offset0:64 offset1:80
	v_fmac_f32_e32 v31, v33, v30
	v_add_f32_e32 v16, v16, v28
	v_mul_f32_e32 v28, v26, v49
	v_fma_f32 v30, v26, v48, -v32
	v_mul_f32_e32 v32, v27, v51
	v_add_f32_e32 v17, v17, v31
	v_mul_f32_e32 v31, v26, v51
	v_fmac_f32_e32 v28, v27, v48
	v_add_f32_e32 v2, v2, v30
	v_fma_f32 v26, v26, v50, -v32
	v_mul_f32_e32 v30, v35, v49
	v_fmac_f32_e32 v31, v27, v50
	v_add_f32_e32 v28, v22, v28
	v_mul_f32_e32 v22, v34, v49
	v_add_f32_e32 v26, v23, v26
	v_fma_f32 v23, v34, v48, -v30
	v_mul_f32_e32 v27, v35, v51
	v_add_f32_e32 v30, v24, v31
	v_fmac_f32_e32 v22, v35, v48
	v_mul_f32_e32 v31, v34, v51
	v_add_f32_e32 v32, v25, v23
	v_fma_f32 v23, v34, v50, -v27
	s_waitcnt lgkmcnt(0)
	v_mul_f32_e32 v24, v37, v19
	v_add_f32_e32 v27, v29, v22
	v_fmac_f32_e32 v31, v35, v50
	v_mul_f32_e32 v29, v36, v19
	v_add_f32_e32 v16, v16, v23
	v_fma_f32 v33, v36, v18, -v24
	v_mul_f32_e32 v34, v37, v21
	ds_read2_b64 v[22:25], v14 offset0:96 offset1:112
	v_fmac_f32_e32 v29, v37, v18
	v_add_f32_e32 v31, v17, v31
	v_add_f32_e32 v2, v2, v33
	v_mul_f32_e32 v17, v36, v21
	v_fma_f32 v33, v36, v20, -v34
	v_add_f32_e32 v28, v28, v29
	v_mul_f32_e32 v29, v53, v19
	v_mul_f32_e32 v19, v52, v19
	v_fmac_f32_e32 v17, v37, v20
	v_add_f32_e32 v26, v26, v33
	v_mul_f32_e32 v33, v53, v21
	v_mul_f32_e32 v21, v52, v21
	v_fmac_f32_e32 v19, v53, v18
	v_add_f32_e32 v30, v30, v17
	v_fma_f32 v29, v52, v18, -v29
	v_fma_f32 v17, v52, v20, -v33
	v_fmac_f32_e32 v21, v53, v20
	v_add_f32_e32 v33, v27, v19
	s_waitcnt lgkmcnt(0)
	v_mul_f32_e32 v20, v39, v23
	v_add_f32_e32 v34, v16, v17
	ds_read2_b64 v[16:19], v14 offset0:128 offset1:144
	v_add_f32_e32 v32, v32, v29
	v_mul_f32_e32 v27, v38, v23
	v_mul_f32_e32 v29, v39, v25
	v_fma_f32 v20, v38, v22, -v20
	v_add_f32_e32 v31, v31, v21
	v_mul_f32_e32 v21, v38, v25
	v_fmac_f32_e32 v27, v39, v22
	v_fma_f32 v29, v38, v24, -v29
	v_add_f32_e32 v2, v2, v20
	v_mul_f32_e32 v20, v55, v23
	v_fmac_f32_e32 v21, v39, v24
	v_add_f32_e32 v35, v28, v27
	v_add_f32_e32 v36, v26, v29
	v_mul_f32_e32 v23, v54, v23
	v_fma_f32 v20, v54, v22, -v20
	v_mul_f32_e32 v37, v55, v25
	ds_read_b128 v[26:29], v15 offset:1056
	v_add_f32_e32 v38, v30, v21
	v_fmac_f32_e32 v23, v55, v22
	v_mul_f32_e32 v25, v54, v25
	v_fma_f32 v21, v54, v24, -v37
	v_add_f32_e32 v37, v32, v20
	s_waitcnt lgkmcnt(1)
	v_mul_f32_e32 v20, v41, v17
	v_add_f32_e32 v39, v33, v23
	v_fmac_f32_e32 v25, v55, v24
	v_add_f32_e32 v24, v34, v21
	v_mul_f32_e32 v32, v41, v19
	v_fma_f32 v30, v40, v16, -v20
	ds_read2_b64 v[20:23], v14 offset0:160 offset1:176
	v_mul_f32_e32 v34, v40, v17
	v_add_f32_e32 v25, v31, v25
	v_fma_f32 v48, v40, v18, -v32
	v_mul_f32_e32 v40, v40, v19
	v_add_f32_e32 v2, v2, v30
	v_fmac_f32_e32 v34, v41, v16
	ds_read_b128 v[30:33], v15 offset:1072
	s_waitcnt lgkmcnt(2)
	v_mul_f32_e32 v49, v27, v17
	v_mul_f32_e32 v17, v26, v17
	v_fmac_f32_e32 v40, v41, v18
	v_mul_f32_e32 v41, v27, v19
	v_add_f32_e32 v34, v35, v34
	v_add_f32_e32 v35, v36, v48
	v_fma_f32 v36, v26, v16, -v49
	v_fmac_f32_e32 v17, v27, v16
	v_add_f32_e32 v38, v38, v40
	v_mul_f32_e32 v40, v26, v19
	v_fma_f32 v16, v26, v18, -v41
	v_add_f32_e32 v36, v37, v36
	v_add_f32_e32 v26, v39, v17
	s_waitcnt lgkmcnt(1)
	v_mul_f32_e32 v37, v43, v21
	v_fmac_f32_e32 v40, v27, v18
	v_add_f32_e32 v24, v24, v16
	ds_read2_b64 v[16:19], v14 offset0:192 offset1:208
	v_mul_f32_e32 v27, v42, v21
	v_fma_f32 v37, v42, v20, -v37
	v_mul_f32_e32 v39, v43, v23
	v_add_f32_e32 v40, v25, v40
	v_mul_f32_e32 v25, v42, v23
	v_fmac_f32_e32 v27, v43, v20
	v_add_f32_e32 v2, v2, v37
	v_fma_f32 v37, v42, v22, -v39
	v_fmac_f32_e32 v25, v43, v22
	v_add_f32_e32 v34, v34, v27
	v_mul_f32_e32 v27, v29, v21
	v_mul_f32_e32 v21, v28, v21
	v_add_f32_e32 v35, v35, v37
	v_mul_f32_e32 v37, v29, v23
	v_add_f32_e32 v38, v38, v25
	v_fma_f32 v27, v28, v20, -v27
	v_fmac_f32_e32 v21, v29, v20
	v_mul_f32_e32 v20, v28, v23
	v_fma_f32 v23, v28, v22, -v37
	s_waitcnt lgkmcnt(0)
	v_mul_f32_e32 v25, v45, v17
	v_add_f32_e32 v28, v36, v27
	v_add_f32_e32 v21, v26, v21
	v_fmac_f32_e32 v20, v29, v22
	v_add_f32_e32 v22, v24, v23
	v_fma_f32 v29, v44, v16, -v25
	ds_read2_b64 v[24:27], v14 offset0:224 offset1:240
	v_mul_f32_e32 v23, v44, v17
	v_mul_f32_e32 v37, v31, v17
	;; [unrolled: 1-line block ×4, first 2 shown]
	v_add_f32_e32 v2, v2, v29
	v_fmac_f32_e32 v23, v45, v16
	v_mul_f32_e32 v29, v44, v19
	v_fmac_f32_e32 v17, v31, v16
	v_fma_f32 v36, v44, v18, -v36
	v_add_f32_e32 v20, v40, v20
	v_add_f32_e32 v23, v34, v23
	v_fma_f32 v34, v30, v16, -v37
	v_mul_f32_e32 v16, v31, v19
	v_mul_f32_e32 v19, v30, v19
	v_fmac_f32_e32 v29, v45, v18
	v_add_f32_e32 v17, v21, v17
	v_add_f32_e32 v35, v35, v36
	v_fma_f32 v16, v30, v18, -v16
	v_fmac_f32_e32 v19, v31, v18
	s_waitcnt lgkmcnt(0)
	v_mul_f32_e32 v21, v47, v25
	v_mul_f32_e32 v18, v47, v27
	v_add_f32_e32 v28, v28, v34
	v_mul_f32_e32 v30, v46, v25
	v_add_f32_e32 v16, v22, v16
	v_fma_f32 v21, v46, v24, -v21
	v_fma_f32 v18, v46, v26, -v18
	v_mul_f32_e32 v31, v46, v27
	v_add_f32_e32 v34, v20, v19
	v_mul_f32_e32 v19, v32, v25
	v_add_f32_e32 v22, v2, v21
	v_add_f32_e32 v20, v35, v18
	v_mul_f32_e32 v2, v33, v25
	v_mul_f32_e32 v18, v33, v27
	;; [unrolled: 1-line block ×3, first 2 shown]
	v_add_f32_e32 v29, v38, v29
	v_fmac_f32_e32 v30, v47, v24
	v_fmac_f32_e32 v31, v47, v26
	v_fma_f32 v2, v32, v24, -v2
	v_fmac_f32_e32 v19, v33, v24
	v_fma_f32 v24, v32, v26, -v18
	v_fmac_f32_e32 v25, v33, v26
	v_add_f32_e32 v23, v23, v30
	v_add_f32_e32 v21, v29, v31
	;; [unrolled: 1-line block ×6, first 2 shown]
	s_barrier
	buffer_gl0_inv
	s_cbranch_vccz .LBB218_18
.LBB218_8:                              ; =>This Inner Loop Header: Depth=1
	s_mov_b32 s20, s15
	s_mov_b32 s16, 0
	s_and_saveexec_b32 s17, s0
	s_cbranch_execnz .LBB218_16
; %bb.9:                                ;   in Loop: Header=BB218_8 Depth=1
	s_or_b32 exec_lo, exec_lo, s17
	s_and_saveexec_b32 s17, s20
	s_xor_b32 s17, exec_lo, s17
	s_cbranch_execnz .LBB218_17
.LBB218_10:                             ;   in Loop: Header=BB218_8 Depth=1
	s_or_b32 exec_lo, exec_lo, s17
	s_and_saveexec_b32 s17, s16
	s_cbranch_execz .LBB218_12
.LBB218_11:                             ;   in Loop: Header=BB218_8 Depth=1
	v_mul_lo_u32 v2, s19, v4
	v_mul_lo_u32 v26, s18, v5
	v_mad_u64_u32 v[24:25], null, s18, v4, 0
	v_add3_u32 v25, v25, v26, v2
	v_lshlrev_b64 v[24:25], 3, v[24:25]
	v_add_co_u32 v24, vcc_lo, v9, v24
	v_add_co_ci_u32_e64 v25, null, v10, v25, vcc_lo
	global_load_dwordx2 v[24:25], v[24:25], off
	s_waitcnt vmcnt(0)
	ds_write_b64 v8, v[24:25]
.LBB218_12:                             ;   in Loop: Header=BB218_8 Depth=1
	s_or_b32 exec_lo, exec_lo, s17
	v_add_nc_u32_e32 v2, s4, v6
	v_cmp_le_u64_e32 vcc_lo, s[12:13], v[2:3]
	s_or_b32 s16, vcc_lo, s1
	s_and_saveexec_b32 s17, s16
	s_xor_b32 s16, exec_lo, s17
; %bb.13:                               ;   in Loop: Header=BB218_8 Depth=1
	ds_write_b32 v11, v3
; %bb.14:                               ;   in Loop: Header=BB218_8 Depth=1
	s_or_saveexec_b32 s16, s16
	v_mov_b32_e32 v24, 0
	s_xor_b32 exec_lo, exec_lo, s16
	s_cbranch_execz .LBB218_7
; %bb.15:                               ;   in Loop: Header=BB218_8 Depth=1
	v_mad_u64_u32 v[24:25], null, s24, v2, 0
	v_mad_u64_u32 v[25:26], null, s25, v2, v[25:26]
	v_lshlrev_b64 v[24:25], 3, v[24:25]
	v_add_co_u32 v24, vcc_lo, v12, v24
	v_add_co_ci_u32_e64 v25, null, v13, v25, vcc_lo
	global_load_dwordx2 v[25:26], v[24:25], off
	s_waitcnt vmcnt(0)
	v_xor_b32_e32 v24, 0x80000000, v26
	ds_write_b32 v11, v25
	s_branch .LBB218_7
.LBB218_16:                             ;   in Loop: Header=BB218_8 Depth=1
	v_add_nc_u32_e32 v2, s4, v7
	v_mov_b32_e32 v5, v3
	s_andn2_b32 s20, s15, exec_lo
	s_mov_b32 s16, exec_lo
	v_cmp_le_u64_e32 vcc_lo, s[12:13], v[2:3]
	v_mov_b32_e32 v4, v2
	s_and_b32 s21, vcc_lo, exec_lo
	s_or_b32 s20, s20, s21
	s_or_b32 exec_lo, exec_lo, s17
	s_and_saveexec_b32 s17, s20
	s_xor_b32 s17, exec_lo, s17
	s_cbranch_execz .LBB218_10
.LBB218_17:                             ;   in Loop: Header=BB218_8 Depth=1
	v_mov_b32_e32 v2, v3
	s_andn2_b32 s16, s16, exec_lo
	ds_write_b64 v8, v[2:3]
	s_or_b32 exec_lo, exec_lo, s17
	s_and_saveexec_b32 s17, s16
	s_cbranch_execnz .LBB218_11
	s_branch .LBB218_12
.LBB218_18:
	v_add_nc_u32_e32 v9, s7, v1
	s_mul_i32 s1, s43, s8
	s_mul_hi_u32 s4, s42, s8
	s_mul_i32 s0, s42, s8
	s_add_i32 s1, s4, s1
	v_ashrrev_i32_e32 v3, 31, v9
	v_mul_lo_u32 v4, s41, v9
	v_mad_u64_u32 v[1:2], null, s40, v9, 0
	v_add_nc_u32_e32 v0, s6, v0
	v_mul_lo_u32 v3, s40, v3
	v_cmp_neq_f32_e64 s6, s2, 0
	s_lshl_b64 s[4:5], s[0:1], 3
	s_waitcnt lgkmcnt(0)
	v_cmp_gt_i32_e64 s0, s9, v9
	s_add_u32 s4, s38, s4
	s_addc_u32 s5, s39, s5
	s_xor_b32 s7, s14, -1
	v_cmp_le_i32_e32 vcc_lo, v0, v9
	v_add3_u32 v2, v2, v3, v4
	s_or_b32 s6, s6, s7
	v_cndmask_b32_e64 v8, 0, 1, s6
	s_and_b32 s7, s0, vcc_lo
	v_lshlrev_b64 v[2:3], 3, v[1:2]
	v_ashrrev_i32_e32 v1, 31, v0
	v_add_co_u32 v6, s1, s4, v2
	v_add_co_ci_u32_e64 v7, null, s5, v3, s1
	s_and_saveexec_b32 s1, s7
	s_cbranch_execz .LBB218_22
; %bb.19:
	v_lshlrev_b64 v[4:5], 3, v[0:1]
	v_mul_f32_e32 v2, s11, v23
	v_mul_f32_e32 v3, s10, v23
	v_fma_f32 v2, v22, s10, -v2
	v_add_co_u32 v4, vcc_lo, v6, v4
	v_fmac_f32_e32 v3, s11, v22
	v_add_co_ci_u32_e64 v5, null, v7, v5, vcc_lo
	s_andn2_b32 vcc_lo, exec_lo, s6
	s_cbranch_vccnz .LBB218_21
; %bb.20:
	global_load_dwordx2 v[10:11], v[4:5], off
	s_waitcnt vmcnt(0)
	v_mul_f32_e32 v12, s3, v11
	v_mul_f32_e32 v11, s2, v11
	v_fma_f32 v12, v10, s2, -v12
	v_fmac_f32_e32 v11, s3, v10
	v_add_f32_e32 v2, v2, v12
	v_add_f32_e32 v3, v3, v11
.LBB218_21:
	global_store_dwordx2 v[4:5], v[2:3], off
.LBB218_22:
	s_or_b32 exec_lo, exec_lo, s1
	v_add_nc_u32_e32 v2, 16, v0
	v_cmp_le_i32_e32 vcc_lo, v2, v9
	v_ashrrev_i32_e32 v3, 31, v2
	s_and_b32 s0, s0, vcc_lo
	s_and_saveexec_b32 s1, s0
	s_cbranch_execz .LBB218_26
; %bb.23:
	v_lshlrev_b64 v[10:11], 3, v[2:3]
	v_mul_f32_e32 v4, s11, v21
	v_mul_f32_e32 v5, s10, v21
	v_cmp_ne_u32_e32 vcc_lo, 1, v8
	v_fma_f32 v4, v20, s10, -v4
	v_add_co_u32 v6, s0, v6, v10
	v_fmac_f32_e32 v5, s11, v20
	v_add_co_ci_u32_e64 v7, null, v7, v11, s0
	s_cbranch_vccnz .LBB218_25
; %bb.24:
	global_load_dwordx2 v[10:11], v[6:7], off
	s_waitcnt vmcnt(0)
	v_mul_f32_e32 v12, s3, v11
	v_mul_f32_e32 v11, s2, v11
	v_fma_f32 v12, v10, s2, -v12
	v_fmac_f32_e32 v11, s3, v10
	v_add_f32_e32 v4, v4, v12
	v_add_f32_e32 v5, v5, v11
.LBB218_25:
	global_store_dwordx2 v[6:7], v[4:5], off
.LBB218_26:
	s_or_b32 exec_lo, exec_lo, s1
	v_add_nc_u32_e32 v9, 16, v9
	v_ashrrev_i32_e32 v6, 31, v9
	v_mul_lo_u32 v7, s41, v9
	v_mad_u64_u32 v[4:5], null, s40, v9, 0
	v_cmp_gt_i32_e64 s0, s9, v9
	v_mul_lo_u32 v6, s40, v6
	v_cmp_le_i32_e32 vcc_lo, v0, v9
	v_add3_u32 v5, v5, v6, v7
	v_lshlrev_b64 v[4:5], 3, v[4:5]
	v_add_co_u32 v6, s1, s4, v4
	v_add_co_ci_u32_e64 v7, null, s5, v5, s1
	s_and_b32 s1, s0, vcc_lo
	s_and_saveexec_b32 s4, s1
	s_cbranch_execz .LBB218_30
; %bb.27:
	v_lshlrev_b64 v[0:1], 3, v[0:1]
	v_mul_f32_e32 v4, s11, v19
	v_mul_f32_e32 v5, s10, v19
	v_cmp_ne_u32_e32 vcc_lo, 1, v8
	v_fma_f32 v4, v18, s10, -v4
	v_add_co_u32 v0, s1, v6, v0
	v_fmac_f32_e32 v5, s11, v18
	v_add_co_ci_u32_e64 v1, null, v7, v1, s1
	s_cbranch_vccnz .LBB218_29
; %bb.28:
	global_load_dwordx2 v[10:11], v[0:1], off
	s_waitcnt vmcnt(0)
	v_mul_f32_e32 v12, s3, v11
	v_mul_f32_e32 v11, s2, v11
	v_fma_f32 v12, v10, s2, -v12
	v_fmac_f32_e32 v11, s3, v10
	v_add_f32_e32 v4, v4, v12
	v_add_f32_e32 v5, v5, v11
.LBB218_29:
	global_store_dwordx2 v[0:1], v[4:5], off
.LBB218_30:
	s_or_b32 exec_lo, exec_lo, s4
	v_cmp_le_i32_e32 vcc_lo, v2, v9
	s_and_b32 s0, s0, vcc_lo
	s_and_saveexec_b32 s1, s0
	s_cbranch_execz .LBB218_34
; %bb.31:
	v_lshlrev_b64 v[2:3], 3, v[2:3]
	v_mul_f32_e32 v0, s11, v17
	v_mul_f32_e32 v1, s10, v17
	v_cmp_ne_u32_e32 vcc_lo, 1, v8
	v_fma_f32 v0, v16, s10, -v0
	v_add_co_u32 v2, s0, v6, v2
	v_fmac_f32_e32 v1, s11, v16
	v_add_co_ci_u32_e64 v3, null, v7, v3, s0
	s_cbranch_vccnz .LBB218_33
; %bb.32:
	global_load_dwordx2 v[4:5], v[2:3], off
	s_waitcnt vmcnt(0)
	v_mul_f32_e32 v6, s3, v5
	v_mul_f32_e32 v5, s2, v5
	v_fma_f32 v6, v4, s2, -v6
	v_fmac_f32_e32 v5, s3, v4
	v_add_f32_e32 v0, v0, v6
	v_add_f32_e32 v1, v1, v5
.LBB218_33:
	global_store_dwordx2 v[2:3], v[0:1], off
.LBB218_34:
	s_endpgm
	.section	.rodata,"a",@progbits
	.p2align	6, 0x0
	.amdhsa_kernel _ZL29rocblas_internal_gemmt_kernelIlLi16ELi32ELi8ELc78ELc67ELc85ELb0ELb1E19rocblas_complex_numIfEPKS1_S3_PS1_EviT_T9_T10_S5_lS7_S5_lS6_T11_S5_li
		.amdhsa_group_segment_fixed_size 4096
		.amdhsa_private_segment_fixed_size 0
		.amdhsa_kernarg_size 108
		.amdhsa_user_sgpr_count 6
		.amdhsa_user_sgpr_private_segment_buffer 1
		.amdhsa_user_sgpr_dispatch_ptr 0
		.amdhsa_user_sgpr_queue_ptr 0
		.amdhsa_user_sgpr_kernarg_segment_ptr 1
		.amdhsa_user_sgpr_dispatch_id 0
		.amdhsa_user_sgpr_flat_scratch_init 0
		.amdhsa_user_sgpr_private_segment_size 0
		.amdhsa_wavefront_size32 1
		.amdhsa_uses_dynamic_stack 0
		.amdhsa_system_sgpr_private_segment_wavefront_offset 0
		.amdhsa_system_sgpr_workgroup_id_x 1
		.amdhsa_system_sgpr_workgroup_id_y 1
		.amdhsa_system_sgpr_workgroup_id_z 1
		.amdhsa_system_sgpr_workgroup_info 0
		.amdhsa_system_vgpr_workitem_id 1
		.amdhsa_next_free_vgpr 61
		.amdhsa_next_free_sgpr 44
		.amdhsa_reserve_vcc 1
		.amdhsa_reserve_flat_scratch 0
		.amdhsa_float_round_mode_32 0
		.amdhsa_float_round_mode_16_64 0
		.amdhsa_float_denorm_mode_32 3
		.amdhsa_float_denorm_mode_16_64 3
		.amdhsa_dx10_clamp 1
		.amdhsa_ieee_mode 1
		.amdhsa_fp16_overflow 0
		.amdhsa_workgroup_processor_mode 1
		.amdhsa_memory_ordered 1
		.amdhsa_forward_progress 1
		.amdhsa_shared_vgpr_count 0
		.amdhsa_exception_fp_ieee_invalid_op 0
		.amdhsa_exception_fp_denorm_src 0
		.amdhsa_exception_fp_ieee_div_zero 0
		.amdhsa_exception_fp_ieee_overflow 0
		.amdhsa_exception_fp_ieee_underflow 0
		.amdhsa_exception_fp_ieee_inexact 0
		.amdhsa_exception_int_div_zero 0
	.end_amdhsa_kernel
	.section	.text._ZL29rocblas_internal_gemmt_kernelIlLi16ELi32ELi8ELc78ELc67ELc85ELb0ELb1E19rocblas_complex_numIfEPKS1_S3_PS1_EviT_T9_T10_S5_lS7_S5_lS6_T11_S5_li,"axG",@progbits,_ZL29rocblas_internal_gemmt_kernelIlLi16ELi32ELi8ELc78ELc67ELc85ELb0ELb1E19rocblas_complex_numIfEPKS1_S3_PS1_EviT_T9_T10_S5_lS7_S5_lS6_T11_S5_li,comdat
.Lfunc_end218:
	.size	_ZL29rocblas_internal_gemmt_kernelIlLi16ELi32ELi8ELc78ELc67ELc85ELb0ELb1E19rocblas_complex_numIfEPKS1_S3_PS1_EviT_T9_T10_S5_lS7_S5_lS6_T11_S5_li, .Lfunc_end218-_ZL29rocblas_internal_gemmt_kernelIlLi16ELi32ELi8ELc78ELc67ELc85ELb0ELb1E19rocblas_complex_numIfEPKS1_S3_PS1_EviT_T9_T10_S5_lS7_S5_lS6_T11_S5_li
                                        ; -- End function
	.set _ZL29rocblas_internal_gemmt_kernelIlLi16ELi32ELi8ELc78ELc67ELc85ELb0ELb1E19rocblas_complex_numIfEPKS1_S3_PS1_EviT_T9_T10_S5_lS7_S5_lS6_T11_S5_li.num_vgpr, 61
	.set _ZL29rocblas_internal_gemmt_kernelIlLi16ELi32ELi8ELc78ELc67ELc85ELb0ELb1E19rocblas_complex_numIfEPKS1_S3_PS1_EviT_T9_T10_S5_lS7_S5_lS6_T11_S5_li.num_agpr, 0
	.set _ZL29rocblas_internal_gemmt_kernelIlLi16ELi32ELi8ELc78ELc67ELc85ELb0ELb1E19rocblas_complex_numIfEPKS1_S3_PS1_EviT_T9_T10_S5_lS7_S5_lS6_T11_S5_li.numbered_sgpr, 44
	.set _ZL29rocblas_internal_gemmt_kernelIlLi16ELi32ELi8ELc78ELc67ELc85ELb0ELb1E19rocblas_complex_numIfEPKS1_S3_PS1_EviT_T9_T10_S5_lS7_S5_lS6_T11_S5_li.num_named_barrier, 0
	.set _ZL29rocblas_internal_gemmt_kernelIlLi16ELi32ELi8ELc78ELc67ELc85ELb0ELb1E19rocblas_complex_numIfEPKS1_S3_PS1_EviT_T9_T10_S5_lS7_S5_lS6_T11_S5_li.private_seg_size, 0
	.set _ZL29rocblas_internal_gemmt_kernelIlLi16ELi32ELi8ELc78ELc67ELc85ELb0ELb1E19rocblas_complex_numIfEPKS1_S3_PS1_EviT_T9_T10_S5_lS7_S5_lS6_T11_S5_li.uses_vcc, 1
	.set _ZL29rocblas_internal_gemmt_kernelIlLi16ELi32ELi8ELc78ELc67ELc85ELb0ELb1E19rocblas_complex_numIfEPKS1_S3_PS1_EviT_T9_T10_S5_lS7_S5_lS6_T11_S5_li.uses_flat_scratch, 0
	.set _ZL29rocblas_internal_gemmt_kernelIlLi16ELi32ELi8ELc78ELc67ELc85ELb0ELb1E19rocblas_complex_numIfEPKS1_S3_PS1_EviT_T9_T10_S5_lS7_S5_lS6_T11_S5_li.has_dyn_sized_stack, 0
	.set _ZL29rocblas_internal_gemmt_kernelIlLi16ELi32ELi8ELc78ELc67ELc85ELb0ELb1E19rocblas_complex_numIfEPKS1_S3_PS1_EviT_T9_T10_S5_lS7_S5_lS6_T11_S5_li.has_recursion, 0
	.set _ZL29rocblas_internal_gemmt_kernelIlLi16ELi32ELi8ELc78ELc67ELc85ELb0ELb1E19rocblas_complex_numIfEPKS1_S3_PS1_EviT_T9_T10_S5_lS7_S5_lS6_T11_S5_li.has_indirect_call, 0
	.section	.AMDGPU.csdata,"",@progbits
; Kernel info:
; codeLenInByte = 2624
; TotalNumSgprs: 46
; NumVgprs: 61
; ScratchSize: 0
; MemoryBound: 0
; FloatMode: 240
; IeeeMode: 1
; LDSByteSize: 4096 bytes/workgroup (compile time only)
; SGPRBlocks: 0
; VGPRBlocks: 7
; NumSGPRsForWavesPerEU: 46
; NumVGPRsForWavesPerEU: 61
; Occupancy: 16
; WaveLimiterHint : 0
; COMPUTE_PGM_RSRC2:SCRATCH_EN: 0
; COMPUTE_PGM_RSRC2:USER_SGPR: 6
; COMPUTE_PGM_RSRC2:TRAP_HANDLER: 0
; COMPUTE_PGM_RSRC2:TGID_X_EN: 1
; COMPUTE_PGM_RSRC2:TGID_Y_EN: 1
; COMPUTE_PGM_RSRC2:TGID_Z_EN: 1
; COMPUTE_PGM_RSRC2:TIDIG_COMP_CNT: 1
	.section	.text._ZL29rocblas_internal_gemmt_kernelIlLi16ELi32ELi8ELc84ELc78ELc85ELb0ELb0E19rocblas_complex_numIfEPKS1_S3_PS1_EviT_T9_T10_S5_lS7_S5_lS6_T11_S5_li,"axG",@progbits,_ZL29rocblas_internal_gemmt_kernelIlLi16ELi32ELi8ELc84ELc78ELc85ELb0ELb0E19rocblas_complex_numIfEPKS1_S3_PS1_EviT_T9_T10_S5_lS7_S5_lS6_T11_S5_li,comdat
	.globl	_ZL29rocblas_internal_gemmt_kernelIlLi16ELi32ELi8ELc84ELc78ELc85ELb0ELb0E19rocblas_complex_numIfEPKS1_S3_PS1_EviT_T9_T10_S5_lS7_S5_lS6_T11_S5_li ; -- Begin function _ZL29rocblas_internal_gemmt_kernelIlLi16ELi32ELi8ELc84ELc78ELc85ELb0ELb0E19rocblas_complex_numIfEPKS1_S3_PS1_EviT_T9_T10_S5_lS7_S5_lS6_T11_S5_li
	.p2align	8
	.type	_ZL29rocblas_internal_gemmt_kernelIlLi16ELi32ELi8ELc84ELc78ELc85ELb0ELb0E19rocblas_complex_numIfEPKS1_S3_PS1_EviT_T9_T10_S5_lS7_S5_lS6_T11_S5_li,@function
_ZL29rocblas_internal_gemmt_kernelIlLi16ELi32ELi8ELc84ELc78ELc85ELb0ELb0E19rocblas_complex_numIfEPKS1_S3_PS1_EviT_T9_T10_S5_lS7_S5_lS6_T11_S5_li: ; @_ZL29rocblas_internal_gemmt_kernelIlLi16ELi32ELi8ELc84ELc78ELc85ELb0ELb0E19rocblas_complex_numIfEPKS1_S3_PS1_EviT_T9_T10_S5_lS7_S5_lS6_T11_S5_li
; %bb.0:
	s_clause 0x1
	s_load_dwordx8 s[36:43], s[4:5], 0x48
	s_load_dwordx16 s[12:27], s[4:5], 0x8
	s_waitcnt lgkmcnt(0)
	s_load_dwordx2 s[2:3], s[36:37], 0x0
	s_load_dwordx2 s[10:11], s[14:15], 0x0
	s_waitcnt lgkmcnt(0)
	s_and_b32 s0, s3, 0x7fffffff
	v_cmp_eq_f32_e64 s1, s2, 1.0
	s_cmp_eq_u32 s0, 0
	s_mov_b32 s0, 0
	s_cselect_b32 s14, -1, 0
	s_and_b32 s1, s1, s14
	s_andn2_b32 vcc_lo, exec_lo, s1
	s_mov_b32 s1, -1
	s_cbranch_vccnz .LBB219_4
; %bb.1:
	s_cmp_lg_u64 s[12:13], 0
	s_cbranch_scc0 .LBB219_3
; %bb.2:
	v_cmp_neq_f32_e64 s0, s10, 0
	v_cmp_neq_f32_e64 s1, s11, 0
	s_or_b32 s0, s0, s1
.LBB219_3:
	s_mov_b32 s1, s0
.LBB219_4:
	s_and_b32 vcc_lo, exec_lo, s1
	s_cbranch_vccz .LBB219_34
; %bb.5:
	s_load_dword s9, s[4:5], 0x0
	v_cmp_eq_f32_e64 s0, s10, 0
	v_cmp_eq_f32_e64 s1, s11, 0
	v_cmp_lt_i64_e64 s4, s[12:13], 1
	v_mov_b32_e32 v22, 0
	v_mov_b32_e32 v23, 0
	;; [unrolled: 1-line block ×3, first 2 shown]
	s_and_b32 s0, s0, s1
	v_mov_b32_e32 v21, 0
	v_mov_b32_e32 v18, 0
	;; [unrolled: 1-line block ×5, first 2 shown]
	s_or_b32 s0, s0, s4
	s_lshl_b32 s6, s6, 5
	s_and_b32 vcc_lo, exec_lo, s0
	s_lshl_b32 s7, s7, 5
	s_cbranch_vccnz .LBB219_18
; %bb.6:
	v_lshl_add_u32 v7, v1, 4, v0
	s_mul_i32 s1, s27, s8
	s_mul_hi_u32 s4, s26, s8
	s_mul_i32 s0, s26, s8
	s_add_i32 s1, s4, s1
	v_lshrrev_b32_e32 v9, 3, v7
	v_and_b32_e32 v8, 31, v7
	s_lshl_b64 s[0:1], s[0:1], 3
	s_mul_hi_u32 s5, s20, s8
	s_add_u32 s4, s22, s0
	v_add_nc_u32_e32 v11, s7, v9
	v_or_b32_e32 v10, s6, v8
	s_mul_i32 s0, s21, s8
	s_addc_u32 s21, s23, s1
	s_add_i32 s1, s5, s0
	v_ashrrev_i32_e32 v4, 31, v11
	s_mul_i32 s0, s20, s8
	v_mul_lo_u32 v12, s19, v10
	v_mad_u64_u32 v[2:3], null, s18, v10, 0
	s_lshl_b64 s[0:1], s[0:1], 3
	v_mul_lo_u32 v13, s24, v4
	v_mul_lo_u32 v14, s25, v11
	v_mad_u64_u32 v[4:5], null, s24, v11, 0
	s_add_u32 s5, s16, s0
	s_addc_u32 s1, s17, s1
	s_ashr_i32 s0, s6, 31
	v_and_b32_e32 v6, 7, v0
	s_mul_i32 s0, s18, s0
	v_lshrrev_b32_e32 v7, 5, v7
	v_add3_u32 v3, v3, s0, v12
	v_add3_u32 v5, v5, v13, v14
	v_lshlrev_b32_e32 v12, 3, v6
	v_lshlrev_b32_e32 v8, 3, v8
	s_waitcnt lgkmcnt(0)
	v_cmp_gt_i32_e64 s0, s9, v10
	v_lshlrev_b64 v[2:3], 3, v[2:3]
	v_lshlrev_b64 v[4:5], 3, v[4:5]
	v_lshl_or_b32 v12, v9, 6, v12
	v_cmp_le_i32_e64 s15, s9, v10
	v_lshl_or_b32 v8, v7, 8, v8
	v_lshlrev_b32_e32 v14, 3, v0
	v_add_co_u32 v9, vcc_lo, s5, v2
	v_add_co_ci_u32_e64 v10, null, s1, v3, vcc_lo
	v_cmp_gt_i32_e32 vcc_lo, s9, v11
	v_add_nc_u32_e32 v11, 0x800, v12
	v_add_co_u32 v12, s1, s4, v4
	v_add_co_ci_u32_e64 v13, null, s21, v5, s1
	v_lshl_add_u32 v15, v1, 6, 0x800
	v_mov_b32_e32 v3, 0
	v_mov_b32_e32 v17, 0
	;; [unrolled: 1-line block ×9, first 2 shown]
	s_mov_b64 s[4:5], 0
	s_xor_b32 s1, vcc_lo, -1
                                        ; implicit-def: $vgpr4_vgpr5
	s_branch .LBB219_8
.LBB219_7:                              ;   in Loop: Header=BB219_8 Depth=1
	s_or_b32 exec_lo, exec_lo, s16
	s_waitcnt lgkmcnt(0)
	s_barrier
	buffer_gl0_inv
	ds_read_b128 v[24:27], v15
	ds_read2_b64 v[28:31], v14 offset1:16
	ds_read_b128 v[32:35], v15 offset:1024
	ds_read_b128 v[36:39], v15 offset:16
	ds_read_b128 v[40:43], v15 offset:32
	ds_read_b128 v[44:47], v15 offset:48
	ds_read2_b64 v[48:51], v14 offset0:32 offset1:48
	ds_read_b128 v[52:55], v15 offset:1040
	s_add_u32 s4, s4, 8
	s_addc_u32 s5, s5, 0
	v_cmp_gt_i64_e64 s16, s[12:13], s[4:5]
	s_and_b32 vcc_lo, exec_lo, s16
	s_waitcnt lgkmcnt(6)
	v_mul_f32_e32 v2, v25, v29
	v_mul_f32_e32 v56, v24, v29
	;; [unrolled: 1-line block ×4, first 2 shown]
	s_waitcnt lgkmcnt(5)
	v_mul_f32_e32 v59, v33, v29
	v_mul_f32_e32 v29, v32, v29
	;; [unrolled: 1-line block ×3, first 2 shown]
	v_fma_f32 v2, v24, v28, -v2
	v_fmac_f32_e32 v56, v25, v28
	v_fma_f32 v24, v24, v30, -v57
	v_fmac_f32_e32 v58, v25, v30
	;; [unrolled: 2-line block ×3, first 2 shown]
	v_mul_f32_e32 v31, v32, v31
	v_fma_f32 v28, v32, v30, -v60
	v_add_f32_e32 v2, v22, v2
	v_add_f32_e32 v22, v23, v56
	;; [unrolled: 1-line block ×6, first 2 shown]
	s_waitcnt lgkmcnt(1)
	v_mul_f32_e32 v32, v27, v49
	ds_read2_b64 v[18:21], v14 offset0:64 offset1:80
	v_fmac_f32_e32 v31, v33, v30
	v_add_f32_e32 v16, v16, v28
	v_mul_f32_e32 v28, v26, v49
	v_fma_f32 v30, v26, v48, -v32
	v_mul_f32_e32 v32, v27, v51
	v_add_f32_e32 v17, v17, v31
	v_mul_f32_e32 v31, v26, v51
	v_fmac_f32_e32 v28, v27, v48
	v_add_f32_e32 v2, v2, v30
	v_fma_f32 v26, v26, v50, -v32
	v_mul_f32_e32 v30, v35, v49
	v_fmac_f32_e32 v31, v27, v50
	v_add_f32_e32 v28, v22, v28
	v_mul_f32_e32 v22, v34, v49
	v_add_f32_e32 v26, v23, v26
	v_fma_f32 v23, v34, v48, -v30
	v_mul_f32_e32 v27, v35, v51
	v_add_f32_e32 v30, v24, v31
	v_fmac_f32_e32 v22, v35, v48
	v_mul_f32_e32 v31, v34, v51
	v_add_f32_e32 v32, v25, v23
	v_fma_f32 v23, v34, v50, -v27
	s_waitcnt lgkmcnt(0)
	v_mul_f32_e32 v24, v37, v19
	v_add_f32_e32 v27, v29, v22
	v_fmac_f32_e32 v31, v35, v50
	v_mul_f32_e32 v29, v36, v19
	v_add_f32_e32 v16, v16, v23
	v_fma_f32 v33, v36, v18, -v24
	v_mul_f32_e32 v34, v37, v21
	ds_read2_b64 v[22:25], v14 offset0:96 offset1:112
	v_fmac_f32_e32 v29, v37, v18
	v_add_f32_e32 v31, v17, v31
	v_add_f32_e32 v2, v2, v33
	v_mul_f32_e32 v17, v36, v21
	v_fma_f32 v33, v36, v20, -v34
	v_add_f32_e32 v28, v28, v29
	v_mul_f32_e32 v29, v53, v19
	v_mul_f32_e32 v19, v52, v19
	v_fmac_f32_e32 v17, v37, v20
	v_add_f32_e32 v26, v26, v33
	v_mul_f32_e32 v33, v53, v21
	v_mul_f32_e32 v21, v52, v21
	v_fmac_f32_e32 v19, v53, v18
	v_add_f32_e32 v30, v30, v17
	v_fma_f32 v29, v52, v18, -v29
	v_fma_f32 v17, v52, v20, -v33
	v_fmac_f32_e32 v21, v53, v20
	v_add_f32_e32 v33, v27, v19
	s_waitcnt lgkmcnt(0)
	v_mul_f32_e32 v20, v39, v23
	v_add_f32_e32 v34, v16, v17
	ds_read2_b64 v[16:19], v14 offset0:128 offset1:144
	v_add_f32_e32 v32, v32, v29
	v_mul_f32_e32 v27, v38, v23
	v_mul_f32_e32 v29, v39, v25
	v_fma_f32 v20, v38, v22, -v20
	v_add_f32_e32 v31, v31, v21
	v_mul_f32_e32 v21, v38, v25
	v_fmac_f32_e32 v27, v39, v22
	v_fma_f32 v29, v38, v24, -v29
	v_add_f32_e32 v2, v2, v20
	v_mul_f32_e32 v20, v55, v23
	v_fmac_f32_e32 v21, v39, v24
	v_add_f32_e32 v35, v28, v27
	v_add_f32_e32 v36, v26, v29
	v_mul_f32_e32 v23, v54, v23
	v_fma_f32 v20, v54, v22, -v20
	v_mul_f32_e32 v37, v55, v25
	ds_read_b128 v[26:29], v15 offset:1056
	v_add_f32_e32 v38, v30, v21
	v_fmac_f32_e32 v23, v55, v22
	v_mul_f32_e32 v25, v54, v25
	v_fma_f32 v21, v54, v24, -v37
	v_add_f32_e32 v37, v32, v20
	s_waitcnt lgkmcnt(1)
	v_mul_f32_e32 v20, v41, v17
	v_add_f32_e32 v39, v33, v23
	v_fmac_f32_e32 v25, v55, v24
	v_add_f32_e32 v24, v34, v21
	v_mul_f32_e32 v32, v41, v19
	v_fma_f32 v30, v40, v16, -v20
	ds_read2_b64 v[20:23], v14 offset0:160 offset1:176
	v_mul_f32_e32 v34, v40, v17
	v_add_f32_e32 v25, v31, v25
	v_fma_f32 v48, v40, v18, -v32
	v_mul_f32_e32 v40, v40, v19
	v_add_f32_e32 v2, v2, v30
	v_fmac_f32_e32 v34, v41, v16
	ds_read_b128 v[30:33], v15 offset:1072
	s_waitcnt lgkmcnt(2)
	v_mul_f32_e32 v49, v27, v17
	v_mul_f32_e32 v17, v26, v17
	v_fmac_f32_e32 v40, v41, v18
	v_mul_f32_e32 v41, v27, v19
	v_add_f32_e32 v34, v35, v34
	v_add_f32_e32 v35, v36, v48
	v_fma_f32 v36, v26, v16, -v49
	v_fmac_f32_e32 v17, v27, v16
	v_add_f32_e32 v38, v38, v40
	v_mul_f32_e32 v40, v26, v19
	v_fma_f32 v16, v26, v18, -v41
	v_add_f32_e32 v36, v37, v36
	v_add_f32_e32 v26, v39, v17
	s_waitcnt lgkmcnt(1)
	v_mul_f32_e32 v37, v43, v21
	v_fmac_f32_e32 v40, v27, v18
	v_add_f32_e32 v24, v24, v16
	ds_read2_b64 v[16:19], v14 offset0:192 offset1:208
	v_mul_f32_e32 v27, v42, v21
	v_fma_f32 v37, v42, v20, -v37
	v_mul_f32_e32 v39, v43, v23
	v_add_f32_e32 v40, v25, v40
	v_mul_f32_e32 v25, v42, v23
	v_fmac_f32_e32 v27, v43, v20
	v_add_f32_e32 v2, v2, v37
	v_fma_f32 v37, v42, v22, -v39
	v_fmac_f32_e32 v25, v43, v22
	v_add_f32_e32 v34, v34, v27
	v_mul_f32_e32 v27, v29, v21
	v_mul_f32_e32 v21, v28, v21
	v_add_f32_e32 v35, v35, v37
	v_mul_f32_e32 v37, v29, v23
	v_add_f32_e32 v38, v38, v25
	v_fma_f32 v27, v28, v20, -v27
	v_fmac_f32_e32 v21, v29, v20
	v_mul_f32_e32 v20, v28, v23
	v_fma_f32 v23, v28, v22, -v37
	s_waitcnt lgkmcnt(0)
	v_mul_f32_e32 v25, v45, v17
	v_add_f32_e32 v28, v36, v27
	v_add_f32_e32 v21, v26, v21
	v_fmac_f32_e32 v20, v29, v22
	v_add_f32_e32 v22, v24, v23
	v_fma_f32 v29, v44, v16, -v25
	ds_read2_b64 v[24:27], v14 offset0:224 offset1:240
	v_mul_f32_e32 v23, v44, v17
	v_mul_f32_e32 v37, v31, v17
	;; [unrolled: 1-line block ×4, first 2 shown]
	v_add_f32_e32 v2, v2, v29
	v_fmac_f32_e32 v23, v45, v16
	v_mul_f32_e32 v29, v44, v19
	v_fmac_f32_e32 v17, v31, v16
	v_fma_f32 v36, v44, v18, -v36
	v_add_f32_e32 v20, v40, v20
	v_add_f32_e32 v23, v34, v23
	v_fma_f32 v34, v30, v16, -v37
	v_mul_f32_e32 v16, v31, v19
	v_mul_f32_e32 v19, v30, v19
	v_fmac_f32_e32 v29, v45, v18
	v_add_f32_e32 v17, v21, v17
	v_add_f32_e32 v35, v35, v36
	v_fma_f32 v16, v30, v18, -v16
	v_fmac_f32_e32 v19, v31, v18
	s_waitcnt lgkmcnt(0)
	v_mul_f32_e32 v21, v47, v25
	v_mul_f32_e32 v18, v47, v27
	v_add_f32_e32 v28, v28, v34
	v_mul_f32_e32 v30, v46, v25
	v_add_f32_e32 v16, v22, v16
	v_fma_f32 v21, v46, v24, -v21
	v_fma_f32 v18, v46, v26, -v18
	v_mul_f32_e32 v31, v46, v27
	v_add_f32_e32 v34, v20, v19
	v_mul_f32_e32 v19, v32, v25
	v_add_f32_e32 v22, v2, v21
	v_add_f32_e32 v20, v35, v18
	v_mul_f32_e32 v2, v33, v25
	v_mul_f32_e32 v18, v33, v27
	;; [unrolled: 1-line block ×3, first 2 shown]
	v_add_f32_e32 v29, v38, v29
	v_fmac_f32_e32 v30, v47, v24
	v_fmac_f32_e32 v31, v47, v26
	v_fma_f32 v2, v32, v24, -v2
	v_fmac_f32_e32 v19, v33, v24
	v_fma_f32 v24, v32, v26, -v18
	v_fmac_f32_e32 v25, v33, v26
	v_add_f32_e32 v23, v23, v30
	v_add_f32_e32 v21, v29, v31
	;; [unrolled: 1-line block ×6, first 2 shown]
	s_barrier
	buffer_gl0_inv
	s_cbranch_vccz .LBB219_18
.LBB219_8:                              ; =>This Inner Loop Header: Depth=1
	s_mov_b32 s18, s15
	s_mov_b32 s16, 0
	s_and_saveexec_b32 s17, s0
	s_cbranch_execnz .LBB219_16
; %bb.9:                                ;   in Loop: Header=BB219_8 Depth=1
	s_or_b32 exec_lo, exec_lo, s17
	s_and_saveexec_b32 s17, s18
	s_xor_b32 s17, exec_lo, s17
	s_cbranch_execnz .LBB219_17
.LBB219_10:                             ;   in Loop: Header=BB219_8 Depth=1
	s_or_b32 exec_lo, exec_lo, s17
	s_and_saveexec_b32 s17, s16
	s_cbranch_execz .LBB219_12
.LBB219_11:                             ;   in Loop: Header=BB219_8 Depth=1
	v_lshlrev_b64 v[24:25], 3, v[4:5]
	v_add_co_u32 v24, vcc_lo, v9, v24
	v_add_co_ci_u32_e64 v25, null, v10, v25, vcc_lo
	global_load_dwordx2 v[24:25], v[24:25], off
	s_waitcnt vmcnt(0)
	ds_write_b64 v8, v[24:25]
.LBB219_12:                             ;   in Loop: Header=BB219_8 Depth=1
	s_or_b32 exec_lo, exec_lo, s17
	v_add_nc_u32_e32 v2, s4, v6
	v_cmp_le_u64_e32 vcc_lo, s[12:13], v[2:3]
	s_or_b32 s16, vcc_lo, s1
	s_and_saveexec_b32 s17, s16
	s_xor_b32 s16, exec_lo, s17
; %bb.13:                               ;   in Loop: Header=BB219_8 Depth=1
	v_mov_b32_e32 v2, v3
	ds_write_b64 v11, v[2:3]
; %bb.14:                               ;   in Loop: Header=BB219_8 Depth=1
	s_andn2_saveexec_b32 s16, s16
	s_cbranch_execz .LBB219_7
; %bb.15:                               ;   in Loop: Header=BB219_8 Depth=1
	v_lshlrev_b64 v[24:25], 3, v[2:3]
	v_add_co_u32 v24, vcc_lo, v12, v24
	v_add_co_ci_u32_e64 v25, null, v13, v25, vcc_lo
	global_load_dwordx2 v[24:25], v[24:25], off
	s_waitcnt vmcnt(0)
	ds_write_b64 v11, v[24:25]
	s_branch .LBB219_7
.LBB219_16:                             ;   in Loop: Header=BB219_8 Depth=1
	v_add_nc_u32_e32 v2, s4, v7
	v_mov_b32_e32 v5, v3
	s_andn2_b32 s18, s15, exec_lo
	s_mov_b32 s16, exec_lo
	v_cmp_le_u64_e32 vcc_lo, s[12:13], v[2:3]
	v_mov_b32_e32 v4, v2
	s_and_b32 s19, vcc_lo, exec_lo
	s_or_b32 s18, s18, s19
	s_or_b32 exec_lo, exec_lo, s17
	s_and_saveexec_b32 s17, s18
	s_xor_b32 s17, exec_lo, s17
	s_cbranch_execz .LBB219_10
.LBB219_17:                             ;   in Loop: Header=BB219_8 Depth=1
	v_mov_b32_e32 v2, v3
	s_andn2_b32 s16, s16, exec_lo
	ds_write_b64 v8, v[2:3]
	s_or_b32 exec_lo, exec_lo, s17
	s_and_saveexec_b32 s17, s16
	s_cbranch_execnz .LBB219_11
	s_branch .LBB219_12
.LBB219_18:
	v_add_nc_u32_e32 v9, s7, v1
	s_mul_i32 s1, s43, s8
	s_mul_hi_u32 s4, s42, s8
	s_mul_i32 s0, s42, s8
	s_add_i32 s1, s4, s1
	v_ashrrev_i32_e32 v3, 31, v9
	v_mul_lo_u32 v4, s41, v9
	v_mad_u64_u32 v[1:2], null, s40, v9, 0
	v_add_nc_u32_e32 v0, s6, v0
	v_mul_lo_u32 v3, s40, v3
	v_cmp_neq_f32_e64 s6, s2, 0
	s_lshl_b64 s[4:5], s[0:1], 3
	s_waitcnt lgkmcnt(0)
	v_cmp_gt_i32_e64 s0, s9, v9
	s_add_u32 s4, s38, s4
	s_addc_u32 s5, s39, s5
	s_xor_b32 s7, s14, -1
	v_cmp_le_i32_e32 vcc_lo, v0, v9
	v_add3_u32 v2, v2, v3, v4
	s_or_b32 s6, s6, s7
	v_cndmask_b32_e64 v8, 0, 1, s6
	s_and_b32 s7, s0, vcc_lo
	v_lshlrev_b64 v[2:3], 3, v[1:2]
	v_ashrrev_i32_e32 v1, 31, v0
	v_add_co_u32 v6, s1, s4, v2
	v_add_co_ci_u32_e64 v7, null, s5, v3, s1
	s_and_saveexec_b32 s1, s7
	s_cbranch_execz .LBB219_22
; %bb.19:
	v_lshlrev_b64 v[4:5], 3, v[0:1]
	v_mul_f32_e32 v2, s11, v23
	v_mul_f32_e32 v3, s10, v23
	v_fma_f32 v2, v22, s10, -v2
	v_add_co_u32 v4, vcc_lo, v6, v4
	v_fmac_f32_e32 v3, s11, v22
	v_add_co_ci_u32_e64 v5, null, v7, v5, vcc_lo
	s_andn2_b32 vcc_lo, exec_lo, s6
	s_cbranch_vccnz .LBB219_21
; %bb.20:
	global_load_dwordx2 v[10:11], v[4:5], off
	s_waitcnt vmcnt(0)
	v_mul_f32_e32 v12, s3, v11
	v_mul_f32_e32 v11, s2, v11
	v_fma_f32 v12, v10, s2, -v12
	v_fmac_f32_e32 v11, s3, v10
	v_add_f32_e32 v2, v2, v12
	v_add_f32_e32 v3, v3, v11
.LBB219_21:
	global_store_dwordx2 v[4:5], v[2:3], off
.LBB219_22:
	s_or_b32 exec_lo, exec_lo, s1
	v_add_nc_u32_e32 v2, 16, v0
	v_cmp_le_i32_e32 vcc_lo, v2, v9
	v_ashrrev_i32_e32 v3, 31, v2
	s_and_b32 s0, s0, vcc_lo
	s_and_saveexec_b32 s1, s0
	s_cbranch_execz .LBB219_26
; %bb.23:
	v_lshlrev_b64 v[10:11], 3, v[2:3]
	v_mul_f32_e32 v4, s11, v21
	v_mul_f32_e32 v5, s10, v21
	v_cmp_ne_u32_e32 vcc_lo, 1, v8
	v_fma_f32 v4, v20, s10, -v4
	v_add_co_u32 v6, s0, v6, v10
	v_fmac_f32_e32 v5, s11, v20
	v_add_co_ci_u32_e64 v7, null, v7, v11, s0
	s_cbranch_vccnz .LBB219_25
; %bb.24:
	global_load_dwordx2 v[10:11], v[6:7], off
	s_waitcnt vmcnt(0)
	v_mul_f32_e32 v12, s3, v11
	v_mul_f32_e32 v11, s2, v11
	v_fma_f32 v12, v10, s2, -v12
	v_fmac_f32_e32 v11, s3, v10
	v_add_f32_e32 v4, v4, v12
	v_add_f32_e32 v5, v5, v11
.LBB219_25:
	global_store_dwordx2 v[6:7], v[4:5], off
.LBB219_26:
	s_or_b32 exec_lo, exec_lo, s1
	v_add_nc_u32_e32 v9, 16, v9
	v_ashrrev_i32_e32 v6, 31, v9
	v_mul_lo_u32 v7, s41, v9
	v_mad_u64_u32 v[4:5], null, s40, v9, 0
	v_cmp_gt_i32_e64 s0, s9, v9
	v_mul_lo_u32 v6, s40, v6
	v_cmp_le_i32_e32 vcc_lo, v0, v9
	v_add3_u32 v5, v5, v6, v7
	v_lshlrev_b64 v[4:5], 3, v[4:5]
	v_add_co_u32 v6, s1, s4, v4
	v_add_co_ci_u32_e64 v7, null, s5, v5, s1
	s_and_b32 s1, s0, vcc_lo
	s_and_saveexec_b32 s4, s1
	s_cbranch_execz .LBB219_30
; %bb.27:
	v_lshlrev_b64 v[0:1], 3, v[0:1]
	v_mul_f32_e32 v4, s11, v19
	v_mul_f32_e32 v5, s10, v19
	v_cmp_ne_u32_e32 vcc_lo, 1, v8
	v_fma_f32 v4, v18, s10, -v4
	v_add_co_u32 v0, s1, v6, v0
	v_fmac_f32_e32 v5, s11, v18
	v_add_co_ci_u32_e64 v1, null, v7, v1, s1
	s_cbranch_vccnz .LBB219_29
; %bb.28:
	global_load_dwordx2 v[10:11], v[0:1], off
	s_waitcnt vmcnt(0)
	v_mul_f32_e32 v12, s3, v11
	v_mul_f32_e32 v11, s2, v11
	v_fma_f32 v12, v10, s2, -v12
	v_fmac_f32_e32 v11, s3, v10
	v_add_f32_e32 v4, v4, v12
	v_add_f32_e32 v5, v5, v11
.LBB219_29:
	global_store_dwordx2 v[0:1], v[4:5], off
.LBB219_30:
	s_or_b32 exec_lo, exec_lo, s4
	v_cmp_le_i32_e32 vcc_lo, v2, v9
	s_and_b32 s0, s0, vcc_lo
	s_and_saveexec_b32 s1, s0
	s_cbranch_execz .LBB219_34
; %bb.31:
	v_lshlrev_b64 v[2:3], 3, v[2:3]
	v_mul_f32_e32 v0, s11, v17
	v_mul_f32_e32 v1, s10, v17
	v_cmp_ne_u32_e32 vcc_lo, 1, v8
	v_fma_f32 v0, v16, s10, -v0
	v_add_co_u32 v2, s0, v6, v2
	v_fmac_f32_e32 v1, s11, v16
	v_add_co_ci_u32_e64 v3, null, v7, v3, s0
	s_cbranch_vccnz .LBB219_33
; %bb.32:
	global_load_dwordx2 v[4:5], v[2:3], off
	s_waitcnt vmcnt(0)
	v_mul_f32_e32 v6, s3, v5
	v_mul_f32_e32 v5, s2, v5
	v_fma_f32 v6, v4, s2, -v6
	v_fmac_f32_e32 v5, s3, v4
	v_add_f32_e32 v0, v0, v6
	v_add_f32_e32 v1, v1, v5
.LBB219_33:
	global_store_dwordx2 v[2:3], v[0:1], off
.LBB219_34:
	s_endpgm
	.section	.rodata,"a",@progbits
	.p2align	6, 0x0
	.amdhsa_kernel _ZL29rocblas_internal_gemmt_kernelIlLi16ELi32ELi8ELc84ELc78ELc85ELb0ELb0E19rocblas_complex_numIfEPKS1_S3_PS1_EviT_T9_T10_S5_lS7_S5_lS6_T11_S5_li
		.amdhsa_group_segment_fixed_size 4096
		.amdhsa_private_segment_fixed_size 0
		.amdhsa_kernarg_size 108
		.amdhsa_user_sgpr_count 6
		.amdhsa_user_sgpr_private_segment_buffer 1
		.amdhsa_user_sgpr_dispatch_ptr 0
		.amdhsa_user_sgpr_queue_ptr 0
		.amdhsa_user_sgpr_kernarg_segment_ptr 1
		.amdhsa_user_sgpr_dispatch_id 0
		.amdhsa_user_sgpr_flat_scratch_init 0
		.amdhsa_user_sgpr_private_segment_size 0
		.amdhsa_wavefront_size32 1
		.amdhsa_uses_dynamic_stack 0
		.amdhsa_system_sgpr_private_segment_wavefront_offset 0
		.amdhsa_system_sgpr_workgroup_id_x 1
		.amdhsa_system_sgpr_workgroup_id_y 1
		.amdhsa_system_sgpr_workgroup_id_z 1
		.amdhsa_system_sgpr_workgroup_info 0
		.amdhsa_system_vgpr_workitem_id 1
		.amdhsa_next_free_vgpr 61
		.amdhsa_next_free_sgpr 44
		.amdhsa_reserve_vcc 1
		.amdhsa_reserve_flat_scratch 0
		.amdhsa_float_round_mode_32 0
		.amdhsa_float_round_mode_16_64 0
		.amdhsa_float_denorm_mode_32 3
		.amdhsa_float_denorm_mode_16_64 3
		.amdhsa_dx10_clamp 1
		.amdhsa_ieee_mode 1
		.amdhsa_fp16_overflow 0
		.amdhsa_workgroup_processor_mode 1
		.amdhsa_memory_ordered 1
		.amdhsa_forward_progress 1
		.amdhsa_shared_vgpr_count 0
		.amdhsa_exception_fp_ieee_invalid_op 0
		.amdhsa_exception_fp_denorm_src 0
		.amdhsa_exception_fp_ieee_div_zero 0
		.amdhsa_exception_fp_ieee_overflow 0
		.amdhsa_exception_fp_ieee_underflow 0
		.amdhsa_exception_fp_ieee_inexact 0
		.amdhsa_exception_int_div_zero 0
	.end_amdhsa_kernel
	.section	.text._ZL29rocblas_internal_gemmt_kernelIlLi16ELi32ELi8ELc84ELc78ELc85ELb0ELb0E19rocblas_complex_numIfEPKS1_S3_PS1_EviT_T9_T10_S5_lS7_S5_lS6_T11_S5_li,"axG",@progbits,_ZL29rocblas_internal_gemmt_kernelIlLi16ELi32ELi8ELc84ELc78ELc85ELb0ELb0E19rocblas_complex_numIfEPKS1_S3_PS1_EviT_T9_T10_S5_lS7_S5_lS6_T11_S5_li,comdat
.Lfunc_end219:
	.size	_ZL29rocblas_internal_gemmt_kernelIlLi16ELi32ELi8ELc84ELc78ELc85ELb0ELb0E19rocblas_complex_numIfEPKS1_S3_PS1_EviT_T9_T10_S5_lS7_S5_lS6_T11_S5_li, .Lfunc_end219-_ZL29rocblas_internal_gemmt_kernelIlLi16ELi32ELi8ELc84ELc78ELc85ELb0ELb0E19rocblas_complex_numIfEPKS1_S3_PS1_EviT_T9_T10_S5_lS7_S5_lS6_T11_S5_li
                                        ; -- End function
	.set _ZL29rocblas_internal_gemmt_kernelIlLi16ELi32ELi8ELc84ELc78ELc85ELb0ELb0E19rocblas_complex_numIfEPKS1_S3_PS1_EviT_T9_T10_S5_lS7_S5_lS6_T11_S5_li.num_vgpr, 61
	.set _ZL29rocblas_internal_gemmt_kernelIlLi16ELi32ELi8ELc84ELc78ELc85ELb0ELb0E19rocblas_complex_numIfEPKS1_S3_PS1_EviT_T9_T10_S5_lS7_S5_lS6_T11_S5_li.num_agpr, 0
	.set _ZL29rocblas_internal_gemmt_kernelIlLi16ELi32ELi8ELc84ELc78ELc85ELb0ELb0E19rocblas_complex_numIfEPKS1_S3_PS1_EviT_T9_T10_S5_lS7_S5_lS6_T11_S5_li.numbered_sgpr, 44
	.set _ZL29rocblas_internal_gemmt_kernelIlLi16ELi32ELi8ELc84ELc78ELc85ELb0ELb0E19rocblas_complex_numIfEPKS1_S3_PS1_EviT_T9_T10_S5_lS7_S5_lS6_T11_S5_li.num_named_barrier, 0
	.set _ZL29rocblas_internal_gemmt_kernelIlLi16ELi32ELi8ELc84ELc78ELc85ELb0ELb0E19rocblas_complex_numIfEPKS1_S3_PS1_EviT_T9_T10_S5_lS7_S5_lS6_T11_S5_li.private_seg_size, 0
	.set _ZL29rocblas_internal_gemmt_kernelIlLi16ELi32ELi8ELc84ELc78ELc85ELb0ELb0E19rocblas_complex_numIfEPKS1_S3_PS1_EviT_T9_T10_S5_lS7_S5_lS6_T11_S5_li.uses_vcc, 1
	.set _ZL29rocblas_internal_gemmt_kernelIlLi16ELi32ELi8ELc84ELc78ELc85ELb0ELb0E19rocblas_complex_numIfEPKS1_S3_PS1_EviT_T9_T10_S5_lS7_S5_lS6_T11_S5_li.uses_flat_scratch, 0
	.set _ZL29rocblas_internal_gemmt_kernelIlLi16ELi32ELi8ELc84ELc78ELc85ELb0ELb0E19rocblas_complex_numIfEPKS1_S3_PS1_EviT_T9_T10_S5_lS7_S5_lS6_T11_S5_li.has_dyn_sized_stack, 0
	.set _ZL29rocblas_internal_gemmt_kernelIlLi16ELi32ELi8ELc84ELc78ELc85ELb0ELb0E19rocblas_complex_numIfEPKS1_S3_PS1_EviT_T9_T10_S5_lS7_S5_lS6_T11_S5_li.has_recursion, 0
	.set _ZL29rocblas_internal_gemmt_kernelIlLi16ELi32ELi8ELc84ELc78ELc85ELb0ELb0E19rocblas_complex_numIfEPKS1_S3_PS1_EviT_T9_T10_S5_lS7_S5_lS6_T11_S5_li.has_indirect_call, 0
	.section	.AMDGPU.csdata,"",@progbits
; Kernel info:
; codeLenInByte = 2616
; TotalNumSgprs: 46
; NumVgprs: 61
; ScratchSize: 0
; MemoryBound: 0
; FloatMode: 240
; IeeeMode: 1
; LDSByteSize: 4096 bytes/workgroup (compile time only)
; SGPRBlocks: 0
; VGPRBlocks: 7
; NumSGPRsForWavesPerEU: 46
; NumVGPRsForWavesPerEU: 61
; Occupancy: 16
; WaveLimiterHint : 0
; COMPUTE_PGM_RSRC2:SCRATCH_EN: 0
; COMPUTE_PGM_RSRC2:USER_SGPR: 6
; COMPUTE_PGM_RSRC2:TRAP_HANDLER: 0
; COMPUTE_PGM_RSRC2:TGID_X_EN: 1
; COMPUTE_PGM_RSRC2:TGID_Y_EN: 1
; COMPUTE_PGM_RSRC2:TGID_Z_EN: 1
; COMPUTE_PGM_RSRC2:TIDIG_COMP_CNT: 1
	.section	.text._ZL29rocblas_internal_gemmt_kernelIlLi16ELi32ELi8ELc84ELc84ELc85ELb0ELb0E19rocblas_complex_numIfEPKS1_S3_PS1_EviT_T9_T10_S5_lS7_S5_lS6_T11_S5_li,"axG",@progbits,_ZL29rocblas_internal_gemmt_kernelIlLi16ELi32ELi8ELc84ELc84ELc85ELb0ELb0E19rocblas_complex_numIfEPKS1_S3_PS1_EviT_T9_T10_S5_lS7_S5_lS6_T11_S5_li,comdat
	.globl	_ZL29rocblas_internal_gemmt_kernelIlLi16ELi32ELi8ELc84ELc84ELc85ELb0ELb0E19rocblas_complex_numIfEPKS1_S3_PS1_EviT_T9_T10_S5_lS7_S5_lS6_T11_S5_li ; -- Begin function _ZL29rocblas_internal_gemmt_kernelIlLi16ELi32ELi8ELc84ELc84ELc85ELb0ELb0E19rocblas_complex_numIfEPKS1_S3_PS1_EviT_T9_T10_S5_lS7_S5_lS6_T11_S5_li
	.p2align	8
	.type	_ZL29rocblas_internal_gemmt_kernelIlLi16ELi32ELi8ELc84ELc84ELc85ELb0ELb0E19rocblas_complex_numIfEPKS1_S3_PS1_EviT_T9_T10_S5_lS7_S5_lS6_T11_S5_li,@function
_ZL29rocblas_internal_gemmt_kernelIlLi16ELi32ELi8ELc84ELc84ELc85ELb0ELb0E19rocblas_complex_numIfEPKS1_S3_PS1_EviT_T9_T10_S5_lS7_S5_lS6_T11_S5_li: ; @_ZL29rocblas_internal_gemmt_kernelIlLi16ELi32ELi8ELc84ELc84ELc85ELb0ELb0E19rocblas_complex_numIfEPKS1_S3_PS1_EviT_T9_T10_S5_lS7_S5_lS6_T11_S5_li
; %bb.0:
	s_clause 0x1
	s_load_dwordx8 s[36:43], s[4:5], 0x48
	s_load_dwordx16 s[12:27], s[4:5], 0x8
	s_waitcnt lgkmcnt(0)
	s_load_dwordx2 s[2:3], s[36:37], 0x0
	s_load_dwordx2 s[10:11], s[14:15], 0x0
	s_waitcnt lgkmcnt(0)
	s_and_b32 s0, s3, 0x7fffffff
	v_cmp_eq_f32_e64 s1, s2, 1.0
	s_cmp_eq_u32 s0, 0
	s_mov_b32 s0, 0
	s_cselect_b32 s14, -1, 0
	s_and_b32 s1, s1, s14
	s_andn2_b32 vcc_lo, exec_lo, s1
	s_mov_b32 s1, -1
	s_cbranch_vccnz .LBB220_4
; %bb.1:
	s_cmp_lg_u64 s[12:13], 0
	s_cbranch_scc0 .LBB220_3
; %bb.2:
	v_cmp_neq_f32_e64 s0, s10, 0
	v_cmp_neq_f32_e64 s1, s11, 0
	s_or_b32 s0, s0, s1
.LBB220_3:
	s_mov_b32 s1, s0
.LBB220_4:
	s_and_b32 vcc_lo, exec_lo, s1
	s_cbranch_vccz .LBB220_34
; %bb.5:
	s_load_dword s9, s[4:5], 0x0
	v_cmp_eq_f32_e64 s0, s10, 0
	v_cmp_eq_f32_e64 s1, s11, 0
	v_cmp_lt_i64_e64 s4, s[12:13], 1
	v_mov_b32_e32 v22, 0
	v_mov_b32_e32 v23, 0
	;; [unrolled: 1-line block ×3, first 2 shown]
	s_and_b32 s0, s0, s1
	v_mov_b32_e32 v21, 0
	v_mov_b32_e32 v18, 0
	;; [unrolled: 1-line block ×5, first 2 shown]
	s_or_b32 s0, s0, s4
	s_lshl_b32 s6, s6, 5
	s_and_b32 vcc_lo, exec_lo, s0
	s_lshl_b32 s7, s7, 5
	s_cbranch_vccnz .LBB220_18
; %bb.6:
	v_lshl_add_u32 v4, v1, 4, v0
	s_mul_i32 s1, s27, s8
	s_mul_hi_u32 s4, s26, s8
	s_mul_i32 s0, s26, s8
	s_add_i32 s1, s4, s1
	v_and_b32_e32 v5, 31, v4
	s_lshl_b64 s[0:1], s[0:1], 3
	s_mul_i32 s4, s21, s8
	s_mul_hi_u32 s5, s20, s8
	s_add_u32 s21, s22, s0
	v_or_b32_e32 v8, s6, v5
	s_addc_u32 s22, s23, s1
	s_add_i32 s1, s5, s4
	s_mul_i32 s0, s20, s8
	v_lshrrev_b32_e32 v10, 3, v4
	v_mul_lo_u32 v9, s19, v8
	v_mad_u64_u32 v[2:3], null, s18, v8, 0
	s_lshl_b64 s[0:1], s[0:1], 3
	v_lshrrev_b32_e32 v7, 5, v4
	s_add_u32 s4, s16, s0
	s_addc_u32 s1, s17, s1
	s_ashr_i32 s0, s6, 31
	v_add_nc_u32_e32 v4, s7, v10
	s_mul_i32 s0, s18, s0
	v_and_b32_e32 v6, 7, v0
	v_add3_u32 v3, v3, s0, v9
	v_lshlrev_b32_e32 v9, 3, v5
	v_ashrrev_i32_e32 v5, 31, v4
	s_waitcnt lgkmcnt(0)
	v_cmp_gt_i32_e64 s0, s9, v8
	v_lshlrev_b32_e32 v11, 3, v6
	v_lshlrev_b64 v[2:3], 3, v[2:3]
	v_cmp_le_i32_e64 s15, s9, v8
	v_lshlrev_b64 v[12:13], 3, v[4:5]
	v_lshl_or_b32 v8, v7, 8, v9
	v_lshl_or_b32 v11, v10, 6, v11
	v_lshlrev_b32_e32 v14, 3, v0
	v_add_co_u32 v9, vcc_lo, s4, v2
	v_add_co_ci_u32_e64 v10, null, s1, v3, vcc_lo
	v_cmp_gt_i32_e32 vcc_lo, s9, v4
	v_add_co_u32 v12, s1, s21, v12
	v_add_nc_u32_e32 v11, 0x800, v11
	v_add_co_ci_u32_e64 v13, null, s22, v13, s1
	v_lshl_add_u32 v15, v1, 6, 0x800
	v_mov_b32_e32 v3, 0
	v_mov_b32_e32 v17, 0
	;; [unrolled: 1-line block ×9, first 2 shown]
	s_mov_b64 s[4:5], 0
	s_xor_b32 s1, vcc_lo, -1
                                        ; implicit-def: $vgpr4_vgpr5
	s_branch .LBB220_8
.LBB220_7:                              ;   in Loop: Header=BB220_8 Depth=1
	s_or_b32 exec_lo, exec_lo, s16
	s_waitcnt lgkmcnt(0)
	s_barrier
	buffer_gl0_inv
	ds_read_b128 v[24:27], v15
	ds_read2_b64 v[28:31], v14 offset1:16
	ds_read_b128 v[32:35], v15 offset:1024
	ds_read_b128 v[36:39], v15 offset:16
	ds_read_b128 v[40:43], v15 offset:32
	ds_read_b128 v[44:47], v15 offset:48
	ds_read2_b64 v[48:51], v14 offset0:32 offset1:48
	ds_read_b128 v[52:55], v15 offset:1040
	s_add_u32 s4, s4, 8
	s_addc_u32 s5, s5, 0
	v_cmp_gt_i64_e64 s16, s[12:13], s[4:5]
	s_and_b32 vcc_lo, exec_lo, s16
	s_waitcnt lgkmcnt(6)
	v_mul_f32_e32 v2, v25, v29
	v_mul_f32_e32 v56, v24, v29
	;; [unrolled: 1-line block ×4, first 2 shown]
	s_waitcnt lgkmcnt(5)
	v_mul_f32_e32 v59, v33, v29
	v_mul_f32_e32 v29, v32, v29
	;; [unrolled: 1-line block ×3, first 2 shown]
	v_fma_f32 v2, v24, v28, -v2
	v_fmac_f32_e32 v56, v25, v28
	v_fma_f32 v24, v24, v30, -v57
	v_fmac_f32_e32 v58, v25, v30
	v_fma_f32 v25, v32, v28, -v59
	v_fmac_f32_e32 v29, v33, v28
	v_mul_f32_e32 v31, v32, v31
	v_fma_f32 v28, v32, v30, -v60
	v_add_f32_e32 v2, v22, v2
	v_add_f32_e32 v22, v23, v56
	;; [unrolled: 1-line block ×6, first 2 shown]
	s_waitcnt lgkmcnt(1)
	v_mul_f32_e32 v32, v27, v49
	ds_read2_b64 v[18:21], v14 offset0:64 offset1:80
	v_fmac_f32_e32 v31, v33, v30
	v_add_f32_e32 v16, v16, v28
	v_mul_f32_e32 v28, v26, v49
	v_fma_f32 v30, v26, v48, -v32
	v_mul_f32_e32 v32, v27, v51
	v_add_f32_e32 v17, v17, v31
	v_mul_f32_e32 v31, v26, v51
	v_fmac_f32_e32 v28, v27, v48
	v_add_f32_e32 v2, v2, v30
	v_fma_f32 v26, v26, v50, -v32
	v_mul_f32_e32 v30, v35, v49
	v_fmac_f32_e32 v31, v27, v50
	v_add_f32_e32 v28, v22, v28
	v_mul_f32_e32 v22, v34, v49
	v_add_f32_e32 v26, v23, v26
	v_fma_f32 v23, v34, v48, -v30
	v_mul_f32_e32 v27, v35, v51
	v_add_f32_e32 v30, v24, v31
	v_fmac_f32_e32 v22, v35, v48
	v_mul_f32_e32 v31, v34, v51
	v_add_f32_e32 v32, v25, v23
	v_fma_f32 v23, v34, v50, -v27
	s_waitcnt lgkmcnt(0)
	v_mul_f32_e32 v24, v37, v19
	v_add_f32_e32 v27, v29, v22
	v_fmac_f32_e32 v31, v35, v50
	v_mul_f32_e32 v29, v36, v19
	v_add_f32_e32 v16, v16, v23
	v_fma_f32 v33, v36, v18, -v24
	v_mul_f32_e32 v34, v37, v21
	ds_read2_b64 v[22:25], v14 offset0:96 offset1:112
	v_fmac_f32_e32 v29, v37, v18
	v_add_f32_e32 v31, v17, v31
	v_add_f32_e32 v2, v2, v33
	v_mul_f32_e32 v17, v36, v21
	v_fma_f32 v33, v36, v20, -v34
	v_add_f32_e32 v28, v28, v29
	v_mul_f32_e32 v29, v53, v19
	v_mul_f32_e32 v19, v52, v19
	v_fmac_f32_e32 v17, v37, v20
	v_add_f32_e32 v26, v26, v33
	v_mul_f32_e32 v33, v53, v21
	v_mul_f32_e32 v21, v52, v21
	v_fmac_f32_e32 v19, v53, v18
	v_add_f32_e32 v30, v30, v17
	v_fma_f32 v29, v52, v18, -v29
	v_fma_f32 v17, v52, v20, -v33
	v_fmac_f32_e32 v21, v53, v20
	v_add_f32_e32 v33, v27, v19
	s_waitcnt lgkmcnt(0)
	v_mul_f32_e32 v20, v39, v23
	v_add_f32_e32 v34, v16, v17
	ds_read2_b64 v[16:19], v14 offset0:128 offset1:144
	v_add_f32_e32 v32, v32, v29
	v_mul_f32_e32 v27, v38, v23
	v_mul_f32_e32 v29, v39, v25
	v_fma_f32 v20, v38, v22, -v20
	v_add_f32_e32 v31, v31, v21
	v_mul_f32_e32 v21, v38, v25
	v_fmac_f32_e32 v27, v39, v22
	v_fma_f32 v29, v38, v24, -v29
	v_add_f32_e32 v2, v2, v20
	v_mul_f32_e32 v20, v55, v23
	v_fmac_f32_e32 v21, v39, v24
	v_add_f32_e32 v35, v28, v27
	v_add_f32_e32 v36, v26, v29
	v_mul_f32_e32 v23, v54, v23
	v_fma_f32 v20, v54, v22, -v20
	v_mul_f32_e32 v37, v55, v25
	ds_read_b128 v[26:29], v15 offset:1056
	v_add_f32_e32 v38, v30, v21
	v_fmac_f32_e32 v23, v55, v22
	v_mul_f32_e32 v25, v54, v25
	v_fma_f32 v21, v54, v24, -v37
	v_add_f32_e32 v37, v32, v20
	s_waitcnt lgkmcnt(1)
	v_mul_f32_e32 v20, v41, v17
	v_add_f32_e32 v39, v33, v23
	v_fmac_f32_e32 v25, v55, v24
	v_add_f32_e32 v24, v34, v21
	v_mul_f32_e32 v32, v41, v19
	v_fma_f32 v30, v40, v16, -v20
	ds_read2_b64 v[20:23], v14 offset0:160 offset1:176
	v_mul_f32_e32 v34, v40, v17
	v_add_f32_e32 v25, v31, v25
	v_fma_f32 v48, v40, v18, -v32
	v_mul_f32_e32 v40, v40, v19
	v_add_f32_e32 v2, v2, v30
	v_fmac_f32_e32 v34, v41, v16
	ds_read_b128 v[30:33], v15 offset:1072
	s_waitcnt lgkmcnt(2)
	v_mul_f32_e32 v49, v27, v17
	v_mul_f32_e32 v17, v26, v17
	v_fmac_f32_e32 v40, v41, v18
	v_mul_f32_e32 v41, v27, v19
	v_add_f32_e32 v34, v35, v34
	v_add_f32_e32 v35, v36, v48
	v_fma_f32 v36, v26, v16, -v49
	v_fmac_f32_e32 v17, v27, v16
	v_add_f32_e32 v38, v38, v40
	v_mul_f32_e32 v40, v26, v19
	v_fma_f32 v16, v26, v18, -v41
	v_add_f32_e32 v36, v37, v36
	v_add_f32_e32 v26, v39, v17
	s_waitcnt lgkmcnt(1)
	v_mul_f32_e32 v37, v43, v21
	v_fmac_f32_e32 v40, v27, v18
	v_add_f32_e32 v24, v24, v16
	ds_read2_b64 v[16:19], v14 offset0:192 offset1:208
	v_mul_f32_e32 v27, v42, v21
	v_fma_f32 v37, v42, v20, -v37
	v_mul_f32_e32 v39, v43, v23
	v_add_f32_e32 v40, v25, v40
	v_mul_f32_e32 v25, v42, v23
	v_fmac_f32_e32 v27, v43, v20
	v_add_f32_e32 v2, v2, v37
	v_fma_f32 v37, v42, v22, -v39
	v_fmac_f32_e32 v25, v43, v22
	v_add_f32_e32 v34, v34, v27
	v_mul_f32_e32 v27, v29, v21
	v_mul_f32_e32 v21, v28, v21
	v_add_f32_e32 v35, v35, v37
	v_mul_f32_e32 v37, v29, v23
	v_add_f32_e32 v38, v38, v25
	v_fma_f32 v27, v28, v20, -v27
	v_fmac_f32_e32 v21, v29, v20
	v_mul_f32_e32 v20, v28, v23
	v_fma_f32 v23, v28, v22, -v37
	s_waitcnt lgkmcnt(0)
	v_mul_f32_e32 v25, v45, v17
	v_add_f32_e32 v28, v36, v27
	v_add_f32_e32 v21, v26, v21
	v_fmac_f32_e32 v20, v29, v22
	v_add_f32_e32 v22, v24, v23
	v_fma_f32 v29, v44, v16, -v25
	ds_read2_b64 v[24:27], v14 offset0:224 offset1:240
	v_mul_f32_e32 v23, v44, v17
	v_mul_f32_e32 v37, v31, v17
	;; [unrolled: 1-line block ×4, first 2 shown]
	v_add_f32_e32 v2, v2, v29
	v_fmac_f32_e32 v23, v45, v16
	v_mul_f32_e32 v29, v44, v19
	v_fmac_f32_e32 v17, v31, v16
	v_fma_f32 v36, v44, v18, -v36
	v_add_f32_e32 v20, v40, v20
	v_add_f32_e32 v23, v34, v23
	v_fma_f32 v34, v30, v16, -v37
	v_mul_f32_e32 v16, v31, v19
	v_mul_f32_e32 v19, v30, v19
	v_fmac_f32_e32 v29, v45, v18
	v_add_f32_e32 v17, v21, v17
	v_add_f32_e32 v35, v35, v36
	v_fma_f32 v16, v30, v18, -v16
	v_fmac_f32_e32 v19, v31, v18
	s_waitcnt lgkmcnt(0)
	v_mul_f32_e32 v21, v47, v25
	v_mul_f32_e32 v18, v47, v27
	v_add_f32_e32 v28, v28, v34
	v_mul_f32_e32 v30, v46, v25
	v_add_f32_e32 v16, v22, v16
	v_fma_f32 v21, v46, v24, -v21
	v_fma_f32 v18, v46, v26, -v18
	v_mul_f32_e32 v31, v46, v27
	v_add_f32_e32 v34, v20, v19
	v_mul_f32_e32 v19, v32, v25
	v_add_f32_e32 v22, v2, v21
	v_add_f32_e32 v20, v35, v18
	v_mul_f32_e32 v2, v33, v25
	v_mul_f32_e32 v18, v33, v27
	;; [unrolled: 1-line block ×3, first 2 shown]
	v_add_f32_e32 v29, v38, v29
	v_fmac_f32_e32 v30, v47, v24
	v_fmac_f32_e32 v31, v47, v26
	v_fma_f32 v2, v32, v24, -v2
	v_fmac_f32_e32 v19, v33, v24
	v_fma_f32 v24, v32, v26, -v18
	v_fmac_f32_e32 v25, v33, v26
	v_add_f32_e32 v23, v23, v30
	v_add_f32_e32 v21, v29, v31
	;; [unrolled: 1-line block ×6, first 2 shown]
	s_barrier
	buffer_gl0_inv
	s_cbranch_vccz .LBB220_18
.LBB220_8:                              ; =>This Inner Loop Header: Depth=1
	s_mov_b32 s18, s15
	s_mov_b32 s16, 0
	s_and_saveexec_b32 s17, s0
	s_cbranch_execnz .LBB220_16
; %bb.9:                                ;   in Loop: Header=BB220_8 Depth=1
	s_or_b32 exec_lo, exec_lo, s17
	s_and_saveexec_b32 s17, s18
	s_xor_b32 s17, exec_lo, s17
	s_cbranch_execnz .LBB220_17
.LBB220_10:                             ;   in Loop: Header=BB220_8 Depth=1
	s_or_b32 exec_lo, exec_lo, s17
	s_and_saveexec_b32 s17, s16
	s_cbranch_execz .LBB220_12
.LBB220_11:                             ;   in Loop: Header=BB220_8 Depth=1
	v_lshlrev_b64 v[24:25], 3, v[4:5]
	v_add_co_u32 v24, vcc_lo, v9, v24
	v_add_co_ci_u32_e64 v25, null, v10, v25, vcc_lo
	global_load_dwordx2 v[24:25], v[24:25], off
	s_waitcnt vmcnt(0)
	ds_write_b64 v8, v[24:25]
.LBB220_12:                             ;   in Loop: Header=BB220_8 Depth=1
	s_or_b32 exec_lo, exec_lo, s17
	v_add_nc_u32_e32 v2, s4, v6
	v_cmp_le_u64_e32 vcc_lo, s[12:13], v[2:3]
	s_or_b32 s16, vcc_lo, s1
	s_and_saveexec_b32 s17, s16
	s_xor_b32 s16, exec_lo, s17
; %bb.13:                               ;   in Loop: Header=BB220_8 Depth=1
	v_mov_b32_e32 v2, v3
	ds_write_b64 v11, v[2:3]
; %bb.14:                               ;   in Loop: Header=BB220_8 Depth=1
	s_andn2_saveexec_b32 s16, s16
	s_cbranch_execz .LBB220_7
; %bb.15:                               ;   in Loop: Header=BB220_8 Depth=1
	v_mad_u64_u32 v[24:25], null, s24, v2, 0
	v_mad_u64_u32 v[25:26], null, s25, v2, v[25:26]
	v_lshlrev_b64 v[24:25], 3, v[24:25]
	v_add_co_u32 v24, vcc_lo, v12, v24
	v_add_co_ci_u32_e64 v25, null, v13, v25, vcc_lo
	global_load_dwordx2 v[24:25], v[24:25], off
	s_waitcnt vmcnt(0)
	ds_write_b64 v11, v[24:25]
	s_branch .LBB220_7
.LBB220_16:                             ;   in Loop: Header=BB220_8 Depth=1
	v_add_nc_u32_e32 v2, s4, v7
	v_mov_b32_e32 v5, v3
	s_andn2_b32 s18, s15, exec_lo
	s_mov_b32 s16, exec_lo
	v_cmp_le_u64_e32 vcc_lo, s[12:13], v[2:3]
	v_mov_b32_e32 v4, v2
	s_and_b32 s19, vcc_lo, exec_lo
	s_or_b32 s18, s18, s19
	s_or_b32 exec_lo, exec_lo, s17
	s_and_saveexec_b32 s17, s18
	s_xor_b32 s17, exec_lo, s17
	s_cbranch_execz .LBB220_10
.LBB220_17:                             ;   in Loop: Header=BB220_8 Depth=1
	v_mov_b32_e32 v2, v3
	s_andn2_b32 s16, s16, exec_lo
	ds_write_b64 v8, v[2:3]
	s_or_b32 exec_lo, exec_lo, s17
	s_and_saveexec_b32 s17, s16
	s_cbranch_execnz .LBB220_11
	s_branch .LBB220_12
.LBB220_18:
	v_add_nc_u32_e32 v9, s7, v1
	s_mul_i32 s1, s43, s8
	s_mul_hi_u32 s4, s42, s8
	s_mul_i32 s0, s42, s8
	s_add_i32 s1, s4, s1
	v_ashrrev_i32_e32 v3, 31, v9
	v_mul_lo_u32 v4, s41, v9
	v_mad_u64_u32 v[1:2], null, s40, v9, 0
	v_add_nc_u32_e32 v0, s6, v0
	v_mul_lo_u32 v3, s40, v3
	v_cmp_neq_f32_e64 s6, s2, 0
	s_lshl_b64 s[4:5], s[0:1], 3
	s_waitcnt lgkmcnt(0)
	v_cmp_gt_i32_e64 s0, s9, v9
	s_add_u32 s4, s38, s4
	s_addc_u32 s5, s39, s5
	s_xor_b32 s7, s14, -1
	v_cmp_le_i32_e32 vcc_lo, v0, v9
	v_add3_u32 v2, v2, v3, v4
	s_or_b32 s6, s6, s7
	v_cndmask_b32_e64 v8, 0, 1, s6
	s_and_b32 s7, s0, vcc_lo
	v_lshlrev_b64 v[2:3], 3, v[1:2]
	v_ashrrev_i32_e32 v1, 31, v0
	v_add_co_u32 v6, s1, s4, v2
	v_add_co_ci_u32_e64 v7, null, s5, v3, s1
	s_and_saveexec_b32 s1, s7
	s_cbranch_execz .LBB220_22
; %bb.19:
	v_lshlrev_b64 v[4:5], 3, v[0:1]
	v_mul_f32_e32 v2, s11, v23
	v_mul_f32_e32 v3, s10, v23
	v_fma_f32 v2, v22, s10, -v2
	v_add_co_u32 v4, vcc_lo, v6, v4
	v_fmac_f32_e32 v3, s11, v22
	v_add_co_ci_u32_e64 v5, null, v7, v5, vcc_lo
	s_andn2_b32 vcc_lo, exec_lo, s6
	s_cbranch_vccnz .LBB220_21
; %bb.20:
	global_load_dwordx2 v[10:11], v[4:5], off
	s_waitcnt vmcnt(0)
	v_mul_f32_e32 v12, s3, v11
	v_mul_f32_e32 v11, s2, v11
	v_fma_f32 v12, v10, s2, -v12
	v_fmac_f32_e32 v11, s3, v10
	v_add_f32_e32 v2, v2, v12
	v_add_f32_e32 v3, v3, v11
.LBB220_21:
	global_store_dwordx2 v[4:5], v[2:3], off
.LBB220_22:
	s_or_b32 exec_lo, exec_lo, s1
	v_add_nc_u32_e32 v2, 16, v0
	v_cmp_le_i32_e32 vcc_lo, v2, v9
	v_ashrrev_i32_e32 v3, 31, v2
	s_and_b32 s0, s0, vcc_lo
	s_and_saveexec_b32 s1, s0
	s_cbranch_execz .LBB220_26
; %bb.23:
	v_lshlrev_b64 v[10:11], 3, v[2:3]
	v_mul_f32_e32 v4, s11, v21
	v_mul_f32_e32 v5, s10, v21
	v_cmp_ne_u32_e32 vcc_lo, 1, v8
	v_fma_f32 v4, v20, s10, -v4
	v_add_co_u32 v6, s0, v6, v10
	v_fmac_f32_e32 v5, s11, v20
	v_add_co_ci_u32_e64 v7, null, v7, v11, s0
	s_cbranch_vccnz .LBB220_25
; %bb.24:
	global_load_dwordx2 v[10:11], v[6:7], off
	s_waitcnt vmcnt(0)
	v_mul_f32_e32 v12, s3, v11
	v_mul_f32_e32 v11, s2, v11
	v_fma_f32 v12, v10, s2, -v12
	v_fmac_f32_e32 v11, s3, v10
	v_add_f32_e32 v4, v4, v12
	v_add_f32_e32 v5, v5, v11
.LBB220_25:
	global_store_dwordx2 v[6:7], v[4:5], off
.LBB220_26:
	s_or_b32 exec_lo, exec_lo, s1
	v_add_nc_u32_e32 v9, 16, v9
	v_ashrrev_i32_e32 v6, 31, v9
	v_mul_lo_u32 v7, s41, v9
	v_mad_u64_u32 v[4:5], null, s40, v9, 0
	v_cmp_gt_i32_e64 s0, s9, v9
	v_mul_lo_u32 v6, s40, v6
	v_cmp_le_i32_e32 vcc_lo, v0, v9
	v_add3_u32 v5, v5, v6, v7
	v_lshlrev_b64 v[4:5], 3, v[4:5]
	v_add_co_u32 v6, s1, s4, v4
	v_add_co_ci_u32_e64 v7, null, s5, v5, s1
	s_and_b32 s1, s0, vcc_lo
	s_and_saveexec_b32 s4, s1
	s_cbranch_execz .LBB220_30
; %bb.27:
	v_lshlrev_b64 v[0:1], 3, v[0:1]
	v_mul_f32_e32 v4, s11, v19
	v_mul_f32_e32 v5, s10, v19
	v_cmp_ne_u32_e32 vcc_lo, 1, v8
	v_fma_f32 v4, v18, s10, -v4
	v_add_co_u32 v0, s1, v6, v0
	v_fmac_f32_e32 v5, s11, v18
	v_add_co_ci_u32_e64 v1, null, v7, v1, s1
	s_cbranch_vccnz .LBB220_29
; %bb.28:
	global_load_dwordx2 v[10:11], v[0:1], off
	s_waitcnt vmcnt(0)
	v_mul_f32_e32 v12, s3, v11
	v_mul_f32_e32 v11, s2, v11
	v_fma_f32 v12, v10, s2, -v12
	v_fmac_f32_e32 v11, s3, v10
	v_add_f32_e32 v4, v4, v12
	v_add_f32_e32 v5, v5, v11
.LBB220_29:
	global_store_dwordx2 v[0:1], v[4:5], off
.LBB220_30:
	s_or_b32 exec_lo, exec_lo, s4
	v_cmp_le_i32_e32 vcc_lo, v2, v9
	s_and_b32 s0, s0, vcc_lo
	s_and_saveexec_b32 s1, s0
	s_cbranch_execz .LBB220_34
; %bb.31:
	v_lshlrev_b64 v[2:3], 3, v[2:3]
	v_mul_f32_e32 v0, s11, v17
	v_mul_f32_e32 v1, s10, v17
	v_cmp_ne_u32_e32 vcc_lo, 1, v8
	v_fma_f32 v0, v16, s10, -v0
	v_add_co_u32 v2, s0, v6, v2
	v_fmac_f32_e32 v1, s11, v16
	v_add_co_ci_u32_e64 v3, null, v7, v3, s0
	s_cbranch_vccnz .LBB220_33
; %bb.32:
	global_load_dwordx2 v[4:5], v[2:3], off
	s_waitcnt vmcnt(0)
	v_mul_f32_e32 v6, s3, v5
	v_mul_f32_e32 v5, s2, v5
	v_fma_f32 v6, v4, s2, -v6
	v_fmac_f32_e32 v5, s3, v4
	v_add_f32_e32 v0, v0, v6
	v_add_f32_e32 v1, v1, v5
.LBB220_33:
	global_store_dwordx2 v[2:3], v[0:1], off
.LBB220_34:
	s_endpgm
	.section	.rodata,"a",@progbits
	.p2align	6, 0x0
	.amdhsa_kernel _ZL29rocblas_internal_gemmt_kernelIlLi16ELi32ELi8ELc84ELc84ELc85ELb0ELb0E19rocblas_complex_numIfEPKS1_S3_PS1_EviT_T9_T10_S5_lS7_S5_lS6_T11_S5_li
		.amdhsa_group_segment_fixed_size 4096
		.amdhsa_private_segment_fixed_size 0
		.amdhsa_kernarg_size 108
		.amdhsa_user_sgpr_count 6
		.amdhsa_user_sgpr_private_segment_buffer 1
		.amdhsa_user_sgpr_dispatch_ptr 0
		.amdhsa_user_sgpr_queue_ptr 0
		.amdhsa_user_sgpr_kernarg_segment_ptr 1
		.amdhsa_user_sgpr_dispatch_id 0
		.amdhsa_user_sgpr_flat_scratch_init 0
		.amdhsa_user_sgpr_private_segment_size 0
		.amdhsa_wavefront_size32 1
		.amdhsa_uses_dynamic_stack 0
		.amdhsa_system_sgpr_private_segment_wavefront_offset 0
		.amdhsa_system_sgpr_workgroup_id_x 1
		.amdhsa_system_sgpr_workgroup_id_y 1
		.amdhsa_system_sgpr_workgroup_id_z 1
		.amdhsa_system_sgpr_workgroup_info 0
		.amdhsa_system_vgpr_workitem_id 1
		.amdhsa_next_free_vgpr 61
		.amdhsa_next_free_sgpr 44
		.amdhsa_reserve_vcc 1
		.amdhsa_reserve_flat_scratch 0
		.amdhsa_float_round_mode_32 0
		.amdhsa_float_round_mode_16_64 0
		.amdhsa_float_denorm_mode_32 3
		.amdhsa_float_denorm_mode_16_64 3
		.amdhsa_dx10_clamp 1
		.amdhsa_ieee_mode 1
		.amdhsa_fp16_overflow 0
		.amdhsa_workgroup_processor_mode 1
		.amdhsa_memory_ordered 1
		.amdhsa_forward_progress 1
		.amdhsa_shared_vgpr_count 0
		.amdhsa_exception_fp_ieee_invalid_op 0
		.amdhsa_exception_fp_denorm_src 0
		.amdhsa_exception_fp_ieee_div_zero 0
		.amdhsa_exception_fp_ieee_overflow 0
		.amdhsa_exception_fp_ieee_underflow 0
		.amdhsa_exception_fp_ieee_inexact 0
		.amdhsa_exception_int_div_zero 0
	.end_amdhsa_kernel
	.section	.text._ZL29rocblas_internal_gemmt_kernelIlLi16ELi32ELi8ELc84ELc84ELc85ELb0ELb0E19rocblas_complex_numIfEPKS1_S3_PS1_EviT_T9_T10_S5_lS7_S5_lS6_T11_S5_li,"axG",@progbits,_ZL29rocblas_internal_gemmt_kernelIlLi16ELi32ELi8ELc84ELc84ELc85ELb0ELb0E19rocblas_complex_numIfEPKS1_S3_PS1_EviT_T9_T10_S5_lS7_S5_lS6_T11_S5_li,comdat
.Lfunc_end220:
	.size	_ZL29rocblas_internal_gemmt_kernelIlLi16ELi32ELi8ELc84ELc84ELc85ELb0ELb0E19rocblas_complex_numIfEPKS1_S3_PS1_EviT_T9_T10_S5_lS7_S5_lS6_T11_S5_li, .Lfunc_end220-_ZL29rocblas_internal_gemmt_kernelIlLi16ELi32ELi8ELc84ELc84ELc85ELb0ELb0E19rocblas_complex_numIfEPKS1_S3_PS1_EviT_T9_T10_S5_lS7_S5_lS6_T11_S5_li
                                        ; -- End function
	.set _ZL29rocblas_internal_gemmt_kernelIlLi16ELi32ELi8ELc84ELc84ELc85ELb0ELb0E19rocblas_complex_numIfEPKS1_S3_PS1_EviT_T9_T10_S5_lS7_S5_lS6_T11_S5_li.num_vgpr, 61
	.set _ZL29rocblas_internal_gemmt_kernelIlLi16ELi32ELi8ELc84ELc84ELc85ELb0ELb0E19rocblas_complex_numIfEPKS1_S3_PS1_EviT_T9_T10_S5_lS7_S5_lS6_T11_S5_li.num_agpr, 0
	.set _ZL29rocblas_internal_gemmt_kernelIlLi16ELi32ELi8ELc84ELc84ELc85ELb0ELb0E19rocblas_complex_numIfEPKS1_S3_PS1_EviT_T9_T10_S5_lS7_S5_lS6_T11_S5_li.numbered_sgpr, 44
	.set _ZL29rocblas_internal_gemmt_kernelIlLi16ELi32ELi8ELc84ELc84ELc85ELb0ELb0E19rocblas_complex_numIfEPKS1_S3_PS1_EviT_T9_T10_S5_lS7_S5_lS6_T11_S5_li.num_named_barrier, 0
	.set _ZL29rocblas_internal_gemmt_kernelIlLi16ELi32ELi8ELc84ELc84ELc85ELb0ELb0E19rocblas_complex_numIfEPKS1_S3_PS1_EviT_T9_T10_S5_lS7_S5_lS6_T11_S5_li.private_seg_size, 0
	.set _ZL29rocblas_internal_gemmt_kernelIlLi16ELi32ELi8ELc84ELc84ELc85ELb0ELb0E19rocblas_complex_numIfEPKS1_S3_PS1_EviT_T9_T10_S5_lS7_S5_lS6_T11_S5_li.uses_vcc, 1
	.set _ZL29rocblas_internal_gemmt_kernelIlLi16ELi32ELi8ELc84ELc84ELc85ELb0ELb0E19rocblas_complex_numIfEPKS1_S3_PS1_EviT_T9_T10_S5_lS7_S5_lS6_T11_S5_li.uses_flat_scratch, 0
	.set _ZL29rocblas_internal_gemmt_kernelIlLi16ELi32ELi8ELc84ELc84ELc85ELb0ELb0E19rocblas_complex_numIfEPKS1_S3_PS1_EviT_T9_T10_S5_lS7_S5_lS6_T11_S5_li.has_dyn_sized_stack, 0
	.set _ZL29rocblas_internal_gemmt_kernelIlLi16ELi32ELi8ELc84ELc84ELc85ELb0ELb0E19rocblas_complex_numIfEPKS1_S3_PS1_EviT_T9_T10_S5_lS7_S5_lS6_T11_S5_li.has_recursion, 0
	.set _ZL29rocblas_internal_gemmt_kernelIlLi16ELi32ELi8ELc84ELc84ELc85ELb0ELb0E19rocblas_complex_numIfEPKS1_S3_PS1_EviT_T9_T10_S5_lS7_S5_lS6_T11_S5_li.has_indirect_call, 0
	.section	.AMDGPU.csdata,"",@progbits
; Kernel info:
; codeLenInByte = 2600
; TotalNumSgprs: 46
; NumVgprs: 61
; ScratchSize: 0
; MemoryBound: 0
; FloatMode: 240
; IeeeMode: 1
; LDSByteSize: 4096 bytes/workgroup (compile time only)
; SGPRBlocks: 0
; VGPRBlocks: 7
; NumSGPRsForWavesPerEU: 46
; NumVGPRsForWavesPerEU: 61
; Occupancy: 16
; WaveLimiterHint : 0
; COMPUTE_PGM_RSRC2:SCRATCH_EN: 0
; COMPUTE_PGM_RSRC2:USER_SGPR: 6
; COMPUTE_PGM_RSRC2:TRAP_HANDLER: 0
; COMPUTE_PGM_RSRC2:TGID_X_EN: 1
; COMPUTE_PGM_RSRC2:TGID_Y_EN: 1
; COMPUTE_PGM_RSRC2:TGID_Z_EN: 1
; COMPUTE_PGM_RSRC2:TIDIG_COMP_CNT: 1
	.section	.text._ZL29rocblas_internal_gemmt_kernelIlLi16ELi32ELi8ELc84ELc67ELc85ELb0ELb1E19rocblas_complex_numIfEPKS1_S3_PS1_EviT_T9_T10_S5_lS7_S5_lS6_T11_S5_li,"axG",@progbits,_ZL29rocblas_internal_gemmt_kernelIlLi16ELi32ELi8ELc84ELc67ELc85ELb0ELb1E19rocblas_complex_numIfEPKS1_S3_PS1_EviT_T9_T10_S5_lS7_S5_lS6_T11_S5_li,comdat
	.globl	_ZL29rocblas_internal_gemmt_kernelIlLi16ELi32ELi8ELc84ELc67ELc85ELb0ELb1E19rocblas_complex_numIfEPKS1_S3_PS1_EviT_T9_T10_S5_lS7_S5_lS6_T11_S5_li ; -- Begin function _ZL29rocblas_internal_gemmt_kernelIlLi16ELi32ELi8ELc84ELc67ELc85ELb0ELb1E19rocblas_complex_numIfEPKS1_S3_PS1_EviT_T9_T10_S5_lS7_S5_lS6_T11_S5_li
	.p2align	8
	.type	_ZL29rocblas_internal_gemmt_kernelIlLi16ELi32ELi8ELc84ELc67ELc85ELb0ELb1E19rocblas_complex_numIfEPKS1_S3_PS1_EviT_T9_T10_S5_lS7_S5_lS6_T11_S5_li,@function
_ZL29rocblas_internal_gemmt_kernelIlLi16ELi32ELi8ELc84ELc67ELc85ELb0ELb1E19rocblas_complex_numIfEPKS1_S3_PS1_EviT_T9_T10_S5_lS7_S5_lS6_T11_S5_li: ; @_ZL29rocblas_internal_gemmt_kernelIlLi16ELi32ELi8ELc84ELc67ELc85ELb0ELb1E19rocblas_complex_numIfEPKS1_S3_PS1_EviT_T9_T10_S5_lS7_S5_lS6_T11_S5_li
; %bb.0:
	s_clause 0x1
	s_load_dwordx8 s[36:43], s[4:5], 0x48
	s_load_dwordx16 s[12:27], s[4:5], 0x8
	s_waitcnt lgkmcnt(0)
	s_load_dwordx2 s[2:3], s[36:37], 0x0
	s_load_dwordx2 s[10:11], s[14:15], 0x0
	s_waitcnt lgkmcnt(0)
	s_and_b32 s0, s3, 0x7fffffff
	v_cmp_eq_f32_e64 s1, s2, 1.0
	s_cmp_eq_u32 s0, 0
	s_mov_b32 s0, 0
	s_cselect_b32 s14, -1, 0
	s_and_b32 s1, s1, s14
	s_andn2_b32 vcc_lo, exec_lo, s1
	s_mov_b32 s1, -1
	s_cbranch_vccnz .LBB221_4
; %bb.1:
	s_cmp_lg_u64 s[12:13], 0
	s_cbranch_scc0 .LBB221_3
; %bb.2:
	v_cmp_neq_f32_e64 s0, s10, 0
	v_cmp_neq_f32_e64 s1, s11, 0
	s_or_b32 s0, s0, s1
.LBB221_3:
	s_mov_b32 s1, s0
.LBB221_4:
	s_and_b32 vcc_lo, exec_lo, s1
	s_cbranch_vccz .LBB221_34
; %bb.5:
	s_load_dword s9, s[4:5], 0x0
	v_cmp_eq_f32_e64 s0, s10, 0
	v_cmp_eq_f32_e64 s1, s11, 0
	v_cmp_lt_i64_e64 s4, s[12:13], 1
	v_mov_b32_e32 v22, 0
	v_mov_b32_e32 v23, 0
	v_mov_b32_e32 v20, 0
	s_and_b32 s0, s0, s1
	v_mov_b32_e32 v21, 0
	v_mov_b32_e32 v18, 0
	v_mov_b32_e32 v19, 0
	v_mov_b32_e32 v16, 0
	v_mov_b32_e32 v17, 0
	s_or_b32 s0, s0, s4
	s_lshl_b32 s6, s6, 5
	s_and_b32 vcc_lo, exec_lo, s0
	s_lshl_b32 s7, s7, 5
	s_cbranch_vccnz .LBB221_18
; %bb.6:
	v_lshl_add_u32 v4, v1, 4, v0
	s_mul_i32 s1, s27, s8
	s_mul_hi_u32 s4, s26, s8
	s_mul_i32 s0, s26, s8
	s_add_i32 s1, s4, s1
	v_and_b32_e32 v5, 31, v4
	s_lshl_b64 s[0:1], s[0:1], 3
	s_mul_i32 s4, s21, s8
	s_mul_hi_u32 s5, s20, s8
	s_add_u32 s21, s22, s0
	v_or_b32_e32 v8, s6, v5
	s_addc_u32 s22, s23, s1
	s_add_i32 s1, s5, s4
	s_mul_i32 s0, s20, s8
	v_lshrrev_b32_e32 v10, 3, v4
	v_mul_lo_u32 v9, s19, v8
	v_mad_u64_u32 v[2:3], null, s18, v8, 0
	s_lshl_b64 s[0:1], s[0:1], 3
	v_lshrrev_b32_e32 v7, 5, v4
	s_add_u32 s4, s16, s0
	s_addc_u32 s1, s17, s1
	s_ashr_i32 s0, s6, 31
	v_add_nc_u32_e32 v4, s7, v10
	s_mul_i32 s0, s18, s0
	v_and_b32_e32 v6, 7, v0
	v_add3_u32 v3, v3, s0, v9
	v_lshlrev_b32_e32 v9, 3, v5
	v_ashrrev_i32_e32 v5, 31, v4
	s_waitcnt lgkmcnt(0)
	v_cmp_gt_i32_e64 s0, s9, v8
	v_lshlrev_b32_e32 v11, 3, v6
	v_lshlrev_b64 v[2:3], 3, v[2:3]
	v_cmp_le_i32_e64 s15, s9, v8
	v_lshlrev_b64 v[12:13], 3, v[4:5]
	v_lshl_or_b32 v8, v7, 8, v9
	v_lshl_or_b32 v11, v10, 6, v11
	v_lshlrev_b32_e32 v14, 3, v0
	v_add_co_u32 v9, vcc_lo, s4, v2
	v_add_co_ci_u32_e64 v10, null, s1, v3, vcc_lo
	v_cmp_gt_i32_e32 vcc_lo, s9, v4
	v_add_co_u32 v12, s1, s21, v12
	v_add_nc_u32_e32 v11, 0x800, v11
	v_add_co_ci_u32_e64 v13, null, s22, v13, s1
	v_lshl_add_u32 v15, v1, 6, 0x800
	v_mov_b32_e32 v3, 0
	v_mov_b32_e32 v17, 0
	;; [unrolled: 1-line block ×9, first 2 shown]
	s_mov_b64 s[4:5], 0
	s_xor_b32 s1, vcc_lo, -1
                                        ; implicit-def: $vgpr4_vgpr5
	s_branch .LBB221_8
.LBB221_7:                              ;   in Loop: Header=BB221_8 Depth=1
	s_or_b32 exec_lo, exec_lo, s16
	ds_write_b32 v11, v24 offset:4
	s_waitcnt lgkmcnt(0)
	s_barrier
	buffer_gl0_inv
	ds_read_b128 v[24:27], v15
	ds_read2_b64 v[28:31], v14 offset1:16
	ds_read_b128 v[32:35], v15 offset:1024
	ds_read_b128 v[36:39], v15 offset:16
	;; [unrolled: 1-line block ×4, first 2 shown]
	ds_read2_b64 v[48:51], v14 offset0:32 offset1:48
	ds_read_b128 v[52:55], v15 offset:1040
	s_add_u32 s4, s4, 8
	s_addc_u32 s5, s5, 0
	v_cmp_gt_i64_e64 s16, s[12:13], s[4:5]
	s_and_b32 vcc_lo, exec_lo, s16
	s_waitcnt lgkmcnt(6)
	v_mul_f32_e32 v2, v25, v29
	v_mul_f32_e32 v56, v24, v29
	;; [unrolled: 1-line block ×4, first 2 shown]
	s_waitcnt lgkmcnt(5)
	v_mul_f32_e32 v59, v33, v29
	v_mul_f32_e32 v29, v32, v29
	;; [unrolled: 1-line block ×3, first 2 shown]
	v_fma_f32 v2, v24, v28, -v2
	v_fmac_f32_e32 v56, v25, v28
	v_fma_f32 v24, v24, v30, -v57
	v_fmac_f32_e32 v58, v25, v30
	;; [unrolled: 2-line block ×3, first 2 shown]
	v_mul_f32_e32 v31, v32, v31
	v_fma_f32 v28, v32, v30, -v60
	v_add_f32_e32 v2, v22, v2
	v_add_f32_e32 v22, v23, v56
	;; [unrolled: 1-line block ×6, first 2 shown]
	s_waitcnt lgkmcnt(1)
	v_mul_f32_e32 v32, v27, v49
	ds_read2_b64 v[18:21], v14 offset0:64 offset1:80
	v_fmac_f32_e32 v31, v33, v30
	v_add_f32_e32 v16, v16, v28
	v_mul_f32_e32 v28, v26, v49
	v_fma_f32 v30, v26, v48, -v32
	v_mul_f32_e32 v32, v27, v51
	v_add_f32_e32 v17, v17, v31
	v_mul_f32_e32 v31, v26, v51
	v_fmac_f32_e32 v28, v27, v48
	v_add_f32_e32 v2, v2, v30
	v_fma_f32 v26, v26, v50, -v32
	v_mul_f32_e32 v30, v35, v49
	v_fmac_f32_e32 v31, v27, v50
	v_add_f32_e32 v28, v22, v28
	v_mul_f32_e32 v22, v34, v49
	v_add_f32_e32 v26, v23, v26
	v_fma_f32 v23, v34, v48, -v30
	v_mul_f32_e32 v27, v35, v51
	v_add_f32_e32 v30, v24, v31
	v_fmac_f32_e32 v22, v35, v48
	v_mul_f32_e32 v31, v34, v51
	v_add_f32_e32 v32, v25, v23
	v_fma_f32 v23, v34, v50, -v27
	s_waitcnt lgkmcnt(0)
	v_mul_f32_e32 v24, v37, v19
	v_add_f32_e32 v27, v29, v22
	v_fmac_f32_e32 v31, v35, v50
	v_mul_f32_e32 v29, v36, v19
	v_add_f32_e32 v16, v16, v23
	v_fma_f32 v33, v36, v18, -v24
	v_mul_f32_e32 v34, v37, v21
	ds_read2_b64 v[22:25], v14 offset0:96 offset1:112
	v_fmac_f32_e32 v29, v37, v18
	v_add_f32_e32 v31, v17, v31
	v_add_f32_e32 v2, v2, v33
	v_mul_f32_e32 v17, v36, v21
	v_fma_f32 v33, v36, v20, -v34
	v_add_f32_e32 v28, v28, v29
	v_mul_f32_e32 v29, v53, v19
	v_mul_f32_e32 v19, v52, v19
	v_fmac_f32_e32 v17, v37, v20
	v_add_f32_e32 v26, v26, v33
	v_mul_f32_e32 v33, v53, v21
	v_mul_f32_e32 v21, v52, v21
	v_fmac_f32_e32 v19, v53, v18
	v_add_f32_e32 v30, v30, v17
	v_fma_f32 v29, v52, v18, -v29
	v_fma_f32 v17, v52, v20, -v33
	v_fmac_f32_e32 v21, v53, v20
	v_add_f32_e32 v33, v27, v19
	s_waitcnt lgkmcnt(0)
	v_mul_f32_e32 v20, v39, v23
	v_add_f32_e32 v34, v16, v17
	ds_read2_b64 v[16:19], v14 offset0:128 offset1:144
	v_add_f32_e32 v32, v32, v29
	v_mul_f32_e32 v27, v38, v23
	v_mul_f32_e32 v29, v39, v25
	v_fma_f32 v20, v38, v22, -v20
	v_add_f32_e32 v31, v31, v21
	v_mul_f32_e32 v21, v38, v25
	v_fmac_f32_e32 v27, v39, v22
	v_fma_f32 v29, v38, v24, -v29
	v_add_f32_e32 v2, v2, v20
	v_mul_f32_e32 v20, v55, v23
	v_fmac_f32_e32 v21, v39, v24
	v_add_f32_e32 v35, v28, v27
	v_add_f32_e32 v36, v26, v29
	v_mul_f32_e32 v23, v54, v23
	v_fma_f32 v20, v54, v22, -v20
	v_mul_f32_e32 v37, v55, v25
	ds_read_b128 v[26:29], v15 offset:1056
	v_add_f32_e32 v38, v30, v21
	v_fmac_f32_e32 v23, v55, v22
	v_mul_f32_e32 v25, v54, v25
	v_fma_f32 v21, v54, v24, -v37
	v_add_f32_e32 v37, v32, v20
	s_waitcnt lgkmcnt(1)
	v_mul_f32_e32 v20, v41, v17
	v_add_f32_e32 v39, v33, v23
	v_fmac_f32_e32 v25, v55, v24
	v_add_f32_e32 v24, v34, v21
	v_mul_f32_e32 v32, v41, v19
	v_fma_f32 v30, v40, v16, -v20
	ds_read2_b64 v[20:23], v14 offset0:160 offset1:176
	v_mul_f32_e32 v34, v40, v17
	v_add_f32_e32 v25, v31, v25
	v_fma_f32 v48, v40, v18, -v32
	v_mul_f32_e32 v40, v40, v19
	v_add_f32_e32 v2, v2, v30
	v_fmac_f32_e32 v34, v41, v16
	ds_read_b128 v[30:33], v15 offset:1072
	s_waitcnt lgkmcnt(2)
	v_mul_f32_e32 v49, v27, v17
	v_mul_f32_e32 v17, v26, v17
	v_fmac_f32_e32 v40, v41, v18
	v_mul_f32_e32 v41, v27, v19
	v_add_f32_e32 v34, v35, v34
	v_add_f32_e32 v35, v36, v48
	v_fma_f32 v36, v26, v16, -v49
	v_fmac_f32_e32 v17, v27, v16
	v_add_f32_e32 v38, v38, v40
	v_mul_f32_e32 v40, v26, v19
	v_fma_f32 v16, v26, v18, -v41
	v_add_f32_e32 v36, v37, v36
	v_add_f32_e32 v26, v39, v17
	s_waitcnt lgkmcnt(1)
	v_mul_f32_e32 v37, v43, v21
	v_fmac_f32_e32 v40, v27, v18
	v_add_f32_e32 v24, v24, v16
	ds_read2_b64 v[16:19], v14 offset0:192 offset1:208
	v_mul_f32_e32 v27, v42, v21
	v_fma_f32 v37, v42, v20, -v37
	v_mul_f32_e32 v39, v43, v23
	v_add_f32_e32 v40, v25, v40
	v_mul_f32_e32 v25, v42, v23
	v_fmac_f32_e32 v27, v43, v20
	v_add_f32_e32 v2, v2, v37
	v_fma_f32 v37, v42, v22, -v39
	v_fmac_f32_e32 v25, v43, v22
	v_add_f32_e32 v34, v34, v27
	v_mul_f32_e32 v27, v29, v21
	v_mul_f32_e32 v21, v28, v21
	v_add_f32_e32 v35, v35, v37
	v_mul_f32_e32 v37, v29, v23
	v_add_f32_e32 v38, v38, v25
	v_fma_f32 v27, v28, v20, -v27
	v_fmac_f32_e32 v21, v29, v20
	v_mul_f32_e32 v20, v28, v23
	v_fma_f32 v23, v28, v22, -v37
	s_waitcnt lgkmcnt(0)
	v_mul_f32_e32 v25, v45, v17
	v_add_f32_e32 v28, v36, v27
	v_add_f32_e32 v21, v26, v21
	v_fmac_f32_e32 v20, v29, v22
	v_add_f32_e32 v22, v24, v23
	v_fma_f32 v29, v44, v16, -v25
	ds_read2_b64 v[24:27], v14 offset0:224 offset1:240
	v_mul_f32_e32 v23, v44, v17
	v_mul_f32_e32 v37, v31, v17
	;; [unrolled: 1-line block ×4, first 2 shown]
	v_add_f32_e32 v2, v2, v29
	v_fmac_f32_e32 v23, v45, v16
	v_mul_f32_e32 v29, v44, v19
	v_fmac_f32_e32 v17, v31, v16
	v_fma_f32 v36, v44, v18, -v36
	v_add_f32_e32 v20, v40, v20
	v_add_f32_e32 v23, v34, v23
	v_fma_f32 v34, v30, v16, -v37
	v_mul_f32_e32 v16, v31, v19
	v_mul_f32_e32 v19, v30, v19
	v_fmac_f32_e32 v29, v45, v18
	v_add_f32_e32 v17, v21, v17
	v_add_f32_e32 v35, v35, v36
	v_fma_f32 v16, v30, v18, -v16
	v_fmac_f32_e32 v19, v31, v18
	s_waitcnt lgkmcnt(0)
	v_mul_f32_e32 v21, v47, v25
	v_mul_f32_e32 v18, v47, v27
	v_add_f32_e32 v28, v28, v34
	v_mul_f32_e32 v30, v46, v25
	v_add_f32_e32 v16, v22, v16
	v_fma_f32 v21, v46, v24, -v21
	v_fma_f32 v18, v46, v26, -v18
	v_mul_f32_e32 v31, v46, v27
	v_add_f32_e32 v34, v20, v19
	v_mul_f32_e32 v19, v32, v25
	v_add_f32_e32 v22, v2, v21
	v_add_f32_e32 v20, v35, v18
	v_mul_f32_e32 v2, v33, v25
	v_mul_f32_e32 v18, v33, v27
	;; [unrolled: 1-line block ×3, first 2 shown]
	v_add_f32_e32 v29, v38, v29
	v_fmac_f32_e32 v30, v47, v24
	v_fmac_f32_e32 v31, v47, v26
	v_fma_f32 v2, v32, v24, -v2
	v_fmac_f32_e32 v19, v33, v24
	v_fma_f32 v24, v32, v26, -v18
	v_fmac_f32_e32 v25, v33, v26
	v_add_f32_e32 v23, v23, v30
	v_add_f32_e32 v21, v29, v31
	;; [unrolled: 1-line block ×6, first 2 shown]
	s_barrier
	buffer_gl0_inv
	s_cbranch_vccz .LBB221_18
.LBB221_8:                              ; =>This Inner Loop Header: Depth=1
	s_mov_b32 s18, s15
	s_mov_b32 s16, 0
	s_and_saveexec_b32 s17, s0
	s_cbranch_execnz .LBB221_16
; %bb.9:                                ;   in Loop: Header=BB221_8 Depth=1
	s_or_b32 exec_lo, exec_lo, s17
	s_and_saveexec_b32 s17, s18
	s_xor_b32 s17, exec_lo, s17
	s_cbranch_execnz .LBB221_17
.LBB221_10:                             ;   in Loop: Header=BB221_8 Depth=1
	s_or_b32 exec_lo, exec_lo, s17
	s_and_saveexec_b32 s17, s16
	s_cbranch_execz .LBB221_12
.LBB221_11:                             ;   in Loop: Header=BB221_8 Depth=1
	v_lshlrev_b64 v[24:25], 3, v[4:5]
	v_add_co_u32 v24, vcc_lo, v9, v24
	v_add_co_ci_u32_e64 v25, null, v10, v25, vcc_lo
	global_load_dwordx2 v[24:25], v[24:25], off
	s_waitcnt vmcnt(0)
	ds_write_b64 v8, v[24:25]
.LBB221_12:                             ;   in Loop: Header=BB221_8 Depth=1
	s_or_b32 exec_lo, exec_lo, s17
	v_add_nc_u32_e32 v2, s4, v6
	v_cmp_le_u64_e32 vcc_lo, s[12:13], v[2:3]
	s_or_b32 s16, vcc_lo, s1
	s_and_saveexec_b32 s17, s16
	s_xor_b32 s16, exec_lo, s17
; %bb.13:                               ;   in Loop: Header=BB221_8 Depth=1
	ds_write_b32 v11, v3
; %bb.14:                               ;   in Loop: Header=BB221_8 Depth=1
	s_or_saveexec_b32 s16, s16
	v_mov_b32_e32 v24, 0
	s_xor_b32 exec_lo, exec_lo, s16
	s_cbranch_execz .LBB221_7
; %bb.15:                               ;   in Loop: Header=BB221_8 Depth=1
	v_mad_u64_u32 v[24:25], null, s24, v2, 0
	v_mad_u64_u32 v[25:26], null, s25, v2, v[25:26]
	v_lshlrev_b64 v[24:25], 3, v[24:25]
	v_add_co_u32 v24, vcc_lo, v12, v24
	v_add_co_ci_u32_e64 v25, null, v13, v25, vcc_lo
	global_load_dwordx2 v[25:26], v[24:25], off
	s_waitcnt vmcnt(0)
	v_xor_b32_e32 v24, 0x80000000, v26
	ds_write_b32 v11, v25
	s_branch .LBB221_7
.LBB221_16:                             ;   in Loop: Header=BB221_8 Depth=1
	v_add_nc_u32_e32 v2, s4, v7
	v_mov_b32_e32 v5, v3
	s_andn2_b32 s18, s15, exec_lo
	s_mov_b32 s16, exec_lo
	v_cmp_le_u64_e32 vcc_lo, s[12:13], v[2:3]
	v_mov_b32_e32 v4, v2
	s_and_b32 s19, vcc_lo, exec_lo
	s_or_b32 s18, s18, s19
	s_or_b32 exec_lo, exec_lo, s17
	s_and_saveexec_b32 s17, s18
	s_xor_b32 s17, exec_lo, s17
	s_cbranch_execz .LBB221_10
.LBB221_17:                             ;   in Loop: Header=BB221_8 Depth=1
	v_mov_b32_e32 v2, v3
	s_andn2_b32 s16, s16, exec_lo
	ds_write_b64 v8, v[2:3]
	s_or_b32 exec_lo, exec_lo, s17
	s_and_saveexec_b32 s17, s16
	s_cbranch_execnz .LBB221_11
	s_branch .LBB221_12
.LBB221_18:
	v_add_nc_u32_e32 v9, s7, v1
	s_mul_i32 s1, s43, s8
	s_mul_hi_u32 s4, s42, s8
	s_mul_i32 s0, s42, s8
	s_add_i32 s1, s4, s1
	v_ashrrev_i32_e32 v3, 31, v9
	v_mul_lo_u32 v4, s41, v9
	v_mad_u64_u32 v[1:2], null, s40, v9, 0
	v_add_nc_u32_e32 v0, s6, v0
	v_mul_lo_u32 v3, s40, v3
	v_cmp_neq_f32_e64 s6, s2, 0
	s_lshl_b64 s[4:5], s[0:1], 3
	s_waitcnt lgkmcnt(0)
	v_cmp_gt_i32_e64 s0, s9, v9
	s_add_u32 s4, s38, s4
	s_addc_u32 s5, s39, s5
	s_xor_b32 s7, s14, -1
	v_cmp_le_i32_e32 vcc_lo, v0, v9
	v_add3_u32 v2, v2, v3, v4
	s_or_b32 s6, s6, s7
	v_cndmask_b32_e64 v8, 0, 1, s6
	s_and_b32 s7, s0, vcc_lo
	v_lshlrev_b64 v[2:3], 3, v[1:2]
	v_ashrrev_i32_e32 v1, 31, v0
	v_add_co_u32 v6, s1, s4, v2
	v_add_co_ci_u32_e64 v7, null, s5, v3, s1
	s_and_saveexec_b32 s1, s7
	s_cbranch_execz .LBB221_22
; %bb.19:
	v_lshlrev_b64 v[4:5], 3, v[0:1]
	v_mul_f32_e32 v2, s11, v23
	v_mul_f32_e32 v3, s10, v23
	v_fma_f32 v2, v22, s10, -v2
	v_add_co_u32 v4, vcc_lo, v6, v4
	v_fmac_f32_e32 v3, s11, v22
	v_add_co_ci_u32_e64 v5, null, v7, v5, vcc_lo
	s_andn2_b32 vcc_lo, exec_lo, s6
	s_cbranch_vccnz .LBB221_21
; %bb.20:
	global_load_dwordx2 v[10:11], v[4:5], off
	s_waitcnt vmcnt(0)
	v_mul_f32_e32 v12, s3, v11
	v_mul_f32_e32 v11, s2, v11
	v_fma_f32 v12, v10, s2, -v12
	v_fmac_f32_e32 v11, s3, v10
	v_add_f32_e32 v2, v2, v12
	v_add_f32_e32 v3, v3, v11
.LBB221_21:
	global_store_dwordx2 v[4:5], v[2:3], off
.LBB221_22:
	s_or_b32 exec_lo, exec_lo, s1
	v_add_nc_u32_e32 v2, 16, v0
	v_cmp_le_i32_e32 vcc_lo, v2, v9
	v_ashrrev_i32_e32 v3, 31, v2
	s_and_b32 s0, s0, vcc_lo
	s_and_saveexec_b32 s1, s0
	s_cbranch_execz .LBB221_26
; %bb.23:
	v_lshlrev_b64 v[10:11], 3, v[2:3]
	v_mul_f32_e32 v4, s11, v21
	v_mul_f32_e32 v5, s10, v21
	v_cmp_ne_u32_e32 vcc_lo, 1, v8
	v_fma_f32 v4, v20, s10, -v4
	v_add_co_u32 v6, s0, v6, v10
	v_fmac_f32_e32 v5, s11, v20
	v_add_co_ci_u32_e64 v7, null, v7, v11, s0
	s_cbranch_vccnz .LBB221_25
; %bb.24:
	global_load_dwordx2 v[10:11], v[6:7], off
	s_waitcnt vmcnt(0)
	v_mul_f32_e32 v12, s3, v11
	v_mul_f32_e32 v11, s2, v11
	v_fma_f32 v12, v10, s2, -v12
	v_fmac_f32_e32 v11, s3, v10
	v_add_f32_e32 v4, v4, v12
	v_add_f32_e32 v5, v5, v11
.LBB221_25:
	global_store_dwordx2 v[6:7], v[4:5], off
.LBB221_26:
	s_or_b32 exec_lo, exec_lo, s1
	v_add_nc_u32_e32 v9, 16, v9
	v_ashrrev_i32_e32 v6, 31, v9
	v_mul_lo_u32 v7, s41, v9
	v_mad_u64_u32 v[4:5], null, s40, v9, 0
	v_cmp_gt_i32_e64 s0, s9, v9
	v_mul_lo_u32 v6, s40, v6
	v_cmp_le_i32_e32 vcc_lo, v0, v9
	v_add3_u32 v5, v5, v6, v7
	v_lshlrev_b64 v[4:5], 3, v[4:5]
	v_add_co_u32 v6, s1, s4, v4
	v_add_co_ci_u32_e64 v7, null, s5, v5, s1
	s_and_b32 s1, s0, vcc_lo
	s_and_saveexec_b32 s4, s1
	s_cbranch_execz .LBB221_30
; %bb.27:
	v_lshlrev_b64 v[0:1], 3, v[0:1]
	v_mul_f32_e32 v4, s11, v19
	v_mul_f32_e32 v5, s10, v19
	v_cmp_ne_u32_e32 vcc_lo, 1, v8
	v_fma_f32 v4, v18, s10, -v4
	v_add_co_u32 v0, s1, v6, v0
	v_fmac_f32_e32 v5, s11, v18
	v_add_co_ci_u32_e64 v1, null, v7, v1, s1
	s_cbranch_vccnz .LBB221_29
; %bb.28:
	global_load_dwordx2 v[10:11], v[0:1], off
	s_waitcnt vmcnt(0)
	v_mul_f32_e32 v12, s3, v11
	v_mul_f32_e32 v11, s2, v11
	v_fma_f32 v12, v10, s2, -v12
	v_fmac_f32_e32 v11, s3, v10
	v_add_f32_e32 v4, v4, v12
	v_add_f32_e32 v5, v5, v11
.LBB221_29:
	global_store_dwordx2 v[0:1], v[4:5], off
.LBB221_30:
	s_or_b32 exec_lo, exec_lo, s4
	v_cmp_le_i32_e32 vcc_lo, v2, v9
	s_and_b32 s0, s0, vcc_lo
	s_and_saveexec_b32 s1, s0
	s_cbranch_execz .LBB221_34
; %bb.31:
	v_lshlrev_b64 v[2:3], 3, v[2:3]
	v_mul_f32_e32 v0, s11, v17
	v_mul_f32_e32 v1, s10, v17
	v_cmp_ne_u32_e32 vcc_lo, 1, v8
	v_fma_f32 v0, v16, s10, -v0
	v_add_co_u32 v2, s0, v6, v2
	v_fmac_f32_e32 v1, s11, v16
	v_add_co_ci_u32_e64 v3, null, v7, v3, s0
	s_cbranch_vccnz .LBB221_33
; %bb.32:
	global_load_dwordx2 v[4:5], v[2:3], off
	s_waitcnt vmcnt(0)
	v_mul_f32_e32 v6, s3, v5
	v_mul_f32_e32 v5, s2, v5
	v_fma_f32 v6, v4, s2, -v6
	v_fmac_f32_e32 v5, s3, v4
	v_add_f32_e32 v0, v0, v6
	v_add_f32_e32 v1, v1, v5
.LBB221_33:
	global_store_dwordx2 v[2:3], v[0:1], off
.LBB221_34:
	s_endpgm
	.section	.rodata,"a",@progbits
	.p2align	6, 0x0
	.amdhsa_kernel _ZL29rocblas_internal_gemmt_kernelIlLi16ELi32ELi8ELc84ELc67ELc85ELb0ELb1E19rocblas_complex_numIfEPKS1_S3_PS1_EviT_T9_T10_S5_lS7_S5_lS6_T11_S5_li
		.amdhsa_group_segment_fixed_size 4096
		.amdhsa_private_segment_fixed_size 0
		.amdhsa_kernarg_size 108
		.amdhsa_user_sgpr_count 6
		.amdhsa_user_sgpr_private_segment_buffer 1
		.amdhsa_user_sgpr_dispatch_ptr 0
		.amdhsa_user_sgpr_queue_ptr 0
		.amdhsa_user_sgpr_kernarg_segment_ptr 1
		.amdhsa_user_sgpr_dispatch_id 0
		.amdhsa_user_sgpr_flat_scratch_init 0
		.amdhsa_user_sgpr_private_segment_size 0
		.amdhsa_wavefront_size32 1
		.amdhsa_uses_dynamic_stack 0
		.amdhsa_system_sgpr_private_segment_wavefront_offset 0
		.amdhsa_system_sgpr_workgroup_id_x 1
		.amdhsa_system_sgpr_workgroup_id_y 1
		.amdhsa_system_sgpr_workgroup_id_z 1
		.amdhsa_system_sgpr_workgroup_info 0
		.amdhsa_system_vgpr_workitem_id 1
		.amdhsa_next_free_vgpr 61
		.amdhsa_next_free_sgpr 44
		.amdhsa_reserve_vcc 1
		.amdhsa_reserve_flat_scratch 0
		.amdhsa_float_round_mode_32 0
		.amdhsa_float_round_mode_16_64 0
		.amdhsa_float_denorm_mode_32 3
		.amdhsa_float_denorm_mode_16_64 3
		.amdhsa_dx10_clamp 1
		.amdhsa_ieee_mode 1
		.amdhsa_fp16_overflow 0
		.amdhsa_workgroup_processor_mode 1
		.amdhsa_memory_ordered 1
		.amdhsa_forward_progress 1
		.amdhsa_shared_vgpr_count 0
		.amdhsa_exception_fp_ieee_invalid_op 0
		.amdhsa_exception_fp_denorm_src 0
		.amdhsa_exception_fp_ieee_div_zero 0
		.amdhsa_exception_fp_ieee_overflow 0
		.amdhsa_exception_fp_ieee_underflow 0
		.amdhsa_exception_fp_ieee_inexact 0
		.amdhsa_exception_int_div_zero 0
	.end_amdhsa_kernel
	.section	.text._ZL29rocblas_internal_gemmt_kernelIlLi16ELi32ELi8ELc84ELc67ELc85ELb0ELb1E19rocblas_complex_numIfEPKS1_S3_PS1_EviT_T9_T10_S5_lS7_S5_lS6_T11_S5_li,"axG",@progbits,_ZL29rocblas_internal_gemmt_kernelIlLi16ELi32ELi8ELc84ELc67ELc85ELb0ELb1E19rocblas_complex_numIfEPKS1_S3_PS1_EviT_T9_T10_S5_lS7_S5_lS6_T11_S5_li,comdat
.Lfunc_end221:
	.size	_ZL29rocblas_internal_gemmt_kernelIlLi16ELi32ELi8ELc84ELc67ELc85ELb0ELb1E19rocblas_complex_numIfEPKS1_S3_PS1_EviT_T9_T10_S5_lS7_S5_lS6_T11_S5_li, .Lfunc_end221-_ZL29rocblas_internal_gemmt_kernelIlLi16ELi32ELi8ELc84ELc67ELc85ELb0ELb1E19rocblas_complex_numIfEPKS1_S3_PS1_EviT_T9_T10_S5_lS7_S5_lS6_T11_S5_li
                                        ; -- End function
	.set _ZL29rocblas_internal_gemmt_kernelIlLi16ELi32ELi8ELc84ELc67ELc85ELb0ELb1E19rocblas_complex_numIfEPKS1_S3_PS1_EviT_T9_T10_S5_lS7_S5_lS6_T11_S5_li.num_vgpr, 61
	.set _ZL29rocblas_internal_gemmt_kernelIlLi16ELi32ELi8ELc84ELc67ELc85ELb0ELb1E19rocblas_complex_numIfEPKS1_S3_PS1_EviT_T9_T10_S5_lS7_S5_lS6_T11_S5_li.num_agpr, 0
	.set _ZL29rocblas_internal_gemmt_kernelIlLi16ELi32ELi8ELc84ELc67ELc85ELb0ELb1E19rocblas_complex_numIfEPKS1_S3_PS1_EviT_T9_T10_S5_lS7_S5_lS6_T11_S5_li.numbered_sgpr, 44
	.set _ZL29rocblas_internal_gemmt_kernelIlLi16ELi32ELi8ELc84ELc67ELc85ELb0ELb1E19rocblas_complex_numIfEPKS1_S3_PS1_EviT_T9_T10_S5_lS7_S5_lS6_T11_S5_li.num_named_barrier, 0
	.set _ZL29rocblas_internal_gemmt_kernelIlLi16ELi32ELi8ELc84ELc67ELc85ELb0ELb1E19rocblas_complex_numIfEPKS1_S3_PS1_EviT_T9_T10_S5_lS7_S5_lS6_T11_S5_li.private_seg_size, 0
	.set _ZL29rocblas_internal_gemmt_kernelIlLi16ELi32ELi8ELc84ELc67ELc85ELb0ELb1E19rocblas_complex_numIfEPKS1_S3_PS1_EviT_T9_T10_S5_lS7_S5_lS6_T11_S5_li.uses_vcc, 1
	.set _ZL29rocblas_internal_gemmt_kernelIlLi16ELi32ELi8ELc84ELc67ELc85ELb0ELb1E19rocblas_complex_numIfEPKS1_S3_PS1_EviT_T9_T10_S5_lS7_S5_lS6_T11_S5_li.uses_flat_scratch, 0
	.set _ZL29rocblas_internal_gemmt_kernelIlLi16ELi32ELi8ELc84ELc67ELc85ELb0ELb1E19rocblas_complex_numIfEPKS1_S3_PS1_EviT_T9_T10_S5_lS7_S5_lS6_T11_S5_li.has_dyn_sized_stack, 0
	.set _ZL29rocblas_internal_gemmt_kernelIlLi16ELi32ELi8ELc84ELc67ELc85ELb0ELb1E19rocblas_complex_numIfEPKS1_S3_PS1_EviT_T9_T10_S5_lS7_S5_lS6_T11_S5_li.has_recursion, 0
	.set _ZL29rocblas_internal_gemmt_kernelIlLi16ELi32ELi8ELc84ELc67ELc85ELb0ELb1E19rocblas_complex_numIfEPKS1_S3_PS1_EviT_T9_T10_S5_lS7_S5_lS6_T11_S5_li.has_indirect_call, 0
	.section	.AMDGPU.csdata,"",@progbits
; Kernel info:
; codeLenInByte = 2620
; TotalNumSgprs: 46
; NumVgprs: 61
; ScratchSize: 0
; MemoryBound: 0
; FloatMode: 240
; IeeeMode: 1
; LDSByteSize: 4096 bytes/workgroup (compile time only)
; SGPRBlocks: 0
; VGPRBlocks: 7
; NumSGPRsForWavesPerEU: 46
; NumVGPRsForWavesPerEU: 61
; Occupancy: 16
; WaveLimiterHint : 0
; COMPUTE_PGM_RSRC2:SCRATCH_EN: 0
; COMPUTE_PGM_RSRC2:USER_SGPR: 6
; COMPUTE_PGM_RSRC2:TRAP_HANDLER: 0
; COMPUTE_PGM_RSRC2:TGID_X_EN: 1
; COMPUTE_PGM_RSRC2:TGID_Y_EN: 1
; COMPUTE_PGM_RSRC2:TGID_Z_EN: 1
; COMPUTE_PGM_RSRC2:TIDIG_COMP_CNT: 1
	.section	.text._ZL29rocblas_internal_gemmt_kernelIlLi16ELi32ELi8ELc67ELc78ELc85ELb1ELb0E19rocblas_complex_numIfEPKS1_S3_PS1_EviT_T9_T10_S5_lS7_S5_lS6_T11_S5_li,"axG",@progbits,_ZL29rocblas_internal_gemmt_kernelIlLi16ELi32ELi8ELc67ELc78ELc85ELb1ELb0E19rocblas_complex_numIfEPKS1_S3_PS1_EviT_T9_T10_S5_lS7_S5_lS6_T11_S5_li,comdat
	.globl	_ZL29rocblas_internal_gemmt_kernelIlLi16ELi32ELi8ELc67ELc78ELc85ELb1ELb0E19rocblas_complex_numIfEPKS1_S3_PS1_EviT_T9_T10_S5_lS7_S5_lS6_T11_S5_li ; -- Begin function _ZL29rocblas_internal_gemmt_kernelIlLi16ELi32ELi8ELc67ELc78ELc85ELb1ELb0E19rocblas_complex_numIfEPKS1_S3_PS1_EviT_T9_T10_S5_lS7_S5_lS6_T11_S5_li
	.p2align	8
	.type	_ZL29rocblas_internal_gemmt_kernelIlLi16ELi32ELi8ELc67ELc78ELc85ELb1ELb0E19rocblas_complex_numIfEPKS1_S3_PS1_EviT_T9_T10_S5_lS7_S5_lS6_T11_S5_li,@function
_ZL29rocblas_internal_gemmt_kernelIlLi16ELi32ELi8ELc67ELc78ELc85ELb1ELb0E19rocblas_complex_numIfEPKS1_S3_PS1_EviT_T9_T10_S5_lS7_S5_lS6_T11_S5_li: ; @_ZL29rocblas_internal_gemmt_kernelIlLi16ELi32ELi8ELc67ELc78ELc85ELb1ELb0E19rocblas_complex_numIfEPKS1_S3_PS1_EviT_T9_T10_S5_lS7_S5_lS6_T11_S5_li
; %bb.0:
	s_clause 0x1
	s_load_dwordx8 s[36:43], s[4:5], 0x48
	s_load_dwordx16 s[12:27], s[4:5], 0x8
	s_waitcnt lgkmcnt(0)
	s_load_dwordx2 s[2:3], s[36:37], 0x0
	s_load_dwordx2 s[10:11], s[14:15], 0x0
	s_waitcnt lgkmcnt(0)
	s_and_b32 s0, s3, 0x7fffffff
	v_cmp_eq_f32_e64 s1, s2, 1.0
	s_cmp_eq_u32 s0, 0
	s_mov_b32 s0, 0
	s_cselect_b32 s14, -1, 0
	s_and_b32 s1, s1, s14
	s_andn2_b32 vcc_lo, exec_lo, s1
	s_mov_b32 s1, -1
	s_cbranch_vccnz .LBB222_4
; %bb.1:
	s_cmp_lg_u64 s[12:13], 0
	s_cbranch_scc0 .LBB222_3
; %bb.2:
	v_cmp_neq_f32_e64 s0, s10, 0
	v_cmp_neq_f32_e64 s1, s11, 0
	s_or_b32 s0, s0, s1
.LBB222_3:
	s_mov_b32 s1, s0
.LBB222_4:
	s_and_b32 vcc_lo, exec_lo, s1
	s_cbranch_vccz .LBB222_34
; %bb.5:
	s_load_dword s9, s[4:5], 0x0
	v_cmp_eq_f32_e64 s0, s10, 0
	v_cmp_eq_f32_e64 s1, s11, 0
	v_cmp_lt_i64_e64 s4, s[12:13], 1
	v_mov_b32_e32 v22, 0
	v_mov_b32_e32 v23, 0
	;; [unrolled: 1-line block ×3, first 2 shown]
	s_and_b32 s0, s0, s1
	v_mov_b32_e32 v21, 0
	v_mov_b32_e32 v18, 0
	;; [unrolled: 1-line block ×5, first 2 shown]
	s_or_b32 s0, s0, s4
	s_lshl_b32 s6, s6, 5
	s_and_b32 vcc_lo, exec_lo, s0
	s_lshl_b32 s7, s7, 5
	s_cbranch_vccnz .LBB222_18
; %bb.6:
	v_lshl_add_u32 v7, v1, 4, v0
	s_mul_i32 s1, s27, s8
	s_mul_hi_u32 s4, s26, s8
	s_mul_i32 s0, s26, s8
	s_add_i32 s1, s4, s1
	v_lshrrev_b32_e32 v9, 3, v7
	v_and_b32_e32 v8, 31, v7
	s_lshl_b64 s[0:1], s[0:1], 3
	s_mul_hi_u32 s5, s20, s8
	s_add_u32 s4, s22, s0
	v_add_nc_u32_e32 v11, s7, v9
	v_or_b32_e32 v10, s6, v8
	s_mul_i32 s0, s21, s8
	s_addc_u32 s21, s23, s1
	s_add_i32 s1, s5, s0
	v_ashrrev_i32_e32 v4, 31, v11
	s_mul_i32 s0, s20, s8
	v_mul_lo_u32 v12, s19, v10
	v_mad_u64_u32 v[2:3], null, s18, v10, 0
	s_lshl_b64 s[0:1], s[0:1], 3
	v_mul_lo_u32 v13, s24, v4
	v_mul_lo_u32 v14, s25, v11
	v_mad_u64_u32 v[4:5], null, s24, v11, 0
	s_add_u32 s5, s16, s0
	s_addc_u32 s1, s17, s1
	s_ashr_i32 s0, s6, 31
	v_and_b32_e32 v6, 7, v0
	s_mul_i32 s0, s18, s0
	v_lshrrev_b32_e32 v7, 5, v7
	v_add3_u32 v3, v3, s0, v12
	v_add3_u32 v5, v5, v13, v14
	v_lshlrev_b32_e32 v12, 3, v6
	v_lshlrev_b32_e32 v8, 3, v8
	s_waitcnt lgkmcnt(0)
	v_cmp_gt_i32_e64 s0, s9, v10
	v_lshlrev_b64 v[2:3], 3, v[2:3]
	v_lshlrev_b64 v[4:5], 3, v[4:5]
	v_lshl_or_b32 v12, v9, 6, v12
	v_cmp_le_i32_e64 s15, s9, v10
	v_lshl_or_b32 v8, v7, 8, v8
	v_lshlrev_b32_e32 v14, 3, v0
	v_add_co_u32 v9, vcc_lo, s5, v2
	v_add_co_ci_u32_e64 v10, null, s1, v3, vcc_lo
	v_cmp_gt_i32_e32 vcc_lo, s9, v11
	v_add_nc_u32_e32 v11, 0x800, v12
	v_add_co_u32 v12, s1, s4, v4
	v_add_co_ci_u32_e64 v13, null, s21, v5, s1
	v_lshl_add_u32 v15, v1, 6, 0x800
	v_mov_b32_e32 v3, 0
	v_mov_b32_e32 v17, 0
	;; [unrolled: 1-line block ×9, first 2 shown]
	s_mov_b64 s[4:5], 0
	s_xor_b32 s1, vcc_lo, -1
                                        ; implicit-def: $vgpr4_vgpr5
	s_branch .LBB222_8
.LBB222_7:                              ;   in Loop: Header=BB222_8 Depth=1
	s_or_b32 exec_lo, exec_lo, s16
	s_waitcnt lgkmcnt(0)
	s_barrier
	buffer_gl0_inv
	ds_read_b128 v[24:27], v15
	ds_read2_b64 v[28:31], v14 offset1:16
	ds_read_b128 v[32:35], v15 offset:1024
	ds_read_b128 v[36:39], v15 offset:16
	;; [unrolled: 1-line block ×4, first 2 shown]
	ds_read2_b64 v[48:51], v14 offset0:32 offset1:48
	ds_read_b128 v[52:55], v15 offset:1040
	s_add_u32 s4, s4, 8
	s_addc_u32 s5, s5, 0
	v_cmp_gt_i64_e64 s16, s[12:13], s[4:5]
	s_and_b32 vcc_lo, exec_lo, s16
	s_waitcnt lgkmcnt(6)
	v_mul_f32_e32 v2, v25, v29
	v_mul_f32_e32 v56, v24, v29
	;; [unrolled: 1-line block ×4, first 2 shown]
	s_waitcnt lgkmcnt(5)
	v_mul_f32_e32 v59, v33, v29
	v_mul_f32_e32 v29, v32, v29
	;; [unrolled: 1-line block ×3, first 2 shown]
	v_fma_f32 v2, v24, v28, -v2
	v_fmac_f32_e32 v56, v25, v28
	v_fma_f32 v24, v24, v30, -v57
	v_fmac_f32_e32 v58, v25, v30
	;; [unrolled: 2-line block ×3, first 2 shown]
	v_mul_f32_e32 v31, v32, v31
	v_fma_f32 v28, v32, v30, -v60
	v_add_f32_e32 v2, v22, v2
	v_add_f32_e32 v22, v23, v56
	;; [unrolled: 1-line block ×6, first 2 shown]
	s_waitcnt lgkmcnt(1)
	v_mul_f32_e32 v32, v27, v49
	ds_read2_b64 v[18:21], v14 offset0:64 offset1:80
	v_fmac_f32_e32 v31, v33, v30
	v_add_f32_e32 v16, v16, v28
	v_mul_f32_e32 v28, v26, v49
	v_fma_f32 v30, v26, v48, -v32
	v_mul_f32_e32 v32, v27, v51
	v_add_f32_e32 v17, v17, v31
	v_mul_f32_e32 v31, v26, v51
	v_fmac_f32_e32 v28, v27, v48
	v_add_f32_e32 v2, v2, v30
	v_fma_f32 v26, v26, v50, -v32
	v_mul_f32_e32 v30, v35, v49
	v_fmac_f32_e32 v31, v27, v50
	v_add_f32_e32 v28, v22, v28
	v_mul_f32_e32 v22, v34, v49
	v_add_f32_e32 v26, v23, v26
	v_fma_f32 v23, v34, v48, -v30
	v_mul_f32_e32 v27, v35, v51
	v_add_f32_e32 v30, v24, v31
	v_fmac_f32_e32 v22, v35, v48
	v_mul_f32_e32 v31, v34, v51
	v_add_f32_e32 v32, v25, v23
	v_fma_f32 v23, v34, v50, -v27
	s_waitcnt lgkmcnt(0)
	v_mul_f32_e32 v24, v37, v19
	v_add_f32_e32 v27, v29, v22
	v_fmac_f32_e32 v31, v35, v50
	v_mul_f32_e32 v29, v36, v19
	v_add_f32_e32 v16, v16, v23
	v_fma_f32 v33, v36, v18, -v24
	v_mul_f32_e32 v34, v37, v21
	ds_read2_b64 v[22:25], v14 offset0:96 offset1:112
	v_fmac_f32_e32 v29, v37, v18
	v_add_f32_e32 v31, v17, v31
	v_add_f32_e32 v2, v2, v33
	v_mul_f32_e32 v17, v36, v21
	v_fma_f32 v33, v36, v20, -v34
	v_add_f32_e32 v28, v28, v29
	v_mul_f32_e32 v29, v53, v19
	v_mul_f32_e32 v19, v52, v19
	v_fmac_f32_e32 v17, v37, v20
	v_add_f32_e32 v26, v26, v33
	v_mul_f32_e32 v33, v53, v21
	v_mul_f32_e32 v21, v52, v21
	v_fmac_f32_e32 v19, v53, v18
	v_add_f32_e32 v30, v30, v17
	v_fma_f32 v29, v52, v18, -v29
	v_fma_f32 v17, v52, v20, -v33
	v_fmac_f32_e32 v21, v53, v20
	v_add_f32_e32 v33, v27, v19
	s_waitcnt lgkmcnt(0)
	v_mul_f32_e32 v20, v39, v23
	v_add_f32_e32 v34, v16, v17
	ds_read2_b64 v[16:19], v14 offset0:128 offset1:144
	v_add_f32_e32 v32, v32, v29
	v_mul_f32_e32 v27, v38, v23
	v_mul_f32_e32 v29, v39, v25
	v_fma_f32 v20, v38, v22, -v20
	v_add_f32_e32 v31, v31, v21
	v_mul_f32_e32 v21, v38, v25
	v_fmac_f32_e32 v27, v39, v22
	v_fma_f32 v29, v38, v24, -v29
	v_add_f32_e32 v2, v2, v20
	v_mul_f32_e32 v20, v55, v23
	v_fmac_f32_e32 v21, v39, v24
	v_add_f32_e32 v35, v28, v27
	v_add_f32_e32 v36, v26, v29
	v_mul_f32_e32 v23, v54, v23
	v_fma_f32 v20, v54, v22, -v20
	v_mul_f32_e32 v37, v55, v25
	ds_read_b128 v[26:29], v15 offset:1056
	v_add_f32_e32 v38, v30, v21
	v_fmac_f32_e32 v23, v55, v22
	v_mul_f32_e32 v25, v54, v25
	v_fma_f32 v21, v54, v24, -v37
	v_add_f32_e32 v37, v32, v20
	s_waitcnt lgkmcnt(1)
	v_mul_f32_e32 v20, v41, v17
	v_add_f32_e32 v39, v33, v23
	v_fmac_f32_e32 v25, v55, v24
	v_add_f32_e32 v24, v34, v21
	v_mul_f32_e32 v32, v41, v19
	v_fma_f32 v30, v40, v16, -v20
	ds_read2_b64 v[20:23], v14 offset0:160 offset1:176
	v_mul_f32_e32 v34, v40, v17
	v_add_f32_e32 v25, v31, v25
	v_fma_f32 v48, v40, v18, -v32
	v_mul_f32_e32 v40, v40, v19
	v_add_f32_e32 v2, v2, v30
	v_fmac_f32_e32 v34, v41, v16
	ds_read_b128 v[30:33], v15 offset:1072
	s_waitcnt lgkmcnt(2)
	v_mul_f32_e32 v49, v27, v17
	v_mul_f32_e32 v17, v26, v17
	v_fmac_f32_e32 v40, v41, v18
	v_mul_f32_e32 v41, v27, v19
	v_add_f32_e32 v34, v35, v34
	v_add_f32_e32 v35, v36, v48
	v_fma_f32 v36, v26, v16, -v49
	v_fmac_f32_e32 v17, v27, v16
	v_add_f32_e32 v38, v38, v40
	v_mul_f32_e32 v40, v26, v19
	v_fma_f32 v16, v26, v18, -v41
	v_add_f32_e32 v36, v37, v36
	v_add_f32_e32 v26, v39, v17
	s_waitcnt lgkmcnt(1)
	v_mul_f32_e32 v37, v43, v21
	v_fmac_f32_e32 v40, v27, v18
	v_add_f32_e32 v24, v24, v16
	ds_read2_b64 v[16:19], v14 offset0:192 offset1:208
	v_mul_f32_e32 v27, v42, v21
	v_fma_f32 v37, v42, v20, -v37
	v_mul_f32_e32 v39, v43, v23
	v_add_f32_e32 v40, v25, v40
	v_mul_f32_e32 v25, v42, v23
	v_fmac_f32_e32 v27, v43, v20
	v_add_f32_e32 v2, v2, v37
	v_fma_f32 v37, v42, v22, -v39
	v_fmac_f32_e32 v25, v43, v22
	v_add_f32_e32 v34, v34, v27
	v_mul_f32_e32 v27, v29, v21
	v_mul_f32_e32 v21, v28, v21
	v_add_f32_e32 v35, v35, v37
	v_mul_f32_e32 v37, v29, v23
	v_add_f32_e32 v38, v38, v25
	v_fma_f32 v27, v28, v20, -v27
	v_fmac_f32_e32 v21, v29, v20
	v_mul_f32_e32 v20, v28, v23
	v_fma_f32 v23, v28, v22, -v37
	s_waitcnt lgkmcnt(0)
	v_mul_f32_e32 v25, v45, v17
	v_add_f32_e32 v28, v36, v27
	v_add_f32_e32 v21, v26, v21
	v_fmac_f32_e32 v20, v29, v22
	v_add_f32_e32 v22, v24, v23
	v_fma_f32 v29, v44, v16, -v25
	ds_read2_b64 v[24:27], v14 offset0:224 offset1:240
	v_mul_f32_e32 v23, v44, v17
	v_mul_f32_e32 v37, v31, v17
	;; [unrolled: 1-line block ×4, first 2 shown]
	v_add_f32_e32 v2, v2, v29
	v_fmac_f32_e32 v23, v45, v16
	v_mul_f32_e32 v29, v44, v19
	v_fmac_f32_e32 v17, v31, v16
	v_fma_f32 v36, v44, v18, -v36
	v_add_f32_e32 v20, v40, v20
	v_add_f32_e32 v23, v34, v23
	v_fma_f32 v34, v30, v16, -v37
	v_mul_f32_e32 v16, v31, v19
	v_mul_f32_e32 v19, v30, v19
	v_fmac_f32_e32 v29, v45, v18
	v_add_f32_e32 v17, v21, v17
	v_add_f32_e32 v35, v35, v36
	v_fma_f32 v16, v30, v18, -v16
	v_fmac_f32_e32 v19, v31, v18
	s_waitcnt lgkmcnt(0)
	v_mul_f32_e32 v21, v47, v25
	v_mul_f32_e32 v18, v47, v27
	v_add_f32_e32 v28, v28, v34
	v_mul_f32_e32 v30, v46, v25
	v_add_f32_e32 v16, v22, v16
	v_fma_f32 v21, v46, v24, -v21
	v_fma_f32 v18, v46, v26, -v18
	v_mul_f32_e32 v31, v46, v27
	v_add_f32_e32 v34, v20, v19
	v_mul_f32_e32 v19, v32, v25
	v_add_f32_e32 v22, v2, v21
	v_add_f32_e32 v20, v35, v18
	v_mul_f32_e32 v2, v33, v25
	v_mul_f32_e32 v18, v33, v27
	v_mul_f32_e32 v25, v32, v27
	v_add_f32_e32 v29, v38, v29
	v_fmac_f32_e32 v30, v47, v24
	v_fmac_f32_e32 v31, v47, v26
	v_fma_f32 v2, v32, v24, -v2
	v_fmac_f32_e32 v19, v33, v24
	v_fma_f32 v24, v32, v26, -v18
	v_fmac_f32_e32 v25, v33, v26
	v_add_f32_e32 v23, v23, v30
	v_add_f32_e32 v21, v29, v31
	;; [unrolled: 1-line block ×6, first 2 shown]
	s_barrier
	buffer_gl0_inv
	s_cbranch_vccz .LBB222_18
.LBB222_8:                              ; =>This Inner Loop Header: Depth=1
	s_mov_b32 s18, s15
	s_mov_b32 s16, 0
	s_and_saveexec_b32 s17, s0
	s_cbranch_execnz .LBB222_16
; %bb.9:                                ;   in Loop: Header=BB222_8 Depth=1
	s_or_b32 exec_lo, exec_lo, s17
	s_and_saveexec_b32 s17, s18
	s_xor_b32 s17, exec_lo, s17
	s_cbranch_execnz .LBB222_17
.LBB222_10:                             ;   in Loop: Header=BB222_8 Depth=1
	s_or_b32 exec_lo, exec_lo, s17
	v_mov_b32_e32 v24, 0
	s_and_saveexec_b32 s17, s16
	s_cbranch_execz .LBB222_12
.LBB222_11:                             ;   in Loop: Header=BB222_8 Depth=1
	v_lshlrev_b64 v[24:25], 3, v[4:5]
	v_add_co_u32 v24, vcc_lo, v9, v24
	v_add_co_ci_u32_e64 v25, null, v10, v25, vcc_lo
	global_load_dwordx2 v[25:26], v[24:25], off
	s_waitcnt vmcnt(0)
	v_xor_b32_e32 v24, 0x80000000, v26
	ds_write_b32 v8, v25
.LBB222_12:                             ;   in Loop: Header=BB222_8 Depth=1
	s_or_b32 exec_lo, exec_lo, s17
	v_add_nc_u32_e32 v2, s4, v6
	ds_write_b32 v8, v24 offset:4
	v_cmp_le_u64_e32 vcc_lo, s[12:13], v[2:3]
	s_or_b32 s16, vcc_lo, s1
	s_and_saveexec_b32 s17, s16
	s_xor_b32 s16, exec_lo, s17
; %bb.13:                               ;   in Loop: Header=BB222_8 Depth=1
	v_mov_b32_e32 v2, v3
	ds_write_b64 v11, v[2:3]
; %bb.14:                               ;   in Loop: Header=BB222_8 Depth=1
	s_andn2_saveexec_b32 s16, s16
	s_cbranch_execz .LBB222_7
; %bb.15:                               ;   in Loop: Header=BB222_8 Depth=1
	v_lshlrev_b64 v[24:25], 3, v[2:3]
	v_add_co_u32 v24, vcc_lo, v12, v24
	v_add_co_ci_u32_e64 v25, null, v13, v25, vcc_lo
	global_load_dwordx2 v[24:25], v[24:25], off
	s_waitcnt vmcnt(0)
	ds_write_b64 v11, v[24:25]
	s_branch .LBB222_7
.LBB222_16:                             ;   in Loop: Header=BB222_8 Depth=1
	v_add_nc_u32_e32 v2, s4, v7
	v_mov_b32_e32 v5, v3
	s_andn2_b32 s18, s15, exec_lo
	s_mov_b32 s16, exec_lo
	v_cmp_le_u64_e32 vcc_lo, s[12:13], v[2:3]
	v_mov_b32_e32 v4, v2
	s_and_b32 s19, vcc_lo, exec_lo
	s_or_b32 s18, s18, s19
	s_or_b32 exec_lo, exec_lo, s17
	s_and_saveexec_b32 s17, s18
	s_xor_b32 s17, exec_lo, s17
	s_cbranch_execz .LBB222_10
.LBB222_17:                             ;   in Loop: Header=BB222_8 Depth=1
	s_andn2_b32 s16, s16, exec_lo
	ds_write_b32 v8, v3
	s_or_b32 exec_lo, exec_lo, s17
	v_mov_b32_e32 v24, 0
	s_and_saveexec_b32 s17, s16
	s_cbranch_execnz .LBB222_11
	s_branch .LBB222_12
.LBB222_18:
	v_add_nc_u32_e32 v9, s7, v1
	s_mul_i32 s1, s43, s8
	s_mul_hi_u32 s4, s42, s8
	s_mul_i32 s0, s42, s8
	s_add_i32 s1, s4, s1
	v_ashrrev_i32_e32 v3, 31, v9
	v_mul_lo_u32 v4, s41, v9
	v_mad_u64_u32 v[1:2], null, s40, v9, 0
	v_add_nc_u32_e32 v0, s6, v0
	v_mul_lo_u32 v3, s40, v3
	v_cmp_neq_f32_e64 s6, s2, 0
	s_lshl_b64 s[4:5], s[0:1], 3
	s_waitcnt lgkmcnt(0)
	v_cmp_gt_i32_e64 s0, s9, v9
	s_add_u32 s4, s38, s4
	s_addc_u32 s5, s39, s5
	s_xor_b32 s7, s14, -1
	v_cmp_le_i32_e32 vcc_lo, v0, v9
	v_add3_u32 v2, v2, v3, v4
	s_or_b32 s6, s6, s7
	v_cndmask_b32_e64 v8, 0, 1, s6
	s_and_b32 s7, s0, vcc_lo
	v_lshlrev_b64 v[2:3], 3, v[1:2]
	v_ashrrev_i32_e32 v1, 31, v0
	v_add_co_u32 v6, s1, s4, v2
	v_add_co_ci_u32_e64 v7, null, s5, v3, s1
	s_and_saveexec_b32 s1, s7
	s_cbranch_execz .LBB222_22
; %bb.19:
	v_lshlrev_b64 v[4:5], 3, v[0:1]
	v_mul_f32_e32 v2, s11, v23
	v_mul_f32_e32 v3, s10, v23
	v_fma_f32 v2, v22, s10, -v2
	v_add_co_u32 v4, vcc_lo, v6, v4
	v_fmac_f32_e32 v3, s11, v22
	v_add_co_ci_u32_e64 v5, null, v7, v5, vcc_lo
	s_andn2_b32 vcc_lo, exec_lo, s6
	s_cbranch_vccnz .LBB222_21
; %bb.20:
	global_load_dwordx2 v[10:11], v[4:5], off
	s_waitcnt vmcnt(0)
	v_mul_f32_e32 v12, s3, v11
	v_mul_f32_e32 v11, s2, v11
	v_fma_f32 v12, v10, s2, -v12
	v_fmac_f32_e32 v11, s3, v10
	v_add_f32_e32 v2, v2, v12
	v_add_f32_e32 v3, v3, v11
.LBB222_21:
	global_store_dwordx2 v[4:5], v[2:3], off
.LBB222_22:
	s_or_b32 exec_lo, exec_lo, s1
	v_add_nc_u32_e32 v2, 16, v0
	v_cmp_le_i32_e32 vcc_lo, v2, v9
	v_ashrrev_i32_e32 v3, 31, v2
	s_and_b32 s0, s0, vcc_lo
	s_and_saveexec_b32 s1, s0
	s_cbranch_execz .LBB222_26
; %bb.23:
	v_lshlrev_b64 v[10:11], 3, v[2:3]
	v_mul_f32_e32 v4, s11, v21
	v_mul_f32_e32 v5, s10, v21
	v_cmp_ne_u32_e32 vcc_lo, 1, v8
	v_fma_f32 v4, v20, s10, -v4
	v_add_co_u32 v6, s0, v6, v10
	v_fmac_f32_e32 v5, s11, v20
	v_add_co_ci_u32_e64 v7, null, v7, v11, s0
	s_cbranch_vccnz .LBB222_25
; %bb.24:
	global_load_dwordx2 v[10:11], v[6:7], off
	s_waitcnt vmcnt(0)
	v_mul_f32_e32 v12, s3, v11
	v_mul_f32_e32 v11, s2, v11
	v_fma_f32 v12, v10, s2, -v12
	v_fmac_f32_e32 v11, s3, v10
	v_add_f32_e32 v4, v4, v12
	v_add_f32_e32 v5, v5, v11
.LBB222_25:
	global_store_dwordx2 v[6:7], v[4:5], off
.LBB222_26:
	s_or_b32 exec_lo, exec_lo, s1
	v_add_nc_u32_e32 v9, 16, v9
	v_ashrrev_i32_e32 v6, 31, v9
	v_mul_lo_u32 v7, s41, v9
	v_mad_u64_u32 v[4:5], null, s40, v9, 0
	v_cmp_gt_i32_e64 s0, s9, v9
	v_mul_lo_u32 v6, s40, v6
	v_cmp_le_i32_e32 vcc_lo, v0, v9
	v_add3_u32 v5, v5, v6, v7
	v_lshlrev_b64 v[4:5], 3, v[4:5]
	v_add_co_u32 v6, s1, s4, v4
	v_add_co_ci_u32_e64 v7, null, s5, v5, s1
	s_and_b32 s1, s0, vcc_lo
	s_and_saveexec_b32 s4, s1
	s_cbranch_execz .LBB222_30
; %bb.27:
	v_lshlrev_b64 v[0:1], 3, v[0:1]
	v_mul_f32_e32 v4, s11, v19
	v_mul_f32_e32 v5, s10, v19
	v_cmp_ne_u32_e32 vcc_lo, 1, v8
	v_fma_f32 v4, v18, s10, -v4
	v_add_co_u32 v0, s1, v6, v0
	v_fmac_f32_e32 v5, s11, v18
	v_add_co_ci_u32_e64 v1, null, v7, v1, s1
	s_cbranch_vccnz .LBB222_29
; %bb.28:
	global_load_dwordx2 v[10:11], v[0:1], off
	s_waitcnt vmcnt(0)
	v_mul_f32_e32 v12, s3, v11
	v_mul_f32_e32 v11, s2, v11
	v_fma_f32 v12, v10, s2, -v12
	v_fmac_f32_e32 v11, s3, v10
	v_add_f32_e32 v4, v4, v12
	v_add_f32_e32 v5, v5, v11
.LBB222_29:
	global_store_dwordx2 v[0:1], v[4:5], off
.LBB222_30:
	s_or_b32 exec_lo, exec_lo, s4
	v_cmp_le_i32_e32 vcc_lo, v2, v9
	s_and_b32 s0, s0, vcc_lo
	s_and_saveexec_b32 s1, s0
	s_cbranch_execz .LBB222_34
; %bb.31:
	v_lshlrev_b64 v[2:3], 3, v[2:3]
	v_mul_f32_e32 v0, s11, v17
	v_mul_f32_e32 v1, s10, v17
	v_cmp_ne_u32_e32 vcc_lo, 1, v8
	v_fma_f32 v0, v16, s10, -v0
	v_add_co_u32 v2, s0, v6, v2
	v_fmac_f32_e32 v1, s11, v16
	v_add_co_ci_u32_e64 v3, null, v7, v3, s0
	s_cbranch_vccnz .LBB222_33
; %bb.32:
	global_load_dwordx2 v[4:5], v[2:3], off
	s_waitcnt vmcnt(0)
	v_mul_f32_e32 v6, s3, v5
	v_mul_f32_e32 v5, s2, v5
	v_fma_f32 v6, v4, s2, -v6
	v_fmac_f32_e32 v5, s3, v4
	v_add_f32_e32 v0, v0, v6
	v_add_f32_e32 v1, v1, v5
.LBB222_33:
	global_store_dwordx2 v[2:3], v[0:1], off
.LBB222_34:
	s_endpgm
	.section	.rodata,"a",@progbits
	.p2align	6, 0x0
	.amdhsa_kernel _ZL29rocblas_internal_gemmt_kernelIlLi16ELi32ELi8ELc67ELc78ELc85ELb1ELb0E19rocblas_complex_numIfEPKS1_S3_PS1_EviT_T9_T10_S5_lS7_S5_lS6_T11_S5_li
		.amdhsa_group_segment_fixed_size 4096
		.amdhsa_private_segment_fixed_size 0
		.amdhsa_kernarg_size 108
		.amdhsa_user_sgpr_count 6
		.amdhsa_user_sgpr_private_segment_buffer 1
		.amdhsa_user_sgpr_dispatch_ptr 0
		.amdhsa_user_sgpr_queue_ptr 0
		.amdhsa_user_sgpr_kernarg_segment_ptr 1
		.amdhsa_user_sgpr_dispatch_id 0
		.amdhsa_user_sgpr_flat_scratch_init 0
		.amdhsa_user_sgpr_private_segment_size 0
		.amdhsa_wavefront_size32 1
		.amdhsa_uses_dynamic_stack 0
		.amdhsa_system_sgpr_private_segment_wavefront_offset 0
		.amdhsa_system_sgpr_workgroup_id_x 1
		.amdhsa_system_sgpr_workgroup_id_y 1
		.amdhsa_system_sgpr_workgroup_id_z 1
		.amdhsa_system_sgpr_workgroup_info 0
		.amdhsa_system_vgpr_workitem_id 1
		.amdhsa_next_free_vgpr 61
		.amdhsa_next_free_sgpr 44
		.amdhsa_reserve_vcc 1
		.amdhsa_reserve_flat_scratch 0
		.amdhsa_float_round_mode_32 0
		.amdhsa_float_round_mode_16_64 0
		.amdhsa_float_denorm_mode_32 3
		.amdhsa_float_denorm_mode_16_64 3
		.amdhsa_dx10_clamp 1
		.amdhsa_ieee_mode 1
		.amdhsa_fp16_overflow 0
		.amdhsa_workgroup_processor_mode 1
		.amdhsa_memory_ordered 1
		.amdhsa_forward_progress 1
		.amdhsa_shared_vgpr_count 0
		.amdhsa_exception_fp_ieee_invalid_op 0
		.amdhsa_exception_fp_denorm_src 0
		.amdhsa_exception_fp_ieee_div_zero 0
		.amdhsa_exception_fp_ieee_overflow 0
		.amdhsa_exception_fp_ieee_underflow 0
		.amdhsa_exception_fp_ieee_inexact 0
		.amdhsa_exception_int_div_zero 0
	.end_amdhsa_kernel
	.section	.text._ZL29rocblas_internal_gemmt_kernelIlLi16ELi32ELi8ELc67ELc78ELc85ELb1ELb0E19rocblas_complex_numIfEPKS1_S3_PS1_EviT_T9_T10_S5_lS7_S5_lS6_T11_S5_li,"axG",@progbits,_ZL29rocblas_internal_gemmt_kernelIlLi16ELi32ELi8ELc67ELc78ELc85ELb1ELb0E19rocblas_complex_numIfEPKS1_S3_PS1_EviT_T9_T10_S5_lS7_S5_lS6_T11_S5_li,comdat
.Lfunc_end222:
	.size	_ZL29rocblas_internal_gemmt_kernelIlLi16ELi32ELi8ELc67ELc78ELc85ELb1ELb0E19rocblas_complex_numIfEPKS1_S3_PS1_EviT_T9_T10_S5_lS7_S5_lS6_T11_S5_li, .Lfunc_end222-_ZL29rocblas_internal_gemmt_kernelIlLi16ELi32ELi8ELc67ELc78ELc85ELb1ELb0E19rocblas_complex_numIfEPKS1_S3_PS1_EviT_T9_T10_S5_lS7_S5_lS6_T11_S5_li
                                        ; -- End function
	.set _ZL29rocblas_internal_gemmt_kernelIlLi16ELi32ELi8ELc67ELc78ELc85ELb1ELb0E19rocblas_complex_numIfEPKS1_S3_PS1_EviT_T9_T10_S5_lS7_S5_lS6_T11_S5_li.num_vgpr, 61
	.set _ZL29rocblas_internal_gemmt_kernelIlLi16ELi32ELi8ELc67ELc78ELc85ELb1ELb0E19rocblas_complex_numIfEPKS1_S3_PS1_EviT_T9_T10_S5_lS7_S5_lS6_T11_S5_li.num_agpr, 0
	.set _ZL29rocblas_internal_gemmt_kernelIlLi16ELi32ELi8ELc67ELc78ELc85ELb1ELb0E19rocblas_complex_numIfEPKS1_S3_PS1_EviT_T9_T10_S5_lS7_S5_lS6_T11_S5_li.numbered_sgpr, 44
	.set _ZL29rocblas_internal_gemmt_kernelIlLi16ELi32ELi8ELc67ELc78ELc85ELb1ELb0E19rocblas_complex_numIfEPKS1_S3_PS1_EviT_T9_T10_S5_lS7_S5_lS6_T11_S5_li.num_named_barrier, 0
	.set _ZL29rocblas_internal_gemmt_kernelIlLi16ELi32ELi8ELc67ELc78ELc85ELb1ELb0E19rocblas_complex_numIfEPKS1_S3_PS1_EviT_T9_T10_S5_lS7_S5_lS6_T11_S5_li.private_seg_size, 0
	.set _ZL29rocblas_internal_gemmt_kernelIlLi16ELi32ELi8ELc67ELc78ELc85ELb1ELb0E19rocblas_complex_numIfEPKS1_S3_PS1_EviT_T9_T10_S5_lS7_S5_lS6_T11_S5_li.uses_vcc, 1
	.set _ZL29rocblas_internal_gemmt_kernelIlLi16ELi32ELi8ELc67ELc78ELc85ELb1ELb0E19rocblas_complex_numIfEPKS1_S3_PS1_EviT_T9_T10_S5_lS7_S5_lS6_T11_S5_li.uses_flat_scratch, 0
	.set _ZL29rocblas_internal_gemmt_kernelIlLi16ELi32ELi8ELc67ELc78ELc85ELb1ELb0E19rocblas_complex_numIfEPKS1_S3_PS1_EviT_T9_T10_S5_lS7_S5_lS6_T11_S5_li.has_dyn_sized_stack, 0
	.set _ZL29rocblas_internal_gemmt_kernelIlLi16ELi32ELi8ELc67ELc78ELc85ELb1ELb0E19rocblas_complex_numIfEPKS1_S3_PS1_EviT_T9_T10_S5_lS7_S5_lS6_T11_S5_li.has_recursion, 0
	.set _ZL29rocblas_internal_gemmt_kernelIlLi16ELi32ELi8ELc67ELc78ELc85ELb1ELb0E19rocblas_complex_numIfEPKS1_S3_PS1_EviT_T9_T10_S5_lS7_S5_lS6_T11_S5_li.has_indirect_call, 0
	.section	.AMDGPU.csdata,"",@progbits
; Kernel info:
; codeLenInByte = 2636
; TotalNumSgprs: 46
; NumVgprs: 61
; ScratchSize: 0
; MemoryBound: 0
; FloatMode: 240
; IeeeMode: 1
; LDSByteSize: 4096 bytes/workgroup (compile time only)
; SGPRBlocks: 0
; VGPRBlocks: 7
; NumSGPRsForWavesPerEU: 46
; NumVGPRsForWavesPerEU: 61
; Occupancy: 16
; WaveLimiterHint : 0
; COMPUTE_PGM_RSRC2:SCRATCH_EN: 0
; COMPUTE_PGM_RSRC2:USER_SGPR: 6
; COMPUTE_PGM_RSRC2:TRAP_HANDLER: 0
; COMPUTE_PGM_RSRC2:TGID_X_EN: 1
; COMPUTE_PGM_RSRC2:TGID_Y_EN: 1
; COMPUTE_PGM_RSRC2:TGID_Z_EN: 1
; COMPUTE_PGM_RSRC2:TIDIG_COMP_CNT: 1
	.section	.text._ZL29rocblas_internal_gemmt_kernelIlLi16ELi32ELi8ELc67ELc84ELc85ELb1ELb0E19rocblas_complex_numIfEPKS1_S3_PS1_EviT_T9_T10_S5_lS7_S5_lS6_T11_S5_li,"axG",@progbits,_ZL29rocblas_internal_gemmt_kernelIlLi16ELi32ELi8ELc67ELc84ELc85ELb1ELb0E19rocblas_complex_numIfEPKS1_S3_PS1_EviT_T9_T10_S5_lS7_S5_lS6_T11_S5_li,comdat
	.globl	_ZL29rocblas_internal_gemmt_kernelIlLi16ELi32ELi8ELc67ELc84ELc85ELb1ELb0E19rocblas_complex_numIfEPKS1_S3_PS1_EviT_T9_T10_S5_lS7_S5_lS6_T11_S5_li ; -- Begin function _ZL29rocblas_internal_gemmt_kernelIlLi16ELi32ELi8ELc67ELc84ELc85ELb1ELb0E19rocblas_complex_numIfEPKS1_S3_PS1_EviT_T9_T10_S5_lS7_S5_lS6_T11_S5_li
	.p2align	8
	.type	_ZL29rocblas_internal_gemmt_kernelIlLi16ELi32ELi8ELc67ELc84ELc85ELb1ELb0E19rocblas_complex_numIfEPKS1_S3_PS1_EviT_T9_T10_S5_lS7_S5_lS6_T11_S5_li,@function
_ZL29rocblas_internal_gemmt_kernelIlLi16ELi32ELi8ELc67ELc84ELc85ELb1ELb0E19rocblas_complex_numIfEPKS1_S3_PS1_EviT_T9_T10_S5_lS7_S5_lS6_T11_S5_li: ; @_ZL29rocblas_internal_gemmt_kernelIlLi16ELi32ELi8ELc67ELc84ELc85ELb1ELb0E19rocblas_complex_numIfEPKS1_S3_PS1_EviT_T9_T10_S5_lS7_S5_lS6_T11_S5_li
; %bb.0:
	s_clause 0x1
	s_load_dwordx8 s[36:43], s[4:5], 0x48
	s_load_dwordx16 s[12:27], s[4:5], 0x8
	s_waitcnt lgkmcnt(0)
	s_load_dwordx2 s[2:3], s[36:37], 0x0
	s_load_dwordx2 s[10:11], s[14:15], 0x0
	s_waitcnt lgkmcnt(0)
	s_and_b32 s0, s3, 0x7fffffff
	v_cmp_eq_f32_e64 s1, s2, 1.0
	s_cmp_eq_u32 s0, 0
	s_mov_b32 s0, 0
	s_cselect_b32 s14, -1, 0
	s_and_b32 s1, s1, s14
	s_andn2_b32 vcc_lo, exec_lo, s1
	s_mov_b32 s1, -1
	s_cbranch_vccnz .LBB223_4
; %bb.1:
	s_cmp_lg_u64 s[12:13], 0
	s_cbranch_scc0 .LBB223_3
; %bb.2:
	v_cmp_neq_f32_e64 s0, s10, 0
	v_cmp_neq_f32_e64 s1, s11, 0
	s_or_b32 s0, s0, s1
.LBB223_3:
	s_mov_b32 s1, s0
.LBB223_4:
	s_and_b32 vcc_lo, exec_lo, s1
	s_cbranch_vccz .LBB223_34
; %bb.5:
	s_load_dword s9, s[4:5], 0x0
	v_cmp_eq_f32_e64 s0, s10, 0
	v_cmp_eq_f32_e64 s1, s11, 0
	v_cmp_lt_i64_e64 s4, s[12:13], 1
	v_mov_b32_e32 v22, 0
	v_mov_b32_e32 v23, 0
	;; [unrolled: 1-line block ×3, first 2 shown]
	s_and_b32 s0, s0, s1
	v_mov_b32_e32 v21, 0
	v_mov_b32_e32 v18, 0
	;; [unrolled: 1-line block ×5, first 2 shown]
	s_or_b32 s0, s0, s4
	s_lshl_b32 s6, s6, 5
	s_and_b32 vcc_lo, exec_lo, s0
	s_lshl_b32 s7, s7, 5
	s_cbranch_vccnz .LBB223_18
; %bb.6:
	v_lshl_add_u32 v4, v1, 4, v0
	s_mul_i32 s1, s27, s8
	s_mul_hi_u32 s4, s26, s8
	s_mul_i32 s0, s26, s8
	s_add_i32 s1, s4, s1
	v_and_b32_e32 v5, 31, v4
	s_lshl_b64 s[0:1], s[0:1], 3
	s_mul_i32 s4, s21, s8
	s_mul_hi_u32 s5, s20, s8
	s_add_u32 s21, s22, s0
	v_or_b32_e32 v8, s6, v5
	s_addc_u32 s22, s23, s1
	s_add_i32 s1, s5, s4
	s_mul_i32 s0, s20, s8
	v_lshrrev_b32_e32 v10, 3, v4
	v_mul_lo_u32 v9, s19, v8
	v_mad_u64_u32 v[2:3], null, s18, v8, 0
	s_lshl_b64 s[0:1], s[0:1], 3
	v_lshrrev_b32_e32 v7, 5, v4
	s_add_u32 s4, s16, s0
	s_addc_u32 s1, s17, s1
	s_ashr_i32 s0, s6, 31
	v_add_nc_u32_e32 v4, s7, v10
	s_mul_i32 s0, s18, s0
	v_and_b32_e32 v6, 7, v0
	v_add3_u32 v3, v3, s0, v9
	v_lshlrev_b32_e32 v9, 3, v5
	v_ashrrev_i32_e32 v5, 31, v4
	s_waitcnt lgkmcnt(0)
	v_cmp_gt_i32_e64 s0, s9, v8
	v_lshlrev_b32_e32 v11, 3, v6
	v_lshlrev_b64 v[2:3], 3, v[2:3]
	v_cmp_le_i32_e64 s15, s9, v8
	v_lshlrev_b64 v[12:13], 3, v[4:5]
	v_lshl_or_b32 v8, v7, 8, v9
	v_lshl_or_b32 v11, v10, 6, v11
	v_lshlrev_b32_e32 v14, 3, v0
	v_add_co_u32 v9, vcc_lo, s4, v2
	v_add_co_ci_u32_e64 v10, null, s1, v3, vcc_lo
	v_cmp_gt_i32_e32 vcc_lo, s9, v4
	v_add_co_u32 v12, s1, s21, v12
	v_add_nc_u32_e32 v11, 0x800, v11
	v_add_co_ci_u32_e64 v13, null, s22, v13, s1
	v_lshl_add_u32 v15, v1, 6, 0x800
	v_mov_b32_e32 v3, 0
	v_mov_b32_e32 v17, 0
	;; [unrolled: 1-line block ×9, first 2 shown]
	s_mov_b64 s[4:5], 0
	s_xor_b32 s1, vcc_lo, -1
                                        ; implicit-def: $vgpr4_vgpr5
	s_branch .LBB223_8
.LBB223_7:                              ;   in Loop: Header=BB223_8 Depth=1
	s_or_b32 exec_lo, exec_lo, s16
	s_waitcnt lgkmcnt(0)
	s_barrier
	buffer_gl0_inv
	ds_read_b128 v[24:27], v15
	ds_read2_b64 v[28:31], v14 offset1:16
	ds_read_b128 v[32:35], v15 offset:1024
	ds_read_b128 v[36:39], v15 offset:16
	;; [unrolled: 1-line block ×4, first 2 shown]
	ds_read2_b64 v[48:51], v14 offset0:32 offset1:48
	ds_read_b128 v[52:55], v15 offset:1040
	s_add_u32 s4, s4, 8
	s_addc_u32 s5, s5, 0
	v_cmp_gt_i64_e64 s16, s[12:13], s[4:5]
	s_and_b32 vcc_lo, exec_lo, s16
	s_waitcnt lgkmcnt(6)
	v_mul_f32_e32 v2, v25, v29
	v_mul_f32_e32 v56, v24, v29
	;; [unrolled: 1-line block ×4, first 2 shown]
	s_waitcnt lgkmcnt(5)
	v_mul_f32_e32 v59, v33, v29
	v_mul_f32_e32 v29, v32, v29
	;; [unrolled: 1-line block ×3, first 2 shown]
	v_fma_f32 v2, v24, v28, -v2
	v_fmac_f32_e32 v56, v25, v28
	v_fma_f32 v24, v24, v30, -v57
	v_fmac_f32_e32 v58, v25, v30
	;; [unrolled: 2-line block ×3, first 2 shown]
	v_mul_f32_e32 v31, v32, v31
	v_fma_f32 v28, v32, v30, -v60
	v_add_f32_e32 v2, v22, v2
	v_add_f32_e32 v22, v23, v56
	;; [unrolled: 1-line block ×6, first 2 shown]
	s_waitcnt lgkmcnt(1)
	v_mul_f32_e32 v32, v27, v49
	ds_read2_b64 v[18:21], v14 offset0:64 offset1:80
	v_fmac_f32_e32 v31, v33, v30
	v_add_f32_e32 v16, v16, v28
	v_mul_f32_e32 v28, v26, v49
	v_fma_f32 v30, v26, v48, -v32
	v_mul_f32_e32 v32, v27, v51
	v_add_f32_e32 v17, v17, v31
	v_mul_f32_e32 v31, v26, v51
	v_fmac_f32_e32 v28, v27, v48
	v_add_f32_e32 v2, v2, v30
	v_fma_f32 v26, v26, v50, -v32
	v_mul_f32_e32 v30, v35, v49
	v_fmac_f32_e32 v31, v27, v50
	v_add_f32_e32 v28, v22, v28
	v_mul_f32_e32 v22, v34, v49
	v_add_f32_e32 v26, v23, v26
	v_fma_f32 v23, v34, v48, -v30
	v_mul_f32_e32 v27, v35, v51
	v_add_f32_e32 v30, v24, v31
	v_fmac_f32_e32 v22, v35, v48
	v_mul_f32_e32 v31, v34, v51
	v_add_f32_e32 v32, v25, v23
	v_fma_f32 v23, v34, v50, -v27
	s_waitcnt lgkmcnt(0)
	v_mul_f32_e32 v24, v37, v19
	v_add_f32_e32 v27, v29, v22
	v_fmac_f32_e32 v31, v35, v50
	v_mul_f32_e32 v29, v36, v19
	v_add_f32_e32 v16, v16, v23
	v_fma_f32 v33, v36, v18, -v24
	v_mul_f32_e32 v34, v37, v21
	ds_read2_b64 v[22:25], v14 offset0:96 offset1:112
	v_fmac_f32_e32 v29, v37, v18
	v_add_f32_e32 v31, v17, v31
	v_add_f32_e32 v2, v2, v33
	v_mul_f32_e32 v17, v36, v21
	v_fma_f32 v33, v36, v20, -v34
	v_add_f32_e32 v28, v28, v29
	v_mul_f32_e32 v29, v53, v19
	v_mul_f32_e32 v19, v52, v19
	v_fmac_f32_e32 v17, v37, v20
	v_add_f32_e32 v26, v26, v33
	v_mul_f32_e32 v33, v53, v21
	v_mul_f32_e32 v21, v52, v21
	v_fmac_f32_e32 v19, v53, v18
	v_add_f32_e32 v30, v30, v17
	v_fma_f32 v29, v52, v18, -v29
	v_fma_f32 v17, v52, v20, -v33
	v_fmac_f32_e32 v21, v53, v20
	v_add_f32_e32 v33, v27, v19
	s_waitcnt lgkmcnt(0)
	v_mul_f32_e32 v20, v39, v23
	v_add_f32_e32 v34, v16, v17
	ds_read2_b64 v[16:19], v14 offset0:128 offset1:144
	v_add_f32_e32 v32, v32, v29
	v_mul_f32_e32 v27, v38, v23
	v_mul_f32_e32 v29, v39, v25
	v_fma_f32 v20, v38, v22, -v20
	v_add_f32_e32 v31, v31, v21
	v_mul_f32_e32 v21, v38, v25
	v_fmac_f32_e32 v27, v39, v22
	v_fma_f32 v29, v38, v24, -v29
	v_add_f32_e32 v2, v2, v20
	v_mul_f32_e32 v20, v55, v23
	v_fmac_f32_e32 v21, v39, v24
	v_add_f32_e32 v35, v28, v27
	v_add_f32_e32 v36, v26, v29
	v_mul_f32_e32 v23, v54, v23
	v_fma_f32 v20, v54, v22, -v20
	v_mul_f32_e32 v37, v55, v25
	ds_read_b128 v[26:29], v15 offset:1056
	v_add_f32_e32 v38, v30, v21
	v_fmac_f32_e32 v23, v55, v22
	v_mul_f32_e32 v25, v54, v25
	v_fma_f32 v21, v54, v24, -v37
	v_add_f32_e32 v37, v32, v20
	s_waitcnt lgkmcnt(1)
	v_mul_f32_e32 v20, v41, v17
	v_add_f32_e32 v39, v33, v23
	v_fmac_f32_e32 v25, v55, v24
	v_add_f32_e32 v24, v34, v21
	v_mul_f32_e32 v32, v41, v19
	v_fma_f32 v30, v40, v16, -v20
	ds_read2_b64 v[20:23], v14 offset0:160 offset1:176
	v_mul_f32_e32 v34, v40, v17
	v_add_f32_e32 v25, v31, v25
	v_fma_f32 v48, v40, v18, -v32
	v_mul_f32_e32 v40, v40, v19
	v_add_f32_e32 v2, v2, v30
	v_fmac_f32_e32 v34, v41, v16
	ds_read_b128 v[30:33], v15 offset:1072
	s_waitcnt lgkmcnt(2)
	v_mul_f32_e32 v49, v27, v17
	v_mul_f32_e32 v17, v26, v17
	v_fmac_f32_e32 v40, v41, v18
	v_mul_f32_e32 v41, v27, v19
	v_add_f32_e32 v34, v35, v34
	v_add_f32_e32 v35, v36, v48
	v_fma_f32 v36, v26, v16, -v49
	v_fmac_f32_e32 v17, v27, v16
	v_add_f32_e32 v38, v38, v40
	v_mul_f32_e32 v40, v26, v19
	v_fma_f32 v16, v26, v18, -v41
	v_add_f32_e32 v36, v37, v36
	v_add_f32_e32 v26, v39, v17
	s_waitcnt lgkmcnt(1)
	v_mul_f32_e32 v37, v43, v21
	v_fmac_f32_e32 v40, v27, v18
	v_add_f32_e32 v24, v24, v16
	ds_read2_b64 v[16:19], v14 offset0:192 offset1:208
	v_mul_f32_e32 v27, v42, v21
	v_fma_f32 v37, v42, v20, -v37
	v_mul_f32_e32 v39, v43, v23
	v_add_f32_e32 v40, v25, v40
	v_mul_f32_e32 v25, v42, v23
	v_fmac_f32_e32 v27, v43, v20
	v_add_f32_e32 v2, v2, v37
	v_fma_f32 v37, v42, v22, -v39
	v_fmac_f32_e32 v25, v43, v22
	v_add_f32_e32 v34, v34, v27
	v_mul_f32_e32 v27, v29, v21
	v_mul_f32_e32 v21, v28, v21
	v_add_f32_e32 v35, v35, v37
	v_mul_f32_e32 v37, v29, v23
	v_add_f32_e32 v38, v38, v25
	v_fma_f32 v27, v28, v20, -v27
	v_fmac_f32_e32 v21, v29, v20
	v_mul_f32_e32 v20, v28, v23
	v_fma_f32 v23, v28, v22, -v37
	s_waitcnt lgkmcnt(0)
	v_mul_f32_e32 v25, v45, v17
	v_add_f32_e32 v28, v36, v27
	v_add_f32_e32 v21, v26, v21
	v_fmac_f32_e32 v20, v29, v22
	v_add_f32_e32 v22, v24, v23
	v_fma_f32 v29, v44, v16, -v25
	ds_read2_b64 v[24:27], v14 offset0:224 offset1:240
	v_mul_f32_e32 v23, v44, v17
	v_mul_f32_e32 v37, v31, v17
	;; [unrolled: 1-line block ×4, first 2 shown]
	v_add_f32_e32 v2, v2, v29
	v_fmac_f32_e32 v23, v45, v16
	v_mul_f32_e32 v29, v44, v19
	v_fmac_f32_e32 v17, v31, v16
	v_fma_f32 v36, v44, v18, -v36
	v_add_f32_e32 v20, v40, v20
	v_add_f32_e32 v23, v34, v23
	v_fma_f32 v34, v30, v16, -v37
	v_mul_f32_e32 v16, v31, v19
	v_mul_f32_e32 v19, v30, v19
	v_fmac_f32_e32 v29, v45, v18
	v_add_f32_e32 v17, v21, v17
	v_add_f32_e32 v35, v35, v36
	v_fma_f32 v16, v30, v18, -v16
	v_fmac_f32_e32 v19, v31, v18
	s_waitcnt lgkmcnt(0)
	v_mul_f32_e32 v21, v47, v25
	v_mul_f32_e32 v18, v47, v27
	v_add_f32_e32 v28, v28, v34
	v_mul_f32_e32 v30, v46, v25
	v_add_f32_e32 v16, v22, v16
	v_fma_f32 v21, v46, v24, -v21
	v_fma_f32 v18, v46, v26, -v18
	v_mul_f32_e32 v31, v46, v27
	v_add_f32_e32 v34, v20, v19
	v_mul_f32_e32 v19, v32, v25
	v_add_f32_e32 v22, v2, v21
	v_add_f32_e32 v20, v35, v18
	v_mul_f32_e32 v2, v33, v25
	v_mul_f32_e32 v18, v33, v27
	;; [unrolled: 1-line block ×3, first 2 shown]
	v_add_f32_e32 v29, v38, v29
	v_fmac_f32_e32 v30, v47, v24
	v_fmac_f32_e32 v31, v47, v26
	v_fma_f32 v2, v32, v24, -v2
	v_fmac_f32_e32 v19, v33, v24
	v_fma_f32 v24, v32, v26, -v18
	v_fmac_f32_e32 v25, v33, v26
	v_add_f32_e32 v23, v23, v30
	v_add_f32_e32 v21, v29, v31
	;; [unrolled: 1-line block ×6, first 2 shown]
	s_barrier
	buffer_gl0_inv
	s_cbranch_vccz .LBB223_18
.LBB223_8:                              ; =>This Inner Loop Header: Depth=1
	s_mov_b32 s18, s15
	s_mov_b32 s16, 0
	s_and_saveexec_b32 s17, s0
	s_cbranch_execnz .LBB223_16
; %bb.9:                                ;   in Loop: Header=BB223_8 Depth=1
	s_or_b32 exec_lo, exec_lo, s17
	s_and_saveexec_b32 s17, s18
	s_xor_b32 s17, exec_lo, s17
	s_cbranch_execnz .LBB223_17
.LBB223_10:                             ;   in Loop: Header=BB223_8 Depth=1
	s_or_b32 exec_lo, exec_lo, s17
	v_mov_b32_e32 v24, 0
	s_and_saveexec_b32 s17, s16
	s_cbranch_execz .LBB223_12
.LBB223_11:                             ;   in Loop: Header=BB223_8 Depth=1
	v_lshlrev_b64 v[24:25], 3, v[4:5]
	v_add_co_u32 v24, vcc_lo, v9, v24
	v_add_co_ci_u32_e64 v25, null, v10, v25, vcc_lo
	global_load_dwordx2 v[25:26], v[24:25], off
	s_waitcnt vmcnt(0)
	v_xor_b32_e32 v24, 0x80000000, v26
	ds_write_b32 v8, v25
.LBB223_12:                             ;   in Loop: Header=BB223_8 Depth=1
	s_or_b32 exec_lo, exec_lo, s17
	v_add_nc_u32_e32 v2, s4, v6
	ds_write_b32 v8, v24 offset:4
	v_cmp_le_u64_e32 vcc_lo, s[12:13], v[2:3]
	s_or_b32 s16, vcc_lo, s1
	s_and_saveexec_b32 s17, s16
	s_xor_b32 s16, exec_lo, s17
; %bb.13:                               ;   in Loop: Header=BB223_8 Depth=1
	v_mov_b32_e32 v2, v3
	ds_write_b64 v11, v[2:3]
; %bb.14:                               ;   in Loop: Header=BB223_8 Depth=1
	s_andn2_saveexec_b32 s16, s16
	s_cbranch_execz .LBB223_7
; %bb.15:                               ;   in Loop: Header=BB223_8 Depth=1
	v_mad_u64_u32 v[24:25], null, s24, v2, 0
	v_mad_u64_u32 v[25:26], null, s25, v2, v[25:26]
	v_lshlrev_b64 v[24:25], 3, v[24:25]
	v_add_co_u32 v24, vcc_lo, v12, v24
	v_add_co_ci_u32_e64 v25, null, v13, v25, vcc_lo
	global_load_dwordx2 v[24:25], v[24:25], off
	s_waitcnt vmcnt(0)
	ds_write_b64 v11, v[24:25]
	s_branch .LBB223_7
.LBB223_16:                             ;   in Loop: Header=BB223_8 Depth=1
	v_add_nc_u32_e32 v2, s4, v7
	v_mov_b32_e32 v5, v3
	s_andn2_b32 s18, s15, exec_lo
	s_mov_b32 s16, exec_lo
	v_cmp_le_u64_e32 vcc_lo, s[12:13], v[2:3]
	v_mov_b32_e32 v4, v2
	s_and_b32 s19, vcc_lo, exec_lo
	s_or_b32 s18, s18, s19
	s_or_b32 exec_lo, exec_lo, s17
	s_and_saveexec_b32 s17, s18
	s_xor_b32 s17, exec_lo, s17
	s_cbranch_execz .LBB223_10
.LBB223_17:                             ;   in Loop: Header=BB223_8 Depth=1
	s_andn2_b32 s16, s16, exec_lo
	ds_write_b32 v8, v3
	s_or_b32 exec_lo, exec_lo, s17
	v_mov_b32_e32 v24, 0
	s_and_saveexec_b32 s17, s16
	s_cbranch_execnz .LBB223_11
	s_branch .LBB223_12
.LBB223_18:
	v_add_nc_u32_e32 v9, s7, v1
	s_mul_i32 s1, s43, s8
	s_mul_hi_u32 s4, s42, s8
	s_mul_i32 s0, s42, s8
	s_add_i32 s1, s4, s1
	v_ashrrev_i32_e32 v3, 31, v9
	v_mul_lo_u32 v4, s41, v9
	v_mad_u64_u32 v[1:2], null, s40, v9, 0
	v_add_nc_u32_e32 v0, s6, v0
	v_mul_lo_u32 v3, s40, v3
	v_cmp_neq_f32_e64 s6, s2, 0
	s_lshl_b64 s[4:5], s[0:1], 3
	s_waitcnt lgkmcnt(0)
	v_cmp_gt_i32_e64 s0, s9, v9
	s_add_u32 s4, s38, s4
	s_addc_u32 s5, s39, s5
	s_xor_b32 s7, s14, -1
	v_cmp_le_i32_e32 vcc_lo, v0, v9
	v_add3_u32 v2, v2, v3, v4
	s_or_b32 s6, s6, s7
	v_cndmask_b32_e64 v8, 0, 1, s6
	s_and_b32 s7, s0, vcc_lo
	v_lshlrev_b64 v[2:3], 3, v[1:2]
	v_ashrrev_i32_e32 v1, 31, v0
	v_add_co_u32 v6, s1, s4, v2
	v_add_co_ci_u32_e64 v7, null, s5, v3, s1
	s_and_saveexec_b32 s1, s7
	s_cbranch_execz .LBB223_22
; %bb.19:
	v_lshlrev_b64 v[4:5], 3, v[0:1]
	v_mul_f32_e32 v2, s11, v23
	v_mul_f32_e32 v3, s10, v23
	v_fma_f32 v2, v22, s10, -v2
	v_add_co_u32 v4, vcc_lo, v6, v4
	v_fmac_f32_e32 v3, s11, v22
	v_add_co_ci_u32_e64 v5, null, v7, v5, vcc_lo
	s_andn2_b32 vcc_lo, exec_lo, s6
	s_cbranch_vccnz .LBB223_21
; %bb.20:
	global_load_dwordx2 v[10:11], v[4:5], off
	s_waitcnt vmcnt(0)
	v_mul_f32_e32 v12, s3, v11
	v_mul_f32_e32 v11, s2, v11
	v_fma_f32 v12, v10, s2, -v12
	v_fmac_f32_e32 v11, s3, v10
	v_add_f32_e32 v2, v2, v12
	v_add_f32_e32 v3, v3, v11
.LBB223_21:
	global_store_dwordx2 v[4:5], v[2:3], off
.LBB223_22:
	s_or_b32 exec_lo, exec_lo, s1
	v_add_nc_u32_e32 v2, 16, v0
	v_cmp_le_i32_e32 vcc_lo, v2, v9
	v_ashrrev_i32_e32 v3, 31, v2
	s_and_b32 s0, s0, vcc_lo
	s_and_saveexec_b32 s1, s0
	s_cbranch_execz .LBB223_26
; %bb.23:
	v_lshlrev_b64 v[10:11], 3, v[2:3]
	v_mul_f32_e32 v4, s11, v21
	v_mul_f32_e32 v5, s10, v21
	v_cmp_ne_u32_e32 vcc_lo, 1, v8
	v_fma_f32 v4, v20, s10, -v4
	v_add_co_u32 v6, s0, v6, v10
	v_fmac_f32_e32 v5, s11, v20
	v_add_co_ci_u32_e64 v7, null, v7, v11, s0
	s_cbranch_vccnz .LBB223_25
; %bb.24:
	global_load_dwordx2 v[10:11], v[6:7], off
	s_waitcnt vmcnt(0)
	v_mul_f32_e32 v12, s3, v11
	v_mul_f32_e32 v11, s2, v11
	v_fma_f32 v12, v10, s2, -v12
	v_fmac_f32_e32 v11, s3, v10
	v_add_f32_e32 v4, v4, v12
	v_add_f32_e32 v5, v5, v11
.LBB223_25:
	global_store_dwordx2 v[6:7], v[4:5], off
.LBB223_26:
	s_or_b32 exec_lo, exec_lo, s1
	v_add_nc_u32_e32 v9, 16, v9
	v_ashrrev_i32_e32 v6, 31, v9
	v_mul_lo_u32 v7, s41, v9
	v_mad_u64_u32 v[4:5], null, s40, v9, 0
	v_cmp_gt_i32_e64 s0, s9, v9
	v_mul_lo_u32 v6, s40, v6
	v_cmp_le_i32_e32 vcc_lo, v0, v9
	v_add3_u32 v5, v5, v6, v7
	v_lshlrev_b64 v[4:5], 3, v[4:5]
	v_add_co_u32 v6, s1, s4, v4
	v_add_co_ci_u32_e64 v7, null, s5, v5, s1
	s_and_b32 s1, s0, vcc_lo
	s_and_saveexec_b32 s4, s1
	s_cbranch_execz .LBB223_30
; %bb.27:
	v_lshlrev_b64 v[0:1], 3, v[0:1]
	v_mul_f32_e32 v4, s11, v19
	v_mul_f32_e32 v5, s10, v19
	v_cmp_ne_u32_e32 vcc_lo, 1, v8
	v_fma_f32 v4, v18, s10, -v4
	v_add_co_u32 v0, s1, v6, v0
	v_fmac_f32_e32 v5, s11, v18
	v_add_co_ci_u32_e64 v1, null, v7, v1, s1
	s_cbranch_vccnz .LBB223_29
; %bb.28:
	global_load_dwordx2 v[10:11], v[0:1], off
	s_waitcnt vmcnt(0)
	v_mul_f32_e32 v12, s3, v11
	v_mul_f32_e32 v11, s2, v11
	v_fma_f32 v12, v10, s2, -v12
	v_fmac_f32_e32 v11, s3, v10
	v_add_f32_e32 v4, v4, v12
	v_add_f32_e32 v5, v5, v11
.LBB223_29:
	global_store_dwordx2 v[0:1], v[4:5], off
.LBB223_30:
	s_or_b32 exec_lo, exec_lo, s4
	v_cmp_le_i32_e32 vcc_lo, v2, v9
	s_and_b32 s0, s0, vcc_lo
	s_and_saveexec_b32 s1, s0
	s_cbranch_execz .LBB223_34
; %bb.31:
	v_lshlrev_b64 v[2:3], 3, v[2:3]
	v_mul_f32_e32 v0, s11, v17
	v_mul_f32_e32 v1, s10, v17
	v_cmp_ne_u32_e32 vcc_lo, 1, v8
	v_fma_f32 v0, v16, s10, -v0
	v_add_co_u32 v2, s0, v6, v2
	v_fmac_f32_e32 v1, s11, v16
	v_add_co_ci_u32_e64 v3, null, v7, v3, s0
	s_cbranch_vccnz .LBB223_33
; %bb.32:
	global_load_dwordx2 v[4:5], v[2:3], off
	s_waitcnt vmcnt(0)
	v_mul_f32_e32 v6, s3, v5
	v_mul_f32_e32 v5, s2, v5
	v_fma_f32 v6, v4, s2, -v6
	v_fmac_f32_e32 v5, s3, v4
	v_add_f32_e32 v0, v0, v6
	v_add_f32_e32 v1, v1, v5
.LBB223_33:
	global_store_dwordx2 v[2:3], v[0:1], off
.LBB223_34:
	s_endpgm
	.section	.rodata,"a",@progbits
	.p2align	6, 0x0
	.amdhsa_kernel _ZL29rocblas_internal_gemmt_kernelIlLi16ELi32ELi8ELc67ELc84ELc85ELb1ELb0E19rocblas_complex_numIfEPKS1_S3_PS1_EviT_T9_T10_S5_lS7_S5_lS6_T11_S5_li
		.amdhsa_group_segment_fixed_size 4096
		.amdhsa_private_segment_fixed_size 0
		.amdhsa_kernarg_size 108
		.amdhsa_user_sgpr_count 6
		.amdhsa_user_sgpr_private_segment_buffer 1
		.amdhsa_user_sgpr_dispatch_ptr 0
		.amdhsa_user_sgpr_queue_ptr 0
		.amdhsa_user_sgpr_kernarg_segment_ptr 1
		.amdhsa_user_sgpr_dispatch_id 0
		.amdhsa_user_sgpr_flat_scratch_init 0
		.amdhsa_user_sgpr_private_segment_size 0
		.amdhsa_wavefront_size32 1
		.amdhsa_uses_dynamic_stack 0
		.amdhsa_system_sgpr_private_segment_wavefront_offset 0
		.amdhsa_system_sgpr_workgroup_id_x 1
		.amdhsa_system_sgpr_workgroup_id_y 1
		.amdhsa_system_sgpr_workgroup_id_z 1
		.amdhsa_system_sgpr_workgroup_info 0
		.amdhsa_system_vgpr_workitem_id 1
		.amdhsa_next_free_vgpr 61
		.amdhsa_next_free_sgpr 44
		.amdhsa_reserve_vcc 1
		.amdhsa_reserve_flat_scratch 0
		.amdhsa_float_round_mode_32 0
		.amdhsa_float_round_mode_16_64 0
		.amdhsa_float_denorm_mode_32 3
		.amdhsa_float_denorm_mode_16_64 3
		.amdhsa_dx10_clamp 1
		.amdhsa_ieee_mode 1
		.amdhsa_fp16_overflow 0
		.amdhsa_workgroup_processor_mode 1
		.amdhsa_memory_ordered 1
		.amdhsa_forward_progress 1
		.amdhsa_shared_vgpr_count 0
		.amdhsa_exception_fp_ieee_invalid_op 0
		.amdhsa_exception_fp_denorm_src 0
		.amdhsa_exception_fp_ieee_div_zero 0
		.amdhsa_exception_fp_ieee_overflow 0
		.amdhsa_exception_fp_ieee_underflow 0
		.amdhsa_exception_fp_ieee_inexact 0
		.amdhsa_exception_int_div_zero 0
	.end_amdhsa_kernel
	.section	.text._ZL29rocblas_internal_gemmt_kernelIlLi16ELi32ELi8ELc67ELc84ELc85ELb1ELb0E19rocblas_complex_numIfEPKS1_S3_PS1_EviT_T9_T10_S5_lS7_S5_lS6_T11_S5_li,"axG",@progbits,_ZL29rocblas_internal_gemmt_kernelIlLi16ELi32ELi8ELc67ELc84ELc85ELb1ELb0E19rocblas_complex_numIfEPKS1_S3_PS1_EviT_T9_T10_S5_lS7_S5_lS6_T11_S5_li,comdat
.Lfunc_end223:
	.size	_ZL29rocblas_internal_gemmt_kernelIlLi16ELi32ELi8ELc67ELc84ELc85ELb1ELb0E19rocblas_complex_numIfEPKS1_S3_PS1_EviT_T9_T10_S5_lS7_S5_lS6_T11_S5_li, .Lfunc_end223-_ZL29rocblas_internal_gemmt_kernelIlLi16ELi32ELi8ELc67ELc84ELc85ELb1ELb0E19rocblas_complex_numIfEPKS1_S3_PS1_EviT_T9_T10_S5_lS7_S5_lS6_T11_S5_li
                                        ; -- End function
	.set _ZL29rocblas_internal_gemmt_kernelIlLi16ELi32ELi8ELc67ELc84ELc85ELb1ELb0E19rocblas_complex_numIfEPKS1_S3_PS1_EviT_T9_T10_S5_lS7_S5_lS6_T11_S5_li.num_vgpr, 61
	.set _ZL29rocblas_internal_gemmt_kernelIlLi16ELi32ELi8ELc67ELc84ELc85ELb1ELb0E19rocblas_complex_numIfEPKS1_S3_PS1_EviT_T9_T10_S5_lS7_S5_lS6_T11_S5_li.num_agpr, 0
	.set _ZL29rocblas_internal_gemmt_kernelIlLi16ELi32ELi8ELc67ELc84ELc85ELb1ELb0E19rocblas_complex_numIfEPKS1_S3_PS1_EviT_T9_T10_S5_lS7_S5_lS6_T11_S5_li.numbered_sgpr, 44
	.set _ZL29rocblas_internal_gemmt_kernelIlLi16ELi32ELi8ELc67ELc84ELc85ELb1ELb0E19rocblas_complex_numIfEPKS1_S3_PS1_EviT_T9_T10_S5_lS7_S5_lS6_T11_S5_li.num_named_barrier, 0
	.set _ZL29rocblas_internal_gemmt_kernelIlLi16ELi32ELi8ELc67ELc84ELc85ELb1ELb0E19rocblas_complex_numIfEPKS1_S3_PS1_EviT_T9_T10_S5_lS7_S5_lS6_T11_S5_li.private_seg_size, 0
	.set _ZL29rocblas_internal_gemmt_kernelIlLi16ELi32ELi8ELc67ELc84ELc85ELb1ELb0E19rocblas_complex_numIfEPKS1_S3_PS1_EviT_T9_T10_S5_lS7_S5_lS6_T11_S5_li.uses_vcc, 1
	.set _ZL29rocblas_internal_gemmt_kernelIlLi16ELi32ELi8ELc67ELc84ELc85ELb1ELb0E19rocblas_complex_numIfEPKS1_S3_PS1_EviT_T9_T10_S5_lS7_S5_lS6_T11_S5_li.uses_flat_scratch, 0
	.set _ZL29rocblas_internal_gemmt_kernelIlLi16ELi32ELi8ELc67ELc84ELc85ELb1ELb0E19rocblas_complex_numIfEPKS1_S3_PS1_EviT_T9_T10_S5_lS7_S5_lS6_T11_S5_li.has_dyn_sized_stack, 0
	.set _ZL29rocblas_internal_gemmt_kernelIlLi16ELi32ELi8ELc67ELc84ELc85ELb1ELb0E19rocblas_complex_numIfEPKS1_S3_PS1_EviT_T9_T10_S5_lS7_S5_lS6_T11_S5_li.has_recursion, 0
	.set _ZL29rocblas_internal_gemmt_kernelIlLi16ELi32ELi8ELc67ELc84ELc85ELb1ELb0E19rocblas_complex_numIfEPKS1_S3_PS1_EviT_T9_T10_S5_lS7_S5_lS6_T11_S5_li.has_indirect_call, 0
	.section	.AMDGPU.csdata,"",@progbits
; Kernel info:
; codeLenInByte = 2620
; TotalNumSgprs: 46
; NumVgprs: 61
; ScratchSize: 0
; MemoryBound: 0
; FloatMode: 240
; IeeeMode: 1
; LDSByteSize: 4096 bytes/workgroup (compile time only)
; SGPRBlocks: 0
; VGPRBlocks: 7
; NumSGPRsForWavesPerEU: 46
; NumVGPRsForWavesPerEU: 61
; Occupancy: 16
; WaveLimiterHint : 0
; COMPUTE_PGM_RSRC2:SCRATCH_EN: 0
; COMPUTE_PGM_RSRC2:USER_SGPR: 6
; COMPUTE_PGM_RSRC2:TRAP_HANDLER: 0
; COMPUTE_PGM_RSRC2:TGID_X_EN: 1
; COMPUTE_PGM_RSRC2:TGID_Y_EN: 1
; COMPUTE_PGM_RSRC2:TGID_Z_EN: 1
; COMPUTE_PGM_RSRC2:TIDIG_COMP_CNT: 1
	.section	.text._ZL29rocblas_internal_gemmt_kernelIlLi16ELi32ELi8ELc67ELc67ELc85ELb1ELb1E19rocblas_complex_numIfEPKS1_S3_PS1_EviT_T9_T10_S5_lS7_S5_lS6_T11_S5_li,"axG",@progbits,_ZL29rocblas_internal_gemmt_kernelIlLi16ELi32ELi8ELc67ELc67ELc85ELb1ELb1E19rocblas_complex_numIfEPKS1_S3_PS1_EviT_T9_T10_S5_lS7_S5_lS6_T11_S5_li,comdat
	.globl	_ZL29rocblas_internal_gemmt_kernelIlLi16ELi32ELi8ELc67ELc67ELc85ELb1ELb1E19rocblas_complex_numIfEPKS1_S3_PS1_EviT_T9_T10_S5_lS7_S5_lS6_T11_S5_li ; -- Begin function _ZL29rocblas_internal_gemmt_kernelIlLi16ELi32ELi8ELc67ELc67ELc85ELb1ELb1E19rocblas_complex_numIfEPKS1_S3_PS1_EviT_T9_T10_S5_lS7_S5_lS6_T11_S5_li
	.p2align	8
	.type	_ZL29rocblas_internal_gemmt_kernelIlLi16ELi32ELi8ELc67ELc67ELc85ELb1ELb1E19rocblas_complex_numIfEPKS1_S3_PS1_EviT_T9_T10_S5_lS7_S5_lS6_T11_S5_li,@function
_ZL29rocblas_internal_gemmt_kernelIlLi16ELi32ELi8ELc67ELc67ELc85ELb1ELb1E19rocblas_complex_numIfEPKS1_S3_PS1_EviT_T9_T10_S5_lS7_S5_lS6_T11_S5_li: ; @_ZL29rocblas_internal_gemmt_kernelIlLi16ELi32ELi8ELc67ELc67ELc85ELb1ELb1E19rocblas_complex_numIfEPKS1_S3_PS1_EviT_T9_T10_S5_lS7_S5_lS6_T11_S5_li
; %bb.0:
	s_clause 0x1
	s_load_dwordx8 s[36:43], s[4:5], 0x48
	s_load_dwordx16 s[12:27], s[4:5], 0x8
	s_waitcnt lgkmcnt(0)
	s_load_dwordx2 s[2:3], s[36:37], 0x0
	s_load_dwordx2 s[10:11], s[14:15], 0x0
	s_waitcnt lgkmcnt(0)
	s_and_b32 s0, s3, 0x7fffffff
	v_cmp_eq_f32_e64 s1, s2, 1.0
	s_cmp_eq_u32 s0, 0
	s_mov_b32 s0, 0
	s_cselect_b32 s14, -1, 0
	s_and_b32 s1, s1, s14
	s_andn2_b32 vcc_lo, exec_lo, s1
	s_mov_b32 s1, -1
	s_cbranch_vccnz .LBB224_4
; %bb.1:
	s_cmp_lg_u64 s[12:13], 0
	s_cbranch_scc0 .LBB224_3
; %bb.2:
	v_cmp_neq_f32_e64 s0, s10, 0
	v_cmp_neq_f32_e64 s1, s11, 0
	s_or_b32 s0, s0, s1
.LBB224_3:
	s_mov_b32 s1, s0
.LBB224_4:
	s_and_b32 vcc_lo, exec_lo, s1
	s_cbranch_vccz .LBB224_34
; %bb.5:
	s_load_dword s9, s[4:5], 0x0
	v_cmp_eq_f32_e64 s0, s10, 0
	v_cmp_eq_f32_e64 s1, s11, 0
	v_cmp_lt_i64_e64 s4, s[12:13], 1
	v_mov_b32_e32 v22, 0
	v_mov_b32_e32 v23, 0
	;; [unrolled: 1-line block ×3, first 2 shown]
	s_and_b32 s0, s0, s1
	v_mov_b32_e32 v21, 0
	v_mov_b32_e32 v18, 0
	;; [unrolled: 1-line block ×5, first 2 shown]
	s_or_b32 s0, s0, s4
	s_lshl_b32 s6, s6, 5
	s_and_b32 vcc_lo, exec_lo, s0
	s_lshl_b32 s7, s7, 5
	s_cbranch_vccnz .LBB224_18
; %bb.6:
	v_lshl_add_u32 v4, v1, 4, v0
	s_mul_i32 s1, s27, s8
	s_mul_hi_u32 s4, s26, s8
	s_mul_i32 s0, s26, s8
	s_add_i32 s1, s4, s1
	v_and_b32_e32 v5, 31, v4
	s_lshl_b64 s[0:1], s[0:1], 3
	s_mul_i32 s4, s21, s8
	s_mul_hi_u32 s5, s20, s8
	s_add_u32 s21, s22, s0
	v_or_b32_e32 v8, s6, v5
	s_addc_u32 s22, s23, s1
	s_add_i32 s1, s5, s4
	s_mul_i32 s0, s20, s8
	v_lshrrev_b32_e32 v10, 3, v4
	v_mul_lo_u32 v9, s19, v8
	v_mad_u64_u32 v[2:3], null, s18, v8, 0
	s_lshl_b64 s[0:1], s[0:1], 3
	v_lshrrev_b32_e32 v7, 5, v4
	s_add_u32 s4, s16, s0
	s_addc_u32 s1, s17, s1
	s_ashr_i32 s0, s6, 31
	v_add_nc_u32_e32 v4, s7, v10
	s_mul_i32 s0, s18, s0
	v_and_b32_e32 v6, 7, v0
	v_add3_u32 v3, v3, s0, v9
	v_lshlrev_b32_e32 v9, 3, v5
	v_ashrrev_i32_e32 v5, 31, v4
	s_waitcnt lgkmcnt(0)
	v_cmp_gt_i32_e64 s0, s9, v8
	v_lshlrev_b32_e32 v11, 3, v6
	v_lshlrev_b64 v[2:3], 3, v[2:3]
	v_cmp_le_i32_e64 s15, s9, v8
	v_lshlrev_b64 v[12:13], 3, v[4:5]
	v_lshl_or_b32 v8, v7, 8, v9
	v_lshl_or_b32 v11, v10, 6, v11
	v_lshlrev_b32_e32 v14, 3, v0
	v_add_co_u32 v9, vcc_lo, s4, v2
	v_add_co_ci_u32_e64 v10, null, s1, v3, vcc_lo
	v_cmp_gt_i32_e32 vcc_lo, s9, v4
	v_add_co_u32 v12, s1, s21, v12
	v_add_nc_u32_e32 v11, 0x800, v11
	v_add_co_ci_u32_e64 v13, null, s22, v13, s1
	v_lshl_add_u32 v15, v1, 6, 0x800
	v_mov_b32_e32 v3, 0
	v_mov_b32_e32 v17, 0
	;; [unrolled: 1-line block ×9, first 2 shown]
	s_mov_b64 s[4:5], 0
	s_xor_b32 s1, vcc_lo, -1
                                        ; implicit-def: $vgpr4_vgpr5
	s_branch .LBB224_8
.LBB224_7:                              ;   in Loop: Header=BB224_8 Depth=1
	s_or_b32 exec_lo, exec_lo, s16
	ds_write_b32 v11, v24 offset:4
	s_waitcnt lgkmcnt(0)
	s_barrier
	buffer_gl0_inv
	ds_read_b128 v[24:27], v15
	ds_read2_b64 v[28:31], v14 offset1:16
	ds_read_b128 v[32:35], v15 offset:1024
	ds_read_b128 v[36:39], v15 offset:16
	;; [unrolled: 1-line block ×4, first 2 shown]
	ds_read2_b64 v[48:51], v14 offset0:32 offset1:48
	ds_read_b128 v[52:55], v15 offset:1040
	s_add_u32 s4, s4, 8
	s_addc_u32 s5, s5, 0
	v_cmp_gt_i64_e64 s16, s[12:13], s[4:5]
	s_and_b32 vcc_lo, exec_lo, s16
	s_waitcnt lgkmcnt(6)
	v_mul_f32_e32 v2, v25, v29
	v_mul_f32_e32 v56, v24, v29
	;; [unrolled: 1-line block ×4, first 2 shown]
	s_waitcnt lgkmcnt(5)
	v_mul_f32_e32 v59, v33, v29
	v_mul_f32_e32 v29, v32, v29
	;; [unrolled: 1-line block ×3, first 2 shown]
	v_fma_f32 v2, v24, v28, -v2
	v_fmac_f32_e32 v56, v25, v28
	v_fma_f32 v24, v24, v30, -v57
	v_fmac_f32_e32 v58, v25, v30
	;; [unrolled: 2-line block ×3, first 2 shown]
	v_mul_f32_e32 v31, v32, v31
	v_fma_f32 v28, v32, v30, -v60
	v_add_f32_e32 v2, v22, v2
	v_add_f32_e32 v22, v23, v56
	;; [unrolled: 1-line block ×6, first 2 shown]
	s_waitcnt lgkmcnt(1)
	v_mul_f32_e32 v32, v27, v49
	ds_read2_b64 v[18:21], v14 offset0:64 offset1:80
	v_fmac_f32_e32 v31, v33, v30
	v_add_f32_e32 v16, v16, v28
	v_mul_f32_e32 v28, v26, v49
	v_fma_f32 v30, v26, v48, -v32
	v_mul_f32_e32 v32, v27, v51
	v_add_f32_e32 v17, v17, v31
	v_mul_f32_e32 v31, v26, v51
	v_fmac_f32_e32 v28, v27, v48
	v_add_f32_e32 v2, v2, v30
	v_fma_f32 v26, v26, v50, -v32
	v_mul_f32_e32 v30, v35, v49
	v_fmac_f32_e32 v31, v27, v50
	v_add_f32_e32 v28, v22, v28
	v_mul_f32_e32 v22, v34, v49
	v_add_f32_e32 v26, v23, v26
	v_fma_f32 v23, v34, v48, -v30
	v_mul_f32_e32 v27, v35, v51
	v_add_f32_e32 v30, v24, v31
	v_fmac_f32_e32 v22, v35, v48
	v_mul_f32_e32 v31, v34, v51
	v_add_f32_e32 v32, v25, v23
	v_fma_f32 v23, v34, v50, -v27
	s_waitcnt lgkmcnt(0)
	v_mul_f32_e32 v24, v37, v19
	v_add_f32_e32 v27, v29, v22
	v_fmac_f32_e32 v31, v35, v50
	v_mul_f32_e32 v29, v36, v19
	v_add_f32_e32 v16, v16, v23
	v_fma_f32 v33, v36, v18, -v24
	v_mul_f32_e32 v34, v37, v21
	ds_read2_b64 v[22:25], v14 offset0:96 offset1:112
	v_fmac_f32_e32 v29, v37, v18
	v_add_f32_e32 v31, v17, v31
	v_add_f32_e32 v2, v2, v33
	v_mul_f32_e32 v17, v36, v21
	v_fma_f32 v33, v36, v20, -v34
	v_add_f32_e32 v28, v28, v29
	v_mul_f32_e32 v29, v53, v19
	v_mul_f32_e32 v19, v52, v19
	v_fmac_f32_e32 v17, v37, v20
	v_add_f32_e32 v26, v26, v33
	v_mul_f32_e32 v33, v53, v21
	v_mul_f32_e32 v21, v52, v21
	v_fmac_f32_e32 v19, v53, v18
	v_add_f32_e32 v30, v30, v17
	v_fma_f32 v29, v52, v18, -v29
	v_fma_f32 v17, v52, v20, -v33
	v_fmac_f32_e32 v21, v53, v20
	v_add_f32_e32 v33, v27, v19
	s_waitcnt lgkmcnt(0)
	v_mul_f32_e32 v20, v39, v23
	v_add_f32_e32 v34, v16, v17
	ds_read2_b64 v[16:19], v14 offset0:128 offset1:144
	v_add_f32_e32 v32, v32, v29
	v_mul_f32_e32 v27, v38, v23
	v_mul_f32_e32 v29, v39, v25
	v_fma_f32 v20, v38, v22, -v20
	v_add_f32_e32 v31, v31, v21
	v_mul_f32_e32 v21, v38, v25
	v_fmac_f32_e32 v27, v39, v22
	v_fma_f32 v29, v38, v24, -v29
	v_add_f32_e32 v2, v2, v20
	v_mul_f32_e32 v20, v55, v23
	v_fmac_f32_e32 v21, v39, v24
	v_add_f32_e32 v35, v28, v27
	v_add_f32_e32 v36, v26, v29
	v_mul_f32_e32 v23, v54, v23
	v_fma_f32 v20, v54, v22, -v20
	v_mul_f32_e32 v37, v55, v25
	ds_read_b128 v[26:29], v15 offset:1056
	v_add_f32_e32 v38, v30, v21
	v_fmac_f32_e32 v23, v55, v22
	v_mul_f32_e32 v25, v54, v25
	v_fma_f32 v21, v54, v24, -v37
	v_add_f32_e32 v37, v32, v20
	s_waitcnt lgkmcnt(1)
	v_mul_f32_e32 v20, v41, v17
	v_add_f32_e32 v39, v33, v23
	v_fmac_f32_e32 v25, v55, v24
	v_add_f32_e32 v24, v34, v21
	v_mul_f32_e32 v32, v41, v19
	v_fma_f32 v30, v40, v16, -v20
	ds_read2_b64 v[20:23], v14 offset0:160 offset1:176
	v_mul_f32_e32 v34, v40, v17
	v_add_f32_e32 v25, v31, v25
	v_fma_f32 v48, v40, v18, -v32
	v_mul_f32_e32 v40, v40, v19
	v_add_f32_e32 v2, v2, v30
	v_fmac_f32_e32 v34, v41, v16
	ds_read_b128 v[30:33], v15 offset:1072
	s_waitcnt lgkmcnt(2)
	v_mul_f32_e32 v49, v27, v17
	v_mul_f32_e32 v17, v26, v17
	v_fmac_f32_e32 v40, v41, v18
	v_mul_f32_e32 v41, v27, v19
	v_add_f32_e32 v34, v35, v34
	v_add_f32_e32 v35, v36, v48
	v_fma_f32 v36, v26, v16, -v49
	v_fmac_f32_e32 v17, v27, v16
	v_add_f32_e32 v38, v38, v40
	v_mul_f32_e32 v40, v26, v19
	v_fma_f32 v16, v26, v18, -v41
	v_add_f32_e32 v36, v37, v36
	v_add_f32_e32 v26, v39, v17
	s_waitcnt lgkmcnt(1)
	v_mul_f32_e32 v37, v43, v21
	v_fmac_f32_e32 v40, v27, v18
	v_add_f32_e32 v24, v24, v16
	ds_read2_b64 v[16:19], v14 offset0:192 offset1:208
	v_mul_f32_e32 v27, v42, v21
	v_fma_f32 v37, v42, v20, -v37
	v_mul_f32_e32 v39, v43, v23
	v_add_f32_e32 v40, v25, v40
	v_mul_f32_e32 v25, v42, v23
	v_fmac_f32_e32 v27, v43, v20
	v_add_f32_e32 v2, v2, v37
	v_fma_f32 v37, v42, v22, -v39
	v_fmac_f32_e32 v25, v43, v22
	v_add_f32_e32 v34, v34, v27
	v_mul_f32_e32 v27, v29, v21
	v_mul_f32_e32 v21, v28, v21
	v_add_f32_e32 v35, v35, v37
	v_mul_f32_e32 v37, v29, v23
	v_add_f32_e32 v38, v38, v25
	v_fma_f32 v27, v28, v20, -v27
	v_fmac_f32_e32 v21, v29, v20
	v_mul_f32_e32 v20, v28, v23
	v_fma_f32 v23, v28, v22, -v37
	s_waitcnt lgkmcnt(0)
	v_mul_f32_e32 v25, v45, v17
	v_add_f32_e32 v28, v36, v27
	v_add_f32_e32 v21, v26, v21
	v_fmac_f32_e32 v20, v29, v22
	v_add_f32_e32 v22, v24, v23
	v_fma_f32 v29, v44, v16, -v25
	ds_read2_b64 v[24:27], v14 offset0:224 offset1:240
	v_mul_f32_e32 v23, v44, v17
	v_mul_f32_e32 v37, v31, v17
	;; [unrolled: 1-line block ×4, first 2 shown]
	v_add_f32_e32 v2, v2, v29
	v_fmac_f32_e32 v23, v45, v16
	v_mul_f32_e32 v29, v44, v19
	v_fmac_f32_e32 v17, v31, v16
	v_fma_f32 v36, v44, v18, -v36
	v_add_f32_e32 v20, v40, v20
	v_add_f32_e32 v23, v34, v23
	v_fma_f32 v34, v30, v16, -v37
	v_mul_f32_e32 v16, v31, v19
	v_mul_f32_e32 v19, v30, v19
	v_fmac_f32_e32 v29, v45, v18
	v_add_f32_e32 v17, v21, v17
	v_add_f32_e32 v35, v35, v36
	v_fma_f32 v16, v30, v18, -v16
	v_fmac_f32_e32 v19, v31, v18
	s_waitcnt lgkmcnt(0)
	v_mul_f32_e32 v21, v47, v25
	v_mul_f32_e32 v18, v47, v27
	v_add_f32_e32 v28, v28, v34
	v_mul_f32_e32 v30, v46, v25
	v_add_f32_e32 v16, v22, v16
	v_fma_f32 v21, v46, v24, -v21
	v_fma_f32 v18, v46, v26, -v18
	v_mul_f32_e32 v31, v46, v27
	v_add_f32_e32 v34, v20, v19
	v_mul_f32_e32 v19, v32, v25
	v_add_f32_e32 v22, v2, v21
	v_add_f32_e32 v20, v35, v18
	v_mul_f32_e32 v2, v33, v25
	v_mul_f32_e32 v18, v33, v27
	;; [unrolled: 1-line block ×3, first 2 shown]
	v_add_f32_e32 v29, v38, v29
	v_fmac_f32_e32 v30, v47, v24
	v_fmac_f32_e32 v31, v47, v26
	v_fma_f32 v2, v32, v24, -v2
	v_fmac_f32_e32 v19, v33, v24
	v_fma_f32 v24, v32, v26, -v18
	v_fmac_f32_e32 v25, v33, v26
	v_add_f32_e32 v23, v23, v30
	v_add_f32_e32 v21, v29, v31
	;; [unrolled: 1-line block ×6, first 2 shown]
	s_barrier
	buffer_gl0_inv
	s_cbranch_vccz .LBB224_18
.LBB224_8:                              ; =>This Inner Loop Header: Depth=1
	s_mov_b32 s16, 0
	s_mov_b32 s18, s15
	s_and_saveexec_b32 s17, s0
	s_cbranch_execnz .LBB224_16
; %bb.9:                                ;   in Loop: Header=BB224_8 Depth=1
	s_or_b32 exec_lo, exec_lo, s17
	s_and_saveexec_b32 s17, s18
	s_xor_b32 s17, exec_lo, s17
	s_cbranch_execnz .LBB224_17
.LBB224_10:                             ;   in Loop: Header=BB224_8 Depth=1
	s_or_b32 exec_lo, exec_lo, s17
	v_mov_b32_e32 v24, 0
	s_and_saveexec_b32 s17, s16
	s_cbranch_execz .LBB224_12
.LBB224_11:                             ;   in Loop: Header=BB224_8 Depth=1
	v_lshlrev_b64 v[24:25], 3, v[4:5]
	v_add_co_u32 v24, vcc_lo, v9, v24
	v_add_co_ci_u32_e64 v25, null, v10, v25, vcc_lo
	global_load_dwordx2 v[25:26], v[24:25], off
	s_waitcnt vmcnt(0)
	v_xor_b32_e32 v24, 0x80000000, v26
	ds_write_b32 v8, v25
.LBB224_12:                             ;   in Loop: Header=BB224_8 Depth=1
	s_or_b32 exec_lo, exec_lo, s17
	v_add_nc_u32_e32 v2, s4, v6
	ds_write_b32 v8, v24 offset:4
	v_cmp_le_u64_e32 vcc_lo, s[12:13], v[2:3]
	s_or_b32 s16, vcc_lo, s1
	s_and_saveexec_b32 s17, s16
	s_xor_b32 s16, exec_lo, s17
; %bb.13:                               ;   in Loop: Header=BB224_8 Depth=1
	ds_write_b32 v11, v3
; %bb.14:                               ;   in Loop: Header=BB224_8 Depth=1
	s_or_saveexec_b32 s16, s16
	v_mov_b32_e32 v24, 0
	s_xor_b32 exec_lo, exec_lo, s16
	s_cbranch_execz .LBB224_7
; %bb.15:                               ;   in Loop: Header=BB224_8 Depth=1
	v_mad_u64_u32 v[24:25], null, s24, v2, 0
	v_mad_u64_u32 v[25:26], null, s25, v2, v[25:26]
	v_lshlrev_b64 v[24:25], 3, v[24:25]
	v_add_co_u32 v24, vcc_lo, v12, v24
	v_add_co_ci_u32_e64 v25, null, v13, v25, vcc_lo
	global_load_dwordx2 v[25:26], v[24:25], off
	s_waitcnt vmcnt(0)
	v_xor_b32_e32 v24, 0x80000000, v26
	ds_write_b32 v11, v25
	s_branch .LBB224_7
.LBB224_16:                             ;   in Loop: Header=BB224_8 Depth=1
	v_add_nc_u32_e32 v2, s4, v7
	v_mov_b32_e32 v5, v3
	s_andn2_b32 s18, s15, exec_lo
	s_mov_b32 s16, exec_lo
	v_cmp_le_u64_e32 vcc_lo, s[12:13], v[2:3]
	v_mov_b32_e32 v4, v2
	s_and_b32 s19, vcc_lo, exec_lo
	s_or_b32 s18, s18, s19
	s_or_b32 exec_lo, exec_lo, s17
	s_and_saveexec_b32 s17, s18
	s_xor_b32 s17, exec_lo, s17
	s_cbranch_execz .LBB224_10
.LBB224_17:                             ;   in Loop: Header=BB224_8 Depth=1
	s_andn2_b32 s16, s16, exec_lo
	ds_write_b32 v8, v3
	s_or_b32 exec_lo, exec_lo, s17
	v_mov_b32_e32 v24, 0
	s_and_saveexec_b32 s17, s16
	s_cbranch_execnz .LBB224_11
	s_branch .LBB224_12
.LBB224_18:
	v_add_nc_u32_e32 v9, s7, v1
	s_mul_i32 s1, s43, s8
	s_mul_hi_u32 s4, s42, s8
	s_mul_i32 s0, s42, s8
	s_add_i32 s1, s4, s1
	v_ashrrev_i32_e32 v3, 31, v9
	v_mul_lo_u32 v4, s41, v9
	v_mad_u64_u32 v[1:2], null, s40, v9, 0
	v_add_nc_u32_e32 v0, s6, v0
	v_mul_lo_u32 v3, s40, v3
	v_cmp_neq_f32_e64 s6, s2, 0
	s_lshl_b64 s[4:5], s[0:1], 3
	s_waitcnt lgkmcnt(0)
	v_cmp_gt_i32_e64 s0, s9, v9
	s_add_u32 s4, s38, s4
	s_addc_u32 s5, s39, s5
	s_xor_b32 s7, s14, -1
	v_cmp_le_i32_e32 vcc_lo, v0, v9
	v_add3_u32 v2, v2, v3, v4
	s_or_b32 s6, s6, s7
	v_cndmask_b32_e64 v8, 0, 1, s6
	s_and_b32 s7, s0, vcc_lo
	v_lshlrev_b64 v[2:3], 3, v[1:2]
	v_ashrrev_i32_e32 v1, 31, v0
	v_add_co_u32 v6, s1, s4, v2
	v_add_co_ci_u32_e64 v7, null, s5, v3, s1
	s_and_saveexec_b32 s1, s7
	s_cbranch_execz .LBB224_22
; %bb.19:
	v_lshlrev_b64 v[4:5], 3, v[0:1]
	v_mul_f32_e32 v2, s11, v23
	v_mul_f32_e32 v3, s10, v23
	v_fma_f32 v2, v22, s10, -v2
	v_add_co_u32 v4, vcc_lo, v6, v4
	v_fmac_f32_e32 v3, s11, v22
	v_add_co_ci_u32_e64 v5, null, v7, v5, vcc_lo
	s_andn2_b32 vcc_lo, exec_lo, s6
	s_cbranch_vccnz .LBB224_21
; %bb.20:
	global_load_dwordx2 v[10:11], v[4:5], off
	s_waitcnt vmcnt(0)
	v_mul_f32_e32 v12, s3, v11
	v_mul_f32_e32 v11, s2, v11
	v_fma_f32 v12, v10, s2, -v12
	v_fmac_f32_e32 v11, s3, v10
	v_add_f32_e32 v2, v2, v12
	v_add_f32_e32 v3, v3, v11
.LBB224_21:
	global_store_dwordx2 v[4:5], v[2:3], off
.LBB224_22:
	s_or_b32 exec_lo, exec_lo, s1
	v_add_nc_u32_e32 v2, 16, v0
	v_cmp_le_i32_e32 vcc_lo, v2, v9
	v_ashrrev_i32_e32 v3, 31, v2
	s_and_b32 s0, s0, vcc_lo
	s_and_saveexec_b32 s1, s0
	s_cbranch_execz .LBB224_26
; %bb.23:
	v_lshlrev_b64 v[10:11], 3, v[2:3]
	v_mul_f32_e32 v4, s11, v21
	v_mul_f32_e32 v5, s10, v21
	v_cmp_ne_u32_e32 vcc_lo, 1, v8
	v_fma_f32 v4, v20, s10, -v4
	v_add_co_u32 v6, s0, v6, v10
	v_fmac_f32_e32 v5, s11, v20
	v_add_co_ci_u32_e64 v7, null, v7, v11, s0
	s_cbranch_vccnz .LBB224_25
; %bb.24:
	global_load_dwordx2 v[10:11], v[6:7], off
	s_waitcnt vmcnt(0)
	v_mul_f32_e32 v12, s3, v11
	v_mul_f32_e32 v11, s2, v11
	v_fma_f32 v12, v10, s2, -v12
	v_fmac_f32_e32 v11, s3, v10
	v_add_f32_e32 v4, v4, v12
	v_add_f32_e32 v5, v5, v11
.LBB224_25:
	global_store_dwordx2 v[6:7], v[4:5], off
.LBB224_26:
	s_or_b32 exec_lo, exec_lo, s1
	v_add_nc_u32_e32 v9, 16, v9
	v_ashrrev_i32_e32 v6, 31, v9
	v_mul_lo_u32 v7, s41, v9
	v_mad_u64_u32 v[4:5], null, s40, v9, 0
	v_cmp_gt_i32_e64 s0, s9, v9
	v_mul_lo_u32 v6, s40, v6
	v_cmp_le_i32_e32 vcc_lo, v0, v9
	v_add3_u32 v5, v5, v6, v7
	v_lshlrev_b64 v[4:5], 3, v[4:5]
	v_add_co_u32 v6, s1, s4, v4
	v_add_co_ci_u32_e64 v7, null, s5, v5, s1
	s_and_b32 s1, s0, vcc_lo
	s_and_saveexec_b32 s4, s1
	s_cbranch_execz .LBB224_30
; %bb.27:
	v_lshlrev_b64 v[0:1], 3, v[0:1]
	v_mul_f32_e32 v4, s11, v19
	v_mul_f32_e32 v5, s10, v19
	v_cmp_ne_u32_e32 vcc_lo, 1, v8
	v_fma_f32 v4, v18, s10, -v4
	v_add_co_u32 v0, s1, v6, v0
	v_fmac_f32_e32 v5, s11, v18
	v_add_co_ci_u32_e64 v1, null, v7, v1, s1
	s_cbranch_vccnz .LBB224_29
; %bb.28:
	global_load_dwordx2 v[10:11], v[0:1], off
	s_waitcnt vmcnt(0)
	v_mul_f32_e32 v12, s3, v11
	v_mul_f32_e32 v11, s2, v11
	v_fma_f32 v12, v10, s2, -v12
	v_fmac_f32_e32 v11, s3, v10
	v_add_f32_e32 v4, v4, v12
	v_add_f32_e32 v5, v5, v11
.LBB224_29:
	global_store_dwordx2 v[0:1], v[4:5], off
.LBB224_30:
	s_or_b32 exec_lo, exec_lo, s4
	v_cmp_le_i32_e32 vcc_lo, v2, v9
	s_and_b32 s0, s0, vcc_lo
	s_and_saveexec_b32 s1, s0
	s_cbranch_execz .LBB224_34
; %bb.31:
	v_lshlrev_b64 v[2:3], 3, v[2:3]
	v_mul_f32_e32 v0, s11, v17
	v_mul_f32_e32 v1, s10, v17
	v_cmp_ne_u32_e32 vcc_lo, 1, v8
	v_fma_f32 v0, v16, s10, -v0
	v_add_co_u32 v2, s0, v6, v2
	v_fmac_f32_e32 v1, s11, v16
	v_add_co_ci_u32_e64 v3, null, v7, v3, s0
	s_cbranch_vccnz .LBB224_33
; %bb.32:
	global_load_dwordx2 v[4:5], v[2:3], off
	s_waitcnt vmcnt(0)
	v_mul_f32_e32 v6, s3, v5
	v_mul_f32_e32 v5, s2, v5
	v_fma_f32 v6, v4, s2, -v6
	v_fmac_f32_e32 v5, s3, v4
	v_add_f32_e32 v0, v0, v6
	v_add_f32_e32 v1, v1, v5
.LBB224_33:
	global_store_dwordx2 v[2:3], v[0:1], off
.LBB224_34:
	s_endpgm
	.section	.rodata,"a",@progbits
	.p2align	6, 0x0
	.amdhsa_kernel _ZL29rocblas_internal_gemmt_kernelIlLi16ELi32ELi8ELc67ELc67ELc85ELb1ELb1E19rocblas_complex_numIfEPKS1_S3_PS1_EviT_T9_T10_S5_lS7_S5_lS6_T11_S5_li
		.amdhsa_group_segment_fixed_size 4096
		.amdhsa_private_segment_fixed_size 0
		.amdhsa_kernarg_size 108
		.amdhsa_user_sgpr_count 6
		.amdhsa_user_sgpr_private_segment_buffer 1
		.amdhsa_user_sgpr_dispatch_ptr 0
		.amdhsa_user_sgpr_queue_ptr 0
		.amdhsa_user_sgpr_kernarg_segment_ptr 1
		.amdhsa_user_sgpr_dispatch_id 0
		.amdhsa_user_sgpr_flat_scratch_init 0
		.amdhsa_user_sgpr_private_segment_size 0
		.amdhsa_wavefront_size32 1
		.amdhsa_uses_dynamic_stack 0
		.amdhsa_system_sgpr_private_segment_wavefront_offset 0
		.amdhsa_system_sgpr_workgroup_id_x 1
		.amdhsa_system_sgpr_workgroup_id_y 1
		.amdhsa_system_sgpr_workgroup_id_z 1
		.amdhsa_system_sgpr_workgroup_info 0
		.amdhsa_system_vgpr_workitem_id 1
		.amdhsa_next_free_vgpr 61
		.amdhsa_next_free_sgpr 44
		.amdhsa_reserve_vcc 1
		.amdhsa_reserve_flat_scratch 0
		.amdhsa_float_round_mode_32 0
		.amdhsa_float_round_mode_16_64 0
		.amdhsa_float_denorm_mode_32 3
		.amdhsa_float_denorm_mode_16_64 3
		.amdhsa_dx10_clamp 1
		.amdhsa_ieee_mode 1
		.amdhsa_fp16_overflow 0
		.amdhsa_workgroup_processor_mode 1
		.amdhsa_memory_ordered 1
		.amdhsa_forward_progress 1
		.amdhsa_shared_vgpr_count 0
		.amdhsa_exception_fp_ieee_invalid_op 0
		.amdhsa_exception_fp_denorm_src 0
		.amdhsa_exception_fp_ieee_div_zero 0
		.amdhsa_exception_fp_ieee_overflow 0
		.amdhsa_exception_fp_ieee_underflow 0
		.amdhsa_exception_fp_ieee_inexact 0
		.amdhsa_exception_int_div_zero 0
	.end_amdhsa_kernel
	.section	.text._ZL29rocblas_internal_gemmt_kernelIlLi16ELi32ELi8ELc67ELc67ELc85ELb1ELb1E19rocblas_complex_numIfEPKS1_S3_PS1_EviT_T9_T10_S5_lS7_S5_lS6_T11_S5_li,"axG",@progbits,_ZL29rocblas_internal_gemmt_kernelIlLi16ELi32ELi8ELc67ELc67ELc85ELb1ELb1E19rocblas_complex_numIfEPKS1_S3_PS1_EviT_T9_T10_S5_lS7_S5_lS6_T11_S5_li,comdat
.Lfunc_end224:
	.size	_ZL29rocblas_internal_gemmt_kernelIlLi16ELi32ELi8ELc67ELc67ELc85ELb1ELb1E19rocblas_complex_numIfEPKS1_S3_PS1_EviT_T9_T10_S5_lS7_S5_lS6_T11_S5_li, .Lfunc_end224-_ZL29rocblas_internal_gemmt_kernelIlLi16ELi32ELi8ELc67ELc67ELc85ELb1ELb1E19rocblas_complex_numIfEPKS1_S3_PS1_EviT_T9_T10_S5_lS7_S5_lS6_T11_S5_li
                                        ; -- End function
	.set _ZL29rocblas_internal_gemmt_kernelIlLi16ELi32ELi8ELc67ELc67ELc85ELb1ELb1E19rocblas_complex_numIfEPKS1_S3_PS1_EviT_T9_T10_S5_lS7_S5_lS6_T11_S5_li.num_vgpr, 61
	.set _ZL29rocblas_internal_gemmt_kernelIlLi16ELi32ELi8ELc67ELc67ELc85ELb1ELb1E19rocblas_complex_numIfEPKS1_S3_PS1_EviT_T9_T10_S5_lS7_S5_lS6_T11_S5_li.num_agpr, 0
	.set _ZL29rocblas_internal_gemmt_kernelIlLi16ELi32ELi8ELc67ELc67ELc85ELb1ELb1E19rocblas_complex_numIfEPKS1_S3_PS1_EviT_T9_T10_S5_lS7_S5_lS6_T11_S5_li.numbered_sgpr, 44
	.set _ZL29rocblas_internal_gemmt_kernelIlLi16ELi32ELi8ELc67ELc67ELc85ELb1ELb1E19rocblas_complex_numIfEPKS1_S3_PS1_EviT_T9_T10_S5_lS7_S5_lS6_T11_S5_li.num_named_barrier, 0
	.set _ZL29rocblas_internal_gemmt_kernelIlLi16ELi32ELi8ELc67ELc67ELc85ELb1ELb1E19rocblas_complex_numIfEPKS1_S3_PS1_EviT_T9_T10_S5_lS7_S5_lS6_T11_S5_li.private_seg_size, 0
	.set _ZL29rocblas_internal_gemmt_kernelIlLi16ELi32ELi8ELc67ELc67ELc85ELb1ELb1E19rocblas_complex_numIfEPKS1_S3_PS1_EviT_T9_T10_S5_lS7_S5_lS6_T11_S5_li.uses_vcc, 1
	.set _ZL29rocblas_internal_gemmt_kernelIlLi16ELi32ELi8ELc67ELc67ELc85ELb1ELb1E19rocblas_complex_numIfEPKS1_S3_PS1_EviT_T9_T10_S5_lS7_S5_lS6_T11_S5_li.uses_flat_scratch, 0
	.set _ZL29rocblas_internal_gemmt_kernelIlLi16ELi32ELi8ELc67ELc67ELc85ELb1ELb1E19rocblas_complex_numIfEPKS1_S3_PS1_EviT_T9_T10_S5_lS7_S5_lS6_T11_S5_li.has_dyn_sized_stack, 0
	.set _ZL29rocblas_internal_gemmt_kernelIlLi16ELi32ELi8ELc67ELc67ELc85ELb1ELb1E19rocblas_complex_numIfEPKS1_S3_PS1_EviT_T9_T10_S5_lS7_S5_lS6_T11_S5_li.has_recursion, 0
	.set _ZL29rocblas_internal_gemmt_kernelIlLi16ELi32ELi8ELc67ELc67ELc85ELb1ELb1E19rocblas_complex_numIfEPKS1_S3_PS1_EviT_T9_T10_S5_lS7_S5_lS6_T11_S5_li.has_indirect_call, 0
	.section	.AMDGPU.csdata,"",@progbits
; Kernel info:
; codeLenInByte = 2640
; TotalNumSgprs: 46
; NumVgprs: 61
; ScratchSize: 0
; MemoryBound: 0
; FloatMode: 240
; IeeeMode: 1
; LDSByteSize: 4096 bytes/workgroup (compile time only)
; SGPRBlocks: 0
; VGPRBlocks: 7
; NumSGPRsForWavesPerEU: 46
; NumVGPRsForWavesPerEU: 61
; Occupancy: 16
; WaveLimiterHint : 0
; COMPUTE_PGM_RSRC2:SCRATCH_EN: 0
; COMPUTE_PGM_RSRC2:USER_SGPR: 6
; COMPUTE_PGM_RSRC2:TRAP_HANDLER: 0
; COMPUTE_PGM_RSRC2:TGID_X_EN: 1
; COMPUTE_PGM_RSRC2:TGID_Y_EN: 1
; COMPUTE_PGM_RSRC2:TGID_Z_EN: 1
; COMPUTE_PGM_RSRC2:TIDIG_COMP_CNT: 1
	.section	.text._ZL29rocblas_internal_gemmt_kernelIlLi16ELi32ELi8ELc78ELc78ELc76ELb0ELb0E19rocblas_complex_numIfEPKS1_S3_PS1_EviT_T9_T10_S5_lS7_S5_lS6_T11_S5_li,"axG",@progbits,_ZL29rocblas_internal_gemmt_kernelIlLi16ELi32ELi8ELc78ELc78ELc76ELb0ELb0E19rocblas_complex_numIfEPKS1_S3_PS1_EviT_T9_T10_S5_lS7_S5_lS6_T11_S5_li,comdat
	.globl	_ZL29rocblas_internal_gemmt_kernelIlLi16ELi32ELi8ELc78ELc78ELc76ELb0ELb0E19rocblas_complex_numIfEPKS1_S3_PS1_EviT_T9_T10_S5_lS7_S5_lS6_T11_S5_li ; -- Begin function _ZL29rocblas_internal_gemmt_kernelIlLi16ELi32ELi8ELc78ELc78ELc76ELb0ELb0E19rocblas_complex_numIfEPKS1_S3_PS1_EviT_T9_T10_S5_lS7_S5_lS6_T11_S5_li
	.p2align	8
	.type	_ZL29rocblas_internal_gemmt_kernelIlLi16ELi32ELi8ELc78ELc78ELc76ELb0ELb0E19rocblas_complex_numIfEPKS1_S3_PS1_EviT_T9_T10_S5_lS7_S5_lS6_T11_S5_li,@function
_ZL29rocblas_internal_gemmt_kernelIlLi16ELi32ELi8ELc78ELc78ELc76ELb0ELb0E19rocblas_complex_numIfEPKS1_S3_PS1_EviT_T9_T10_S5_lS7_S5_lS6_T11_S5_li: ; @_ZL29rocblas_internal_gemmt_kernelIlLi16ELi32ELi8ELc78ELc78ELc76ELb0ELb0E19rocblas_complex_numIfEPKS1_S3_PS1_EviT_T9_T10_S5_lS7_S5_lS6_T11_S5_li
; %bb.0:
	s_clause 0x1
	s_load_dwordx8 s[36:43], s[4:5], 0x48
	s_load_dwordx16 s[12:27], s[4:5], 0x8
	s_waitcnt lgkmcnt(0)
	s_load_dwordx2 s[10:11], s[36:37], 0x0
	s_load_dwordx2 s[14:15], s[14:15], 0x0
	s_waitcnt lgkmcnt(0)
	s_and_b32 s0, s11, 0x7fffffff
	v_cmp_eq_f32_e64 s1, s10, 1.0
	s_cmp_eq_u32 s0, 0
	s_mov_b32 s0, 0
	s_cselect_b32 s9, -1, 0
	s_and_b32 s1, s1, s9
	s_andn2_b32 vcc_lo, exec_lo, s1
	s_mov_b32 s1, -1
	s_cbranch_vccnz .LBB225_4
; %bb.1:
	s_cmp_lg_u64 s[12:13], 0
	s_cbranch_scc0 .LBB225_3
; %bb.2:
	v_cmp_neq_f32_e64 s0, s14, 0
	v_cmp_neq_f32_e64 s1, s15, 0
	s_or_b32 s0, s0, s1
.LBB225_3:
	s_mov_b32 s1, s0
.LBB225_4:
	s_and_b32 vcc_lo, exec_lo, s1
	s_cbranch_vccz .LBB225_34
; %bb.5:
	s_load_dword s4, s[4:5], 0x0
	v_cmp_eq_f32_e64 s0, s14, 0
	v_cmp_eq_f32_e64 s1, s15, 0
	v_cmp_lt_i64_e64 s2, s[12:13], 1
	v_mov_b32_e32 v22, 0
	v_mov_b32_e32 v23, 0
	;; [unrolled: 1-line block ×3, first 2 shown]
	s_and_b32 s0, s0, s1
	v_mov_b32_e32 v21, 0
	v_mov_b32_e32 v18, 0
	;; [unrolled: 1-line block ×5, first 2 shown]
	s_or_b32 s0, s0, s2
	s_lshl_b32 s5, s6, 5
	s_and_b32 vcc_lo, exec_lo, s0
	s_lshl_b32 s6, s7, 5
	s_cbranch_vccnz .LBB225_18
; %bb.6:
	v_lshl_add_u32 v3, v1, 4, v0
	s_mul_i32 s1, s27, s8
	s_mul_hi_u32 s2, s26, s8
	s_mul_i32 s0, s26, s8
	s_add_i32 s1, s2, s1
	v_lshrrev_b32_e32 v11, 3, v3
	v_and_b32_e32 v8, 31, v3
	s_lshl_b64 s[0:1], s[0:1], 3
	v_and_b32_e32 v6, 7, v0
	v_lshrrev_b32_e32 v7, 5, v3
	v_add_nc_u32_e32 v12, s6, v11
	v_or_b32_e32 v2, s5, v8
	s_mul_i32 s3, s21, s8
	s_mul_hi_u32 s7, s20, s8
	s_mul_i32 s2, s20, s8
	v_ashrrev_i32_e32 v4, 31, v12
	v_mul_lo_u32 v9, s25, v12
	v_ashrrev_i32_e32 v3, 31, v2
	s_add_u32 s20, s22, s0
	s_addc_u32 s21, s23, s1
	v_mul_lo_u32 v10, s24, v4
	v_mad_u64_u32 v[4:5], null, s24, v12, 0
	s_add_i32 s3, s7, s3
	v_lshlrev_b32_e32 v13, 3, v6
	s_lshl_b64 s[0:1], s[2:3], 3
	s_waitcnt lgkmcnt(0)
	v_cmp_le_i32_e64 s7, s4, v2
	s_add_u32 s2, s16, s0
	v_cmp_gt_i32_e64 s0, s4, v2
	v_add3_u32 v5, v5, v10, v9
	v_lshlrev_b64 v[9:10], 3, v[2:3]
	v_lshlrev_b32_e32 v8, 3, v8
	v_lshl_or_b32 v11, v11, 6, v13
	s_addc_u32 s1, s17, s1
	v_lshlrev_b64 v[2:3], 3, v[4:5]
	v_lshlrev_b32_e32 v14, 3, v0
	v_add_co_u32 v9, vcc_lo, s2, v9
	v_add_co_ci_u32_e64 v10, null, s1, v10, vcc_lo
	v_cmp_gt_i32_e32 vcc_lo, s4, v12
	v_add_co_u32 v12, s1, s20, v2
	v_lshl_or_b32 v8, v7, 8, v8
	v_add_nc_u32_e32 v11, 0x800, v11
	v_add_co_ci_u32_e64 v13, null, s21, v3, s1
	v_lshl_add_u32 v15, v1, 6, 0x800
	v_mov_b32_e32 v3, 0
	v_mov_b32_e32 v17, 0
	;; [unrolled: 1-line block ×9, first 2 shown]
	s_mov_b64 s[2:3], 0
	s_xor_b32 s1, vcc_lo, -1
                                        ; implicit-def: $vgpr4_vgpr5
	s_branch .LBB225_8
.LBB225_7:                              ;   in Loop: Header=BB225_8 Depth=1
	s_or_b32 exec_lo, exec_lo, s16
	s_waitcnt lgkmcnt(0)
	s_barrier
	buffer_gl0_inv
	ds_read_b128 v[24:27], v15
	ds_read2_b64 v[28:31], v14 offset1:16
	ds_read_b128 v[32:35], v15 offset:1024
	ds_read_b128 v[36:39], v15 offset:16
	;; [unrolled: 1-line block ×4, first 2 shown]
	ds_read2_b64 v[48:51], v14 offset0:32 offset1:48
	ds_read_b128 v[52:55], v15 offset:1040
	s_add_u32 s2, s2, 8
	s_addc_u32 s3, s3, 0
	v_cmp_gt_i64_e64 s16, s[12:13], s[2:3]
	s_and_b32 vcc_lo, exec_lo, s16
	s_waitcnt lgkmcnt(6)
	v_mul_f32_e32 v2, v25, v29
	v_mul_f32_e32 v56, v24, v29
	;; [unrolled: 1-line block ×4, first 2 shown]
	s_waitcnt lgkmcnt(5)
	v_mul_f32_e32 v59, v33, v29
	v_mul_f32_e32 v29, v32, v29
	;; [unrolled: 1-line block ×3, first 2 shown]
	v_fma_f32 v2, v24, v28, -v2
	v_fmac_f32_e32 v56, v25, v28
	v_fma_f32 v24, v24, v30, -v57
	v_fmac_f32_e32 v58, v25, v30
	;; [unrolled: 2-line block ×3, first 2 shown]
	v_mul_f32_e32 v31, v32, v31
	v_fma_f32 v28, v32, v30, -v60
	v_add_f32_e32 v2, v22, v2
	v_add_f32_e32 v22, v23, v56
	;; [unrolled: 1-line block ×6, first 2 shown]
	s_waitcnt lgkmcnt(1)
	v_mul_f32_e32 v32, v27, v49
	ds_read2_b64 v[18:21], v14 offset0:64 offset1:80
	v_fmac_f32_e32 v31, v33, v30
	v_add_f32_e32 v16, v16, v28
	v_mul_f32_e32 v28, v26, v49
	v_fma_f32 v30, v26, v48, -v32
	v_mul_f32_e32 v32, v27, v51
	v_add_f32_e32 v17, v17, v31
	v_mul_f32_e32 v31, v26, v51
	v_fmac_f32_e32 v28, v27, v48
	v_add_f32_e32 v2, v2, v30
	v_fma_f32 v26, v26, v50, -v32
	v_mul_f32_e32 v30, v35, v49
	v_fmac_f32_e32 v31, v27, v50
	v_add_f32_e32 v28, v22, v28
	v_mul_f32_e32 v22, v34, v49
	v_add_f32_e32 v26, v23, v26
	v_fma_f32 v23, v34, v48, -v30
	v_mul_f32_e32 v27, v35, v51
	v_add_f32_e32 v30, v24, v31
	v_fmac_f32_e32 v22, v35, v48
	v_mul_f32_e32 v31, v34, v51
	v_add_f32_e32 v32, v25, v23
	v_fma_f32 v23, v34, v50, -v27
	s_waitcnt lgkmcnt(0)
	v_mul_f32_e32 v24, v37, v19
	v_add_f32_e32 v27, v29, v22
	v_fmac_f32_e32 v31, v35, v50
	v_mul_f32_e32 v29, v36, v19
	v_add_f32_e32 v16, v16, v23
	v_fma_f32 v33, v36, v18, -v24
	v_mul_f32_e32 v34, v37, v21
	ds_read2_b64 v[22:25], v14 offset0:96 offset1:112
	v_fmac_f32_e32 v29, v37, v18
	v_add_f32_e32 v31, v17, v31
	v_add_f32_e32 v2, v2, v33
	v_mul_f32_e32 v17, v36, v21
	v_fma_f32 v33, v36, v20, -v34
	v_add_f32_e32 v28, v28, v29
	v_mul_f32_e32 v29, v53, v19
	v_mul_f32_e32 v19, v52, v19
	v_fmac_f32_e32 v17, v37, v20
	v_add_f32_e32 v26, v26, v33
	v_mul_f32_e32 v33, v53, v21
	v_mul_f32_e32 v21, v52, v21
	v_fmac_f32_e32 v19, v53, v18
	v_add_f32_e32 v30, v30, v17
	v_fma_f32 v29, v52, v18, -v29
	v_fma_f32 v17, v52, v20, -v33
	v_fmac_f32_e32 v21, v53, v20
	v_add_f32_e32 v33, v27, v19
	s_waitcnt lgkmcnt(0)
	v_mul_f32_e32 v20, v39, v23
	v_add_f32_e32 v34, v16, v17
	ds_read2_b64 v[16:19], v14 offset0:128 offset1:144
	v_add_f32_e32 v32, v32, v29
	v_mul_f32_e32 v27, v38, v23
	v_mul_f32_e32 v29, v39, v25
	v_fma_f32 v20, v38, v22, -v20
	v_add_f32_e32 v31, v31, v21
	v_mul_f32_e32 v21, v38, v25
	v_fmac_f32_e32 v27, v39, v22
	v_fma_f32 v29, v38, v24, -v29
	v_add_f32_e32 v2, v2, v20
	v_mul_f32_e32 v20, v55, v23
	v_fmac_f32_e32 v21, v39, v24
	v_add_f32_e32 v35, v28, v27
	v_add_f32_e32 v36, v26, v29
	v_mul_f32_e32 v23, v54, v23
	v_fma_f32 v20, v54, v22, -v20
	v_mul_f32_e32 v37, v55, v25
	ds_read_b128 v[26:29], v15 offset:1056
	v_add_f32_e32 v38, v30, v21
	v_fmac_f32_e32 v23, v55, v22
	v_mul_f32_e32 v25, v54, v25
	v_fma_f32 v21, v54, v24, -v37
	v_add_f32_e32 v37, v32, v20
	s_waitcnt lgkmcnt(1)
	v_mul_f32_e32 v20, v41, v17
	v_add_f32_e32 v39, v33, v23
	v_fmac_f32_e32 v25, v55, v24
	v_add_f32_e32 v24, v34, v21
	v_mul_f32_e32 v32, v41, v19
	v_fma_f32 v30, v40, v16, -v20
	ds_read2_b64 v[20:23], v14 offset0:160 offset1:176
	v_mul_f32_e32 v34, v40, v17
	v_add_f32_e32 v25, v31, v25
	v_fma_f32 v48, v40, v18, -v32
	v_mul_f32_e32 v40, v40, v19
	v_add_f32_e32 v2, v2, v30
	v_fmac_f32_e32 v34, v41, v16
	ds_read_b128 v[30:33], v15 offset:1072
	s_waitcnt lgkmcnt(2)
	v_mul_f32_e32 v49, v27, v17
	v_mul_f32_e32 v17, v26, v17
	v_fmac_f32_e32 v40, v41, v18
	v_mul_f32_e32 v41, v27, v19
	v_add_f32_e32 v34, v35, v34
	v_add_f32_e32 v35, v36, v48
	v_fma_f32 v36, v26, v16, -v49
	v_fmac_f32_e32 v17, v27, v16
	v_add_f32_e32 v38, v38, v40
	v_mul_f32_e32 v40, v26, v19
	v_fma_f32 v16, v26, v18, -v41
	v_add_f32_e32 v36, v37, v36
	v_add_f32_e32 v26, v39, v17
	s_waitcnt lgkmcnt(1)
	v_mul_f32_e32 v37, v43, v21
	v_fmac_f32_e32 v40, v27, v18
	v_add_f32_e32 v24, v24, v16
	ds_read2_b64 v[16:19], v14 offset0:192 offset1:208
	v_mul_f32_e32 v27, v42, v21
	v_fma_f32 v37, v42, v20, -v37
	v_mul_f32_e32 v39, v43, v23
	v_add_f32_e32 v40, v25, v40
	v_mul_f32_e32 v25, v42, v23
	v_fmac_f32_e32 v27, v43, v20
	v_add_f32_e32 v2, v2, v37
	v_fma_f32 v37, v42, v22, -v39
	v_fmac_f32_e32 v25, v43, v22
	v_add_f32_e32 v34, v34, v27
	v_mul_f32_e32 v27, v29, v21
	v_mul_f32_e32 v21, v28, v21
	v_add_f32_e32 v35, v35, v37
	v_mul_f32_e32 v37, v29, v23
	v_add_f32_e32 v38, v38, v25
	v_fma_f32 v27, v28, v20, -v27
	v_fmac_f32_e32 v21, v29, v20
	v_mul_f32_e32 v20, v28, v23
	v_fma_f32 v23, v28, v22, -v37
	s_waitcnt lgkmcnt(0)
	v_mul_f32_e32 v25, v45, v17
	v_add_f32_e32 v28, v36, v27
	v_add_f32_e32 v21, v26, v21
	v_fmac_f32_e32 v20, v29, v22
	v_add_f32_e32 v22, v24, v23
	v_fma_f32 v29, v44, v16, -v25
	ds_read2_b64 v[24:27], v14 offset0:224 offset1:240
	v_mul_f32_e32 v23, v44, v17
	v_mul_f32_e32 v37, v31, v17
	;; [unrolled: 1-line block ×4, first 2 shown]
	v_add_f32_e32 v2, v2, v29
	v_fmac_f32_e32 v23, v45, v16
	v_mul_f32_e32 v29, v44, v19
	v_fmac_f32_e32 v17, v31, v16
	v_fma_f32 v36, v44, v18, -v36
	v_add_f32_e32 v20, v40, v20
	v_add_f32_e32 v23, v34, v23
	v_fma_f32 v34, v30, v16, -v37
	v_mul_f32_e32 v16, v31, v19
	v_mul_f32_e32 v19, v30, v19
	v_fmac_f32_e32 v29, v45, v18
	v_add_f32_e32 v17, v21, v17
	v_add_f32_e32 v35, v35, v36
	v_fma_f32 v16, v30, v18, -v16
	v_fmac_f32_e32 v19, v31, v18
	s_waitcnt lgkmcnt(0)
	v_mul_f32_e32 v21, v47, v25
	v_mul_f32_e32 v18, v47, v27
	v_add_f32_e32 v28, v28, v34
	v_mul_f32_e32 v30, v46, v25
	v_add_f32_e32 v16, v22, v16
	v_fma_f32 v21, v46, v24, -v21
	v_fma_f32 v18, v46, v26, -v18
	v_mul_f32_e32 v31, v46, v27
	v_add_f32_e32 v34, v20, v19
	v_mul_f32_e32 v19, v32, v25
	v_add_f32_e32 v22, v2, v21
	v_add_f32_e32 v20, v35, v18
	v_mul_f32_e32 v2, v33, v25
	v_mul_f32_e32 v18, v33, v27
	;; [unrolled: 1-line block ×3, first 2 shown]
	v_add_f32_e32 v29, v38, v29
	v_fmac_f32_e32 v30, v47, v24
	v_fmac_f32_e32 v31, v47, v26
	v_fma_f32 v2, v32, v24, -v2
	v_fmac_f32_e32 v19, v33, v24
	v_fma_f32 v24, v32, v26, -v18
	v_fmac_f32_e32 v25, v33, v26
	v_add_f32_e32 v23, v23, v30
	v_add_f32_e32 v21, v29, v31
	;; [unrolled: 1-line block ×6, first 2 shown]
	s_barrier
	buffer_gl0_inv
	s_cbranch_vccz .LBB225_18
.LBB225_8:                              ; =>This Inner Loop Header: Depth=1
	s_mov_b32 s20, s7
	s_mov_b32 s16, 0
	s_and_saveexec_b32 s17, s0
	s_cbranch_execnz .LBB225_16
; %bb.9:                                ;   in Loop: Header=BB225_8 Depth=1
	s_or_b32 exec_lo, exec_lo, s17
	s_and_saveexec_b32 s17, s20
	s_xor_b32 s17, exec_lo, s17
	s_cbranch_execnz .LBB225_17
.LBB225_10:                             ;   in Loop: Header=BB225_8 Depth=1
	s_or_b32 exec_lo, exec_lo, s17
	s_and_saveexec_b32 s17, s16
	s_cbranch_execz .LBB225_12
.LBB225_11:                             ;   in Loop: Header=BB225_8 Depth=1
	v_mul_lo_u32 v2, s19, v4
	v_mul_lo_u32 v26, s18, v5
	v_mad_u64_u32 v[24:25], null, s18, v4, 0
	v_add3_u32 v25, v25, v26, v2
	v_lshlrev_b64 v[24:25], 3, v[24:25]
	v_add_co_u32 v24, vcc_lo, v9, v24
	v_add_co_ci_u32_e64 v25, null, v10, v25, vcc_lo
	global_load_dwordx2 v[24:25], v[24:25], off
	s_waitcnt vmcnt(0)
	ds_write_b64 v8, v[24:25]
.LBB225_12:                             ;   in Loop: Header=BB225_8 Depth=1
	s_or_b32 exec_lo, exec_lo, s17
	v_add_nc_u32_e32 v2, s2, v6
	v_cmp_le_u64_e32 vcc_lo, s[12:13], v[2:3]
	s_or_b32 s16, vcc_lo, s1
	s_and_saveexec_b32 s17, s16
	s_xor_b32 s16, exec_lo, s17
; %bb.13:                               ;   in Loop: Header=BB225_8 Depth=1
	v_mov_b32_e32 v2, v3
	ds_write_b64 v11, v[2:3]
; %bb.14:                               ;   in Loop: Header=BB225_8 Depth=1
	s_andn2_saveexec_b32 s16, s16
	s_cbranch_execz .LBB225_7
; %bb.15:                               ;   in Loop: Header=BB225_8 Depth=1
	v_lshlrev_b64 v[24:25], 3, v[2:3]
	v_add_co_u32 v24, vcc_lo, v12, v24
	v_add_co_ci_u32_e64 v25, null, v13, v25, vcc_lo
	global_load_dwordx2 v[24:25], v[24:25], off
	s_waitcnt vmcnt(0)
	ds_write_b64 v11, v[24:25]
	s_branch .LBB225_7
.LBB225_16:                             ;   in Loop: Header=BB225_8 Depth=1
	v_add_nc_u32_e32 v2, s2, v7
	v_mov_b32_e32 v5, v3
	s_andn2_b32 s20, s7, exec_lo
	s_mov_b32 s16, exec_lo
	v_cmp_le_u64_e32 vcc_lo, s[12:13], v[2:3]
	v_mov_b32_e32 v4, v2
	s_and_b32 s21, vcc_lo, exec_lo
	s_or_b32 s20, s20, s21
	s_or_b32 exec_lo, exec_lo, s17
	s_and_saveexec_b32 s17, s20
	s_xor_b32 s17, exec_lo, s17
	s_cbranch_execz .LBB225_10
.LBB225_17:                             ;   in Loop: Header=BB225_8 Depth=1
	v_mov_b32_e32 v2, v3
	s_andn2_b32 s16, s16, exec_lo
	ds_write_b64 v8, v[2:3]
	s_or_b32 exec_lo, exec_lo, s17
	s_and_saveexec_b32 s17, s16
	s_cbranch_execnz .LBB225_11
	s_branch .LBB225_12
.LBB225_18:
	v_add_nc_u32_e32 v9, s6, v1
	s_mul_i32 s1, s43, s8
	s_mul_hi_u32 s2, s42, s8
	s_mul_i32 s0, s42, s8
	s_add_i32 s1, s2, s1
	v_ashrrev_i32_e32 v3, 31, v9
	v_mul_lo_u32 v4, s41, v9
	v_mad_u64_u32 v[1:2], null, s40, v9, 0
	v_add_nc_u32_e32 v0, s5, v0
	v_mul_lo_u32 v3, s40, v3
	v_cmp_neq_f32_e64 s2, s10, 0
	s_lshl_b64 s[6:7], s[0:1], 3
	s_add_u32 s3, s38, s6
	s_addc_u32 s5, s39, s7
	s_xor_b32 s6, s9, -1
	v_cmp_le_i32_e32 vcc_lo, v9, v0
	v_add3_u32 v2, v2, v3, v4
	s_waitcnt lgkmcnt(0)
	v_cmp_gt_i32_e64 s0, s4, v0
	s_or_b32 s2, s2, s6
	v_cndmask_b32_e64 v8, 0, 1, s2
	v_lshlrev_b64 v[2:3], 3, v[1:2]
	v_ashrrev_i32_e32 v1, 31, v0
	s_and_b32 s6, vcc_lo, s0
	v_add_co_u32 v6, s1, s3, v2
	v_add_co_ci_u32_e64 v7, null, s5, v3, s1
	s_and_saveexec_b32 s1, s6
	s_cbranch_execz .LBB225_22
; %bb.19:
	v_lshlrev_b64 v[4:5], 3, v[0:1]
	v_mul_f32_e32 v2, s15, v23
	v_mul_f32_e32 v3, s14, v23
	v_fma_f32 v2, v22, s14, -v2
	v_add_co_u32 v4, vcc_lo, v6, v4
	v_fmac_f32_e32 v3, s15, v22
	v_add_co_ci_u32_e64 v5, null, v7, v5, vcc_lo
	s_andn2_b32 vcc_lo, exec_lo, s2
	s_cbranch_vccnz .LBB225_21
; %bb.20:
	global_load_dwordx2 v[10:11], v[4:5], off
	s_waitcnt vmcnt(0)
	v_mul_f32_e32 v12, s11, v11
	v_mul_f32_e32 v11, s10, v11
	v_fma_f32 v12, v10, s10, -v12
	v_fmac_f32_e32 v11, s11, v10
	v_add_f32_e32 v2, v2, v12
	v_add_f32_e32 v3, v3, v11
.LBB225_21:
	global_store_dwordx2 v[4:5], v[2:3], off
.LBB225_22:
	s_or_b32 exec_lo, exec_lo, s1
	v_add_nc_u32_e32 v2, 16, v0
	v_cmp_le_i32_e32 vcc_lo, v9, v2
	v_cmp_gt_i32_e64 s1, s4, v2
	v_ashrrev_i32_e32 v3, 31, v2
	s_and_b32 s2, vcc_lo, s1
	s_and_saveexec_b32 s4, s2
	s_cbranch_execz .LBB225_26
; %bb.23:
	v_lshlrev_b64 v[10:11], 3, v[2:3]
	v_mul_f32_e32 v4, s15, v21
	v_mul_f32_e32 v5, s14, v21
	v_cmp_ne_u32_e32 vcc_lo, 1, v8
	v_fma_f32 v4, v20, s14, -v4
	v_add_co_u32 v6, s2, v6, v10
	v_fmac_f32_e32 v5, s15, v20
	v_add_co_ci_u32_e64 v7, null, v7, v11, s2
	s_cbranch_vccnz .LBB225_25
; %bb.24:
	global_load_dwordx2 v[10:11], v[6:7], off
	s_waitcnt vmcnt(0)
	v_mul_f32_e32 v12, s11, v11
	v_mul_f32_e32 v11, s10, v11
	v_fma_f32 v12, v10, s10, -v12
	v_fmac_f32_e32 v11, s11, v10
	v_add_f32_e32 v4, v4, v12
	v_add_f32_e32 v5, v5, v11
.LBB225_25:
	global_store_dwordx2 v[6:7], v[4:5], off
.LBB225_26:
	s_or_b32 exec_lo, exec_lo, s4
	v_add_nc_u32_e32 v9, 16, v9
	v_ashrrev_i32_e32 v6, 31, v9
	v_mul_lo_u32 v7, s41, v9
	v_mad_u64_u32 v[4:5], null, s40, v9, 0
	v_cmp_le_i32_e32 vcc_lo, v9, v0
	v_mul_lo_u32 v6, s40, v6
	s_and_b32 s0, vcc_lo, s0
	v_add3_u32 v5, v5, v6, v7
	v_lshlrev_b64 v[4:5], 3, v[4:5]
	v_add_co_u32 v6, s2, s3, v4
	v_add_co_ci_u32_e64 v7, null, s5, v5, s2
	s_and_saveexec_b32 s2, s0
	s_cbranch_execz .LBB225_30
; %bb.27:
	v_lshlrev_b64 v[0:1], 3, v[0:1]
	v_mul_f32_e32 v4, s15, v19
	v_mul_f32_e32 v5, s14, v19
	v_cmp_ne_u32_e32 vcc_lo, 1, v8
	v_fma_f32 v4, v18, s14, -v4
	v_add_co_u32 v0, s0, v6, v0
	v_fmac_f32_e32 v5, s15, v18
	v_add_co_ci_u32_e64 v1, null, v7, v1, s0
	s_cbranch_vccnz .LBB225_29
; %bb.28:
	global_load_dwordx2 v[10:11], v[0:1], off
	s_waitcnt vmcnt(0)
	v_mul_f32_e32 v12, s11, v11
	v_mul_f32_e32 v11, s10, v11
	v_fma_f32 v12, v10, s10, -v12
	v_fmac_f32_e32 v11, s11, v10
	v_add_f32_e32 v4, v4, v12
	v_add_f32_e32 v5, v5, v11
.LBB225_29:
	global_store_dwordx2 v[0:1], v[4:5], off
.LBB225_30:
	s_or_b32 exec_lo, exec_lo, s2
	v_cmp_le_i32_e32 vcc_lo, v9, v2
	s_and_b32 s0, vcc_lo, s1
	s_and_saveexec_b32 s1, s0
	s_cbranch_execz .LBB225_34
; %bb.31:
	v_lshlrev_b64 v[2:3], 3, v[2:3]
	v_mul_f32_e32 v0, s15, v17
	v_mul_f32_e32 v1, s14, v17
	v_cmp_ne_u32_e32 vcc_lo, 1, v8
	v_fma_f32 v0, v16, s14, -v0
	v_add_co_u32 v2, s0, v6, v2
	v_fmac_f32_e32 v1, s15, v16
	v_add_co_ci_u32_e64 v3, null, v7, v3, s0
	s_cbranch_vccnz .LBB225_33
; %bb.32:
	global_load_dwordx2 v[4:5], v[2:3], off
	s_waitcnt vmcnt(0)
	v_mul_f32_e32 v6, s11, v5
	v_mul_f32_e32 v5, s10, v5
	v_fma_f32 v6, v4, s10, -v6
	v_fmac_f32_e32 v5, s11, v4
	v_add_f32_e32 v0, v0, v6
	v_add_f32_e32 v1, v1, v5
.LBB225_33:
	global_store_dwordx2 v[2:3], v[0:1], off
.LBB225_34:
	s_endpgm
	.section	.rodata,"a",@progbits
	.p2align	6, 0x0
	.amdhsa_kernel _ZL29rocblas_internal_gemmt_kernelIlLi16ELi32ELi8ELc78ELc78ELc76ELb0ELb0E19rocblas_complex_numIfEPKS1_S3_PS1_EviT_T9_T10_S5_lS7_S5_lS6_T11_S5_li
		.amdhsa_group_segment_fixed_size 4096
		.amdhsa_private_segment_fixed_size 0
		.amdhsa_kernarg_size 108
		.amdhsa_user_sgpr_count 6
		.amdhsa_user_sgpr_private_segment_buffer 1
		.amdhsa_user_sgpr_dispatch_ptr 0
		.amdhsa_user_sgpr_queue_ptr 0
		.amdhsa_user_sgpr_kernarg_segment_ptr 1
		.amdhsa_user_sgpr_dispatch_id 0
		.amdhsa_user_sgpr_flat_scratch_init 0
		.amdhsa_user_sgpr_private_segment_size 0
		.amdhsa_wavefront_size32 1
		.amdhsa_uses_dynamic_stack 0
		.amdhsa_system_sgpr_private_segment_wavefront_offset 0
		.amdhsa_system_sgpr_workgroup_id_x 1
		.amdhsa_system_sgpr_workgroup_id_y 1
		.amdhsa_system_sgpr_workgroup_id_z 1
		.amdhsa_system_sgpr_workgroup_info 0
		.amdhsa_system_vgpr_workitem_id 1
		.amdhsa_next_free_vgpr 61
		.amdhsa_next_free_sgpr 44
		.amdhsa_reserve_vcc 1
		.amdhsa_reserve_flat_scratch 0
		.amdhsa_float_round_mode_32 0
		.amdhsa_float_round_mode_16_64 0
		.amdhsa_float_denorm_mode_32 3
		.amdhsa_float_denorm_mode_16_64 3
		.amdhsa_dx10_clamp 1
		.amdhsa_ieee_mode 1
		.amdhsa_fp16_overflow 0
		.amdhsa_workgroup_processor_mode 1
		.amdhsa_memory_ordered 1
		.amdhsa_forward_progress 1
		.amdhsa_shared_vgpr_count 0
		.amdhsa_exception_fp_ieee_invalid_op 0
		.amdhsa_exception_fp_denorm_src 0
		.amdhsa_exception_fp_ieee_div_zero 0
		.amdhsa_exception_fp_ieee_overflow 0
		.amdhsa_exception_fp_ieee_underflow 0
		.amdhsa_exception_fp_ieee_inexact 0
		.amdhsa_exception_int_div_zero 0
	.end_amdhsa_kernel
	.section	.text._ZL29rocblas_internal_gemmt_kernelIlLi16ELi32ELi8ELc78ELc78ELc76ELb0ELb0E19rocblas_complex_numIfEPKS1_S3_PS1_EviT_T9_T10_S5_lS7_S5_lS6_T11_S5_li,"axG",@progbits,_ZL29rocblas_internal_gemmt_kernelIlLi16ELi32ELi8ELc78ELc78ELc76ELb0ELb0E19rocblas_complex_numIfEPKS1_S3_PS1_EviT_T9_T10_S5_lS7_S5_lS6_T11_S5_li,comdat
.Lfunc_end225:
	.size	_ZL29rocblas_internal_gemmt_kernelIlLi16ELi32ELi8ELc78ELc78ELc76ELb0ELb0E19rocblas_complex_numIfEPKS1_S3_PS1_EviT_T9_T10_S5_lS7_S5_lS6_T11_S5_li, .Lfunc_end225-_ZL29rocblas_internal_gemmt_kernelIlLi16ELi32ELi8ELc78ELc78ELc76ELb0ELb0E19rocblas_complex_numIfEPKS1_S3_PS1_EviT_T9_T10_S5_lS7_S5_lS6_T11_S5_li
                                        ; -- End function
	.set _ZL29rocblas_internal_gemmt_kernelIlLi16ELi32ELi8ELc78ELc78ELc76ELb0ELb0E19rocblas_complex_numIfEPKS1_S3_PS1_EviT_T9_T10_S5_lS7_S5_lS6_T11_S5_li.num_vgpr, 61
	.set _ZL29rocblas_internal_gemmt_kernelIlLi16ELi32ELi8ELc78ELc78ELc76ELb0ELb0E19rocblas_complex_numIfEPKS1_S3_PS1_EviT_T9_T10_S5_lS7_S5_lS6_T11_S5_li.num_agpr, 0
	.set _ZL29rocblas_internal_gemmt_kernelIlLi16ELi32ELi8ELc78ELc78ELc76ELb0ELb0E19rocblas_complex_numIfEPKS1_S3_PS1_EviT_T9_T10_S5_lS7_S5_lS6_T11_S5_li.numbered_sgpr, 44
	.set _ZL29rocblas_internal_gemmt_kernelIlLi16ELi32ELi8ELc78ELc78ELc76ELb0ELb0E19rocblas_complex_numIfEPKS1_S3_PS1_EviT_T9_T10_S5_lS7_S5_lS6_T11_S5_li.num_named_barrier, 0
	.set _ZL29rocblas_internal_gemmt_kernelIlLi16ELi32ELi8ELc78ELc78ELc76ELb0ELb0E19rocblas_complex_numIfEPKS1_S3_PS1_EviT_T9_T10_S5_lS7_S5_lS6_T11_S5_li.private_seg_size, 0
	.set _ZL29rocblas_internal_gemmt_kernelIlLi16ELi32ELi8ELc78ELc78ELc76ELb0ELb0E19rocblas_complex_numIfEPKS1_S3_PS1_EviT_T9_T10_S5_lS7_S5_lS6_T11_S5_li.uses_vcc, 1
	.set _ZL29rocblas_internal_gemmt_kernelIlLi16ELi32ELi8ELc78ELc78ELc76ELb0ELb0E19rocblas_complex_numIfEPKS1_S3_PS1_EviT_T9_T10_S5_lS7_S5_lS6_T11_S5_li.uses_flat_scratch, 0
	.set _ZL29rocblas_internal_gemmt_kernelIlLi16ELi32ELi8ELc78ELc78ELc76ELb0ELb0E19rocblas_complex_numIfEPKS1_S3_PS1_EviT_T9_T10_S5_lS7_S5_lS6_T11_S5_li.has_dyn_sized_stack, 0
	.set _ZL29rocblas_internal_gemmt_kernelIlLi16ELi32ELi8ELc78ELc78ELc76ELb0ELb0E19rocblas_complex_numIfEPKS1_S3_PS1_EviT_T9_T10_S5_lS7_S5_lS6_T11_S5_li.has_recursion, 0
	.set _ZL29rocblas_internal_gemmt_kernelIlLi16ELi32ELi8ELc78ELc78ELc76ELb0ELb0E19rocblas_complex_numIfEPKS1_S3_PS1_EviT_T9_T10_S5_lS7_S5_lS6_T11_S5_li.has_indirect_call, 0
	.section	.AMDGPU.csdata,"",@progbits
; Kernel info:
; codeLenInByte = 2620
; TotalNumSgprs: 46
; NumVgprs: 61
; ScratchSize: 0
; MemoryBound: 0
; FloatMode: 240
; IeeeMode: 1
; LDSByteSize: 4096 bytes/workgroup (compile time only)
; SGPRBlocks: 0
; VGPRBlocks: 7
; NumSGPRsForWavesPerEU: 46
; NumVGPRsForWavesPerEU: 61
; Occupancy: 16
; WaveLimiterHint : 0
; COMPUTE_PGM_RSRC2:SCRATCH_EN: 0
; COMPUTE_PGM_RSRC2:USER_SGPR: 6
; COMPUTE_PGM_RSRC2:TRAP_HANDLER: 0
; COMPUTE_PGM_RSRC2:TGID_X_EN: 1
; COMPUTE_PGM_RSRC2:TGID_Y_EN: 1
; COMPUTE_PGM_RSRC2:TGID_Z_EN: 1
; COMPUTE_PGM_RSRC2:TIDIG_COMP_CNT: 1
	.section	.text._ZL29rocblas_internal_gemmt_kernelIlLi16ELi32ELi8ELc78ELc84ELc76ELb0ELb0E19rocblas_complex_numIfEPKS1_S3_PS1_EviT_T9_T10_S5_lS7_S5_lS6_T11_S5_li,"axG",@progbits,_ZL29rocblas_internal_gemmt_kernelIlLi16ELi32ELi8ELc78ELc84ELc76ELb0ELb0E19rocblas_complex_numIfEPKS1_S3_PS1_EviT_T9_T10_S5_lS7_S5_lS6_T11_S5_li,comdat
	.globl	_ZL29rocblas_internal_gemmt_kernelIlLi16ELi32ELi8ELc78ELc84ELc76ELb0ELb0E19rocblas_complex_numIfEPKS1_S3_PS1_EviT_T9_T10_S5_lS7_S5_lS6_T11_S5_li ; -- Begin function _ZL29rocblas_internal_gemmt_kernelIlLi16ELi32ELi8ELc78ELc84ELc76ELb0ELb0E19rocblas_complex_numIfEPKS1_S3_PS1_EviT_T9_T10_S5_lS7_S5_lS6_T11_S5_li
	.p2align	8
	.type	_ZL29rocblas_internal_gemmt_kernelIlLi16ELi32ELi8ELc78ELc84ELc76ELb0ELb0E19rocblas_complex_numIfEPKS1_S3_PS1_EviT_T9_T10_S5_lS7_S5_lS6_T11_S5_li,@function
_ZL29rocblas_internal_gemmt_kernelIlLi16ELi32ELi8ELc78ELc84ELc76ELb0ELb0E19rocblas_complex_numIfEPKS1_S3_PS1_EviT_T9_T10_S5_lS7_S5_lS6_T11_S5_li: ; @_ZL29rocblas_internal_gemmt_kernelIlLi16ELi32ELi8ELc78ELc84ELc76ELb0ELb0E19rocblas_complex_numIfEPKS1_S3_PS1_EviT_T9_T10_S5_lS7_S5_lS6_T11_S5_li
; %bb.0:
	s_clause 0x1
	s_load_dwordx8 s[36:43], s[4:5], 0x48
	s_load_dwordx16 s[12:27], s[4:5], 0x8
	s_waitcnt lgkmcnt(0)
	s_load_dwordx2 s[10:11], s[36:37], 0x0
	s_load_dwordx2 s[14:15], s[14:15], 0x0
	s_waitcnt lgkmcnt(0)
	s_and_b32 s0, s11, 0x7fffffff
	v_cmp_eq_f32_e64 s1, s10, 1.0
	s_cmp_eq_u32 s0, 0
	s_mov_b32 s0, 0
	s_cselect_b32 s9, -1, 0
	s_and_b32 s1, s1, s9
	s_andn2_b32 vcc_lo, exec_lo, s1
	s_mov_b32 s1, -1
	s_cbranch_vccnz .LBB226_4
; %bb.1:
	s_cmp_lg_u64 s[12:13], 0
	s_cbranch_scc0 .LBB226_3
; %bb.2:
	v_cmp_neq_f32_e64 s0, s14, 0
	v_cmp_neq_f32_e64 s1, s15, 0
	s_or_b32 s0, s0, s1
.LBB226_3:
	s_mov_b32 s1, s0
.LBB226_4:
	s_and_b32 vcc_lo, exec_lo, s1
	s_cbranch_vccz .LBB226_34
; %bb.5:
	s_load_dword s4, s[4:5], 0x0
	v_cmp_eq_f32_e64 s0, s14, 0
	v_cmp_eq_f32_e64 s1, s15, 0
	v_cmp_lt_i64_e64 s2, s[12:13], 1
	v_mov_b32_e32 v22, 0
	v_mov_b32_e32 v23, 0
	;; [unrolled: 1-line block ×3, first 2 shown]
	s_and_b32 s0, s0, s1
	v_mov_b32_e32 v21, 0
	v_mov_b32_e32 v18, 0
	;; [unrolled: 1-line block ×5, first 2 shown]
	s_or_b32 s0, s0, s2
	s_lshl_b32 s5, s6, 5
	s_and_b32 vcc_lo, exec_lo, s0
	s_lshl_b32 s6, s7, 5
	s_cbranch_vccnz .LBB226_18
; %bb.6:
	v_lshl_add_u32 v2, v1, 4, v0
	s_mul_i32 s0, s27, s8
	s_mul_hi_u32 s1, s26, s8
	v_and_b32_e32 v6, 7, v0
	s_add_i32 s1, s1, s0
	v_and_b32_e32 v5, 31, v2
	v_lshrrev_b32_e32 v11, 3, v2
	v_lshrrev_b32_e32 v7, 5, v2
	s_mul_i32 s0, s26, s8
	s_mul_hi_u32 s3, s20, s8
	v_or_b32_e32 v2, s5, v5
	v_add_nc_u32_e32 v4, s6, v11
	s_lshl_b64 s[0:1], s[0:1], 3
	v_lshlrev_b32_e32 v8, 3, v5
	s_add_u32 s2, s22, s0
	v_ashrrev_i32_e32 v3, 31, v2
	s_mul_i32 s0, s21, s8
	v_ashrrev_i32_e32 v5, 31, v4
	s_addc_u32 s21, s23, s1
	s_add_i32 s1, s3, s0
	s_mul_i32 s0, s20, s8
	v_lshlrev_b32_e32 v12, 3, v6
	s_lshl_b64 s[0:1], s[0:1], 3
	v_lshlrev_b64 v[9:10], 3, v[2:3]
	s_add_u32 s3, s16, s0
	s_waitcnt lgkmcnt(0)
	v_cmp_gt_i32_e64 s0, s4, v2
	v_cmp_le_i32_e64 s7, s4, v2
	v_lshlrev_b64 v[2:3], 3, v[4:5]
	v_lshl_or_b32 v11, v11, 6, v12
	s_addc_u32 s1, s17, s1
	v_add_co_u32 v9, vcc_lo, s3, v9
	v_add_co_ci_u32_e64 v10, null, s1, v10, vcc_lo
	v_cmp_gt_i32_e32 vcc_lo, s4, v4
	v_add_co_u32 v12, s1, s2, v2
	v_lshl_or_b32 v8, v7, 8, v8
	v_add_nc_u32_e32 v11, 0x800, v11
	v_add_co_ci_u32_e64 v13, null, s21, v3, s1
	v_lshlrev_b32_e32 v14, 3, v0
	v_lshl_add_u32 v15, v1, 6, 0x800
	v_mov_b32_e32 v3, 0
	v_mov_b32_e32 v17, 0
	;; [unrolled: 1-line block ×9, first 2 shown]
	s_mov_b64 s[2:3], 0
	s_xor_b32 s1, vcc_lo, -1
                                        ; implicit-def: $vgpr4_vgpr5
	s_branch .LBB226_8
.LBB226_7:                              ;   in Loop: Header=BB226_8 Depth=1
	s_or_b32 exec_lo, exec_lo, s16
	s_waitcnt lgkmcnt(0)
	s_barrier
	buffer_gl0_inv
	ds_read_b128 v[24:27], v15
	ds_read2_b64 v[28:31], v14 offset1:16
	ds_read_b128 v[32:35], v15 offset:1024
	ds_read_b128 v[36:39], v15 offset:16
	;; [unrolled: 1-line block ×4, first 2 shown]
	ds_read2_b64 v[48:51], v14 offset0:32 offset1:48
	ds_read_b128 v[52:55], v15 offset:1040
	s_add_u32 s2, s2, 8
	s_addc_u32 s3, s3, 0
	v_cmp_gt_i64_e64 s16, s[12:13], s[2:3]
	s_and_b32 vcc_lo, exec_lo, s16
	s_waitcnt lgkmcnt(6)
	v_mul_f32_e32 v2, v25, v29
	v_mul_f32_e32 v56, v24, v29
	;; [unrolled: 1-line block ×4, first 2 shown]
	s_waitcnt lgkmcnt(5)
	v_mul_f32_e32 v59, v33, v29
	v_mul_f32_e32 v29, v32, v29
	;; [unrolled: 1-line block ×3, first 2 shown]
	v_fma_f32 v2, v24, v28, -v2
	v_fmac_f32_e32 v56, v25, v28
	v_fma_f32 v24, v24, v30, -v57
	v_fmac_f32_e32 v58, v25, v30
	;; [unrolled: 2-line block ×3, first 2 shown]
	v_mul_f32_e32 v31, v32, v31
	v_fma_f32 v28, v32, v30, -v60
	v_add_f32_e32 v2, v22, v2
	v_add_f32_e32 v22, v23, v56
	;; [unrolled: 1-line block ×6, first 2 shown]
	s_waitcnt lgkmcnt(1)
	v_mul_f32_e32 v32, v27, v49
	ds_read2_b64 v[18:21], v14 offset0:64 offset1:80
	v_fmac_f32_e32 v31, v33, v30
	v_add_f32_e32 v16, v16, v28
	v_mul_f32_e32 v28, v26, v49
	v_fma_f32 v30, v26, v48, -v32
	v_mul_f32_e32 v32, v27, v51
	v_add_f32_e32 v17, v17, v31
	v_mul_f32_e32 v31, v26, v51
	v_fmac_f32_e32 v28, v27, v48
	v_add_f32_e32 v2, v2, v30
	v_fma_f32 v26, v26, v50, -v32
	v_mul_f32_e32 v30, v35, v49
	v_fmac_f32_e32 v31, v27, v50
	v_add_f32_e32 v28, v22, v28
	v_mul_f32_e32 v22, v34, v49
	v_add_f32_e32 v26, v23, v26
	v_fma_f32 v23, v34, v48, -v30
	v_mul_f32_e32 v27, v35, v51
	v_add_f32_e32 v30, v24, v31
	v_fmac_f32_e32 v22, v35, v48
	v_mul_f32_e32 v31, v34, v51
	v_add_f32_e32 v32, v25, v23
	v_fma_f32 v23, v34, v50, -v27
	s_waitcnt lgkmcnt(0)
	v_mul_f32_e32 v24, v37, v19
	v_add_f32_e32 v27, v29, v22
	v_fmac_f32_e32 v31, v35, v50
	v_mul_f32_e32 v29, v36, v19
	v_add_f32_e32 v16, v16, v23
	v_fma_f32 v33, v36, v18, -v24
	v_mul_f32_e32 v34, v37, v21
	ds_read2_b64 v[22:25], v14 offset0:96 offset1:112
	v_fmac_f32_e32 v29, v37, v18
	v_add_f32_e32 v31, v17, v31
	v_add_f32_e32 v2, v2, v33
	v_mul_f32_e32 v17, v36, v21
	v_fma_f32 v33, v36, v20, -v34
	v_add_f32_e32 v28, v28, v29
	v_mul_f32_e32 v29, v53, v19
	v_mul_f32_e32 v19, v52, v19
	v_fmac_f32_e32 v17, v37, v20
	v_add_f32_e32 v26, v26, v33
	v_mul_f32_e32 v33, v53, v21
	v_mul_f32_e32 v21, v52, v21
	v_fmac_f32_e32 v19, v53, v18
	v_add_f32_e32 v30, v30, v17
	v_fma_f32 v29, v52, v18, -v29
	v_fma_f32 v17, v52, v20, -v33
	v_fmac_f32_e32 v21, v53, v20
	v_add_f32_e32 v33, v27, v19
	s_waitcnt lgkmcnt(0)
	v_mul_f32_e32 v20, v39, v23
	v_add_f32_e32 v34, v16, v17
	ds_read2_b64 v[16:19], v14 offset0:128 offset1:144
	v_add_f32_e32 v32, v32, v29
	v_mul_f32_e32 v27, v38, v23
	v_mul_f32_e32 v29, v39, v25
	v_fma_f32 v20, v38, v22, -v20
	v_add_f32_e32 v31, v31, v21
	v_mul_f32_e32 v21, v38, v25
	v_fmac_f32_e32 v27, v39, v22
	v_fma_f32 v29, v38, v24, -v29
	v_add_f32_e32 v2, v2, v20
	v_mul_f32_e32 v20, v55, v23
	v_fmac_f32_e32 v21, v39, v24
	v_add_f32_e32 v35, v28, v27
	v_add_f32_e32 v36, v26, v29
	v_mul_f32_e32 v23, v54, v23
	v_fma_f32 v20, v54, v22, -v20
	v_mul_f32_e32 v37, v55, v25
	ds_read_b128 v[26:29], v15 offset:1056
	v_add_f32_e32 v38, v30, v21
	v_fmac_f32_e32 v23, v55, v22
	v_mul_f32_e32 v25, v54, v25
	v_fma_f32 v21, v54, v24, -v37
	v_add_f32_e32 v37, v32, v20
	s_waitcnt lgkmcnt(1)
	v_mul_f32_e32 v20, v41, v17
	v_add_f32_e32 v39, v33, v23
	v_fmac_f32_e32 v25, v55, v24
	v_add_f32_e32 v24, v34, v21
	v_mul_f32_e32 v32, v41, v19
	v_fma_f32 v30, v40, v16, -v20
	ds_read2_b64 v[20:23], v14 offset0:160 offset1:176
	v_mul_f32_e32 v34, v40, v17
	v_add_f32_e32 v25, v31, v25
	v_fma_f32 v48, v40, v18, -v32
	v_mul_f32_e32 v40, v40, v19
	v_add_f32_e32 v2, v2, v30
	v_fmac_f32_e32 v34, v41, v16
	ds_read_b128 v[30:33], v15 offset:1072
	s_waitcnt lgkmcnt(2)
	v_mul_f32_e32 v49, v27, v17
	v_mul_f32_e32 v17, v26, v17
	v_fmac_f32_e32 v40, v41, v18
	v_mul_f32_e32 v41, v27, v19
	v_add_f32_e32 v34, v35, v34
	v_add_f32_e32 v35, v36, v48
	v_fma_f32 v36, v26, v16, -v49
	v_fmac_f32_e32 v17, v27, v16
	v_add_f32_e32 v38, v38, v40
	v_mul_f32_e32 v40, v26, v19
	v_fma_f32 v16, v26, v18, -v41
	v_add_f32_e32 v36, v37, v36
	v_add_f32_e32 v26, v39, v17
	s_waitcnt lgkmcnt(1)
	v_mul_f32_e32 v37, v43, v21
	v_fmac_f32_e32 v40, v27, v18
	v_add_f32_e32 v24, v24, v16
	ds_read2_b64 v[16:19], v14 offset0:192 offset1:208
	v_mul_f32_e32 v27, v42, v21
	v_fma_f32 v37, v42, v20, -v37
	v_mul_f32_e32 v39, v43, v23
	v_add_f32_e32 v40, v25, v40
	v_mul_f32_e32 v25, v42, v23
	v_fmac_f32_e32 v27, v43, v20
	v_add_f32_e32 v2, v2, v37
	v_fma_f32 v37, v42, v22, -v39
	v_fmac_f32_e32 v25, v43, v22
	v_add_f32_e32 v34, v34, v27
	v_mul_f32_e32 v27, v29, v21
	v_mul_f32_e32 v21, v28, v21
	v_add_f32_e32 v35, v35, v37
	v_mul_f32_e32 v37, v29, v23
	v_add_f32_e32 v38, v38, v25
	v_fma_f32 v27, v28, v20, -v27
	v_fmac_f32_e32 v21, v29, v20
	v_mul_f32_e32 v20, v28, v23
	v_fma_f32 v23, v28, v22, -v37
	s_waitcnt lgkmcnt(0)
	v_mul_f32_e32 v25, v45, v17
	v_add_f32_e32 v28, v36, v27
	v_add_f32_e32 v21, v26, v21
	v_fmac_f32_e32 v20, v29, v22
	v_add_f32_e32 v22, v24, v23
	v_fma_f32 v29, v44, v16, -v25
	ds_read2_b64 v[24:27], v14 offset0:224 offset1:240
	v_mul_f32_e32 v23, v44, v17
	v_mul_f32_e32 v37, v31, v17
	;; [unrolled: 1-line block ×4, first 2 shown]
	v_add_f32_e32 v2, v2, v29
	v_fmac_f32_e32 v23, v45, v16
	v_mul_f32_e32 v29, v44, v19
	v_fmac_f32_e32 v17, v31, v16
	v_fma_f32 v36, v44, v18, -v36
	v_add_f32_e32 v20, v40, v20
	v_add_f32_e32 v23, v34, v23
	v_fma_f32 v34, v30, v16, -v37
	v_mul_f32_e32 v16, v31, v19
	v_mul_f32_e32 v19, v30, v19
	v_fmac_f32_e32 v29, v45, v18
	v_add_f32_e32 v17, v21, v17
	v_add_f32_e32 v35, v35, v36
	v_fma_f32 v16, v30, v18, -v16
	v_fmac_f32_e32 v19, v31, v18
	s_waitcnt lgkmcnt(0)
	v_mul_f32_e32 v21, v47, v25
	v_mul_f32_e32 v18, v47, v27
	v_add_f32_e32 v28, v28, v34
	v_mul_f32_e32 v30, v46, v25
	v_add_f32_e32 v16, v22, v16
	v_fma_f32 v21, v46, v24, -v21
	v_fma_f32 v18, v46, v26, -v18
	v_mul_f32_e32 v31, v46, v27
	v_add_f32_e32 v34, v20, v19
	v_mul_f32_e32 v19, v32, v25
	v_add_f32_e32 v22, v2, v21
	v_add_f32_e32 v20, v35, v18
	v_mul_f32_e32 v2, v33, v25
	v_mul_f32_e32 v18, v33, v27
	;; [unrolled: 1-line block ×3, first 2 shown]
	v_add_f32_e32 v29, v38, v29
	v_fmac_f32_e32 v30, v47, v24
	v_fmac_f32_e32 v31, v47, v26
	v_fma_f32 v2, v32, v24, -v2
	v_fmac_f32_e32 v19, v33, v24
	v_fma_f32 v24, v32, v26, -v18
	v_fmac_f32_e32 v25, v33, v26
	v_add_f32_e32 v23, v23, v30
	v_add_f32_e32 v21, v29, v31
	;; [unrolled: 1-line block ×6, first 2 shown]
	s_barrier
	buffer_gl0_inv
	s_cbranch_vccz .LBB226_18
.LBB226_8:                              ; =>This Inner Loop Header: Depth=1
	s_mov_b32 s20, s7
	s_mov_b32 s16, 0
	s_and_saveexec_b32 s17, s0
	s_cbranch_execnz .LBB226_16
; %bb.9:                                ;   in Loop: Header=BB226_8 Depth=1
	s_or_b32 exec_lo, exec_lo, s17
	s_and_saveexec_b32 s17, s20
	s_xor_b32 s17, exec_lo, s17
	s_cbranch_execnz .LBB226_17
.LBB226_10:                             ;   in Loop: Header=BB226_8 Depth=1
	s_or_b32 exec_lo, exec_lo, s17
	s_and_saveexec_b32 s17, s16
	s_cbranch_execz .LBB226_12
.LBB226_11:                             ;   in Loop: Header=BB226_8 Depth=1
	v_mul_lo_u32 v2, s19, v4
	v_mul_lo_u32 v26, s18, v5
	v_mad_u64_u32 v[24:25], null, s18, v4, 0
	v_add3_u32 v25, v25, v26, v2
	v_lshlrev_b64 v[24:25], 3, v[24:25]
	v_add_co_u32 v24, vcc_lo, v9, v24
	v_add_co_ci_u32_e64 v25, null, v10, v25, vcc_lo
	global_load_dwordx2 v[24:25], v[24:25], off
	s_waitcnt vmcnt(0)
	ds_write_b64 v8, v[24:25]
.LBB226_12:                             ;   in Loop: Header=BB226_8 Depth=1
	s_or_b32 exec_lo, exec_lo, s17
	v_add_nc_u32_e32 v2, s2, v6
	v_cmp_le_u64_e32 vcc_lo, s[12:13], v[2:3]
	s_or_b32 s16, vcc_lo, s1
	s_and_saveexec_b32 s17, s16
	s_xor_b32 s16, exec_lo, s17
; %bb.13:                               ;   in Loop: Header=BB226_8 Depth=1
	v_mov_b32_e32 v2, v3
	ds_write_b64 v11, v[2:3]
; %bb.14:                               ;   in Loop: Header=BB226_8 Depth=1
	s_andn2_saveexec_b32 s16, s16
	s_cbranch_execz .LBB226_7
; %bb.15:                               ;   in Loop: Header=BB226_8 Depth=1
	v_mad_u64_u32 v[24:25], null, s24, v2, 0
	v_mad_u64_u32 v[25:26], null, s25, v2, v[25:26]
	v_lshlrev_b64 v[24:25], 3, v[24:25]
	v_add_co_u32 v24, vcc_lo, v12, v24
	v_add_co_ci_u32_e64 v25, null, v13, v25, vcc_lo
	global_load_dwordx2 v[24:25], v[24:25], off
	s_waitcnt vmcnt(0)
	ds_write_b64 v11, v[24:25]
	s_branch .LBB226_7
.LBB226_16:                             ;   in Loop: Header=BB226_8 Depth=1
	v_add_nc_u32_e32 v2, s2, v7
	v_mov_b32_e32 v5, v3
	s_andn2_b32 s20, s7, exec_lo
	s_mov_b32 s16, exec_lo
	v_cmp_le_u64_e32 vcc_lo, s[12:13], v[2:3]
	v_mov_b32_e32 v4, v2
	s_and_b32 s21, vcc_lo, exec_lo
	s_or_b32 s20, s20, s21
	s_or_b32 exec_lo, exec_lo, s17
	s_and_saveexec_b32 s17, s20
	s_xor_b32 s17, exec_lo, s17
	s_cbranch_execz .LBB226_10
.LBB226_17:                             ;   in Loop: Header=BB226_8 Depth=1
	v_mov_b32_e32 v2, v3
	s_andn2_b32 s16, s16, exec_lo
	ds_write_b64 v8, v[2:3]
	s_or_b32 exec_lo, exec_lo, s17
	s_and_saveexec_b32 s17, s16
	s_cbranch_execnz .LBB226_11
	s_branch .LBB226_12
.LBB226_18:
	v_add_nc_u32_e32 v9, s6, v1
	s_mul_i32 s1, s43, s8
	s_mul_hi_u32 s2, s42, s8
	s_mul_i32 s0, s42, s8
	s_add_i32 s1, s2, s1
	v_ashrrev_i32_e32 v3, 31, v9
	v_mul_lo_u32 v4, s41, v9
	v_mad_u64_u32 v[1:2], null, s40, v9, 0
	v_add_nc_u32_e32 v0, s5, v0
	v_mul_lo_u32 v3, s40, v3
	v_cmp_neq_f32_e64 s2, s10, 0
	s_lshl_b64 s[6:7], s[0:1], 3
	s_add_u32 s3, s38, s6
	s_addc_u32 s5, s39, s7
	s_xor_b32 s6, s9, -1
	v_cmp_le_i32_e32 vcc_lo, v9, v0
	v_add3_u32 v2, v2, v3, v4
	s_waitcnt lgkmcnt(0)
	v_cmp_gt_i32_e64 s0, s4, v0
	s_or_b32 s2, s2, s6
	v_cndmask_b32_e64 v8, 0, 1, s2
	v_lshlrev_b64 v[2:3], 3, v[1:2]
	v_ashrrev_i32_e32 v1, 31, v0
	s_and_b32 s6, vcc_lo, s0
	v_add_co_u32 v6, s1, s3, v2
	v_add_co_ci_u32_e64 v7, null, s5, v3, s1
	s_and_saveexec_b32 s1, s6
	s_cbranch_execz .LBB226_22
; %bb.19:
	v_lshlrev_b64 v[4:5], 3, v[0:1]
	v_mul_f32_e32 v2, s15, v23
	v_mul_f32_e32 v3, s14, v23
	v_fma_f32 v2, v22, s14, -v2
	v_add_co_u32 v4, vcc_lo, v6, v4
	v_fmac_f32_e32 v3, s15, v22
	v_add_co_ci_u32_e64 v5, null, v7, v5, vcc_lo
	s_andn2_b32 vcc_lo, exec_lo, s2
	s_cbranch_vccnz .LBB226_21
; %bb.20:
	global_load_dwordx2 v[10:11], v[4:5], off
	s_waitcnt vmcnt(0)
	v_mul_f32_e32 v12, s11, v11
	v_mul_f32_e32 v11, s10, v11
	v_fma_f32 v12, v10, s10, -v12
	v_fmac_f32_e32 v11, s11, v10
	v_add_f32_e32 v2, v2, v12
	v_add_f32_e32 v3, v3, v11
.LBB226_21:
	global_store_dwordx2 v[4:5], v[2:3], off
.LBB226_22:
	s_or_b32 exec_lo, exec_lo, s1
	v_add_nc_u32_e32 v2, 16, v0
	v_cmp_le_i32_e32 vcc_lo, v9, v2
	v_cmp_gt_i32_e64 s1, s4, v2
	v_ashrrev_i32_e32 v3, 31, v2
	s_and_b32 s2, vcc_lo, s1
	s_and_saveexec_b32 s4, s2
	s_cbranch_execz .LBB226_26
; %bb.23:
	v_lshlrev_b64 v[10:11], 3, v[2:3]
	v_mul_f32_e32 v4, s15, v21
	v_mul_f32_e32 v5, s14, v21
	v_cmp_ne_u32_e32 vcc_lo, 1, v8
	v_fma_f32 v4, v20, s14, -v4
	v_add_co_u32 v6, s2, v6, v10
	v_fmac_f32_e32 v5, s15, v20
	v_add_co_ci_u32_e64 v7, null, v7, v11, s2
	s_cbranch_vccnz .LBB226_25
; %bb.24:
	global_load_dwordx2 v[10:11], v[6:7], off
	s_waitcnt vmcnt(0)
	v_mul_f32_e32 v12, s11, v11
	v_mul_f32_e32 v11, s10, v11
	v_fma_f32 v12, v10, s10, -v12
	v_fmac_f32_e32 v11, s11, v10
	v_add_f32_e32 v4, v4, v12
	v_add_f32_e32 v5, v5, v11
.LBB226_25:
	global_store_dwordx2 v[6:7], v[4:5], off
.LBB226_26:
	s_or_b32 exec_lo, exec_lo, s4
	v_add_nc_u32_e32 v9, 16, v9
	v_ashrrev_i32_e32 v6, 31, v9
	v_mul_lo_u32 v7, s41, v9
	v_mad_u64_u32 v[4:5], null, s40, v9, 0
	v_cmp_le_i32_e32 vcc_lo, v9, v0
	v_mul_lo_u32 v6, s40, v6
	s_and_b32 s0, vcc_lo, s0
	v_add3_u32 v5, v5, v6, v7
	v_lshlrev_b64 v[4:5], 3, v[4:5]
	v_add_co_u32 v6, s2, s3, v4
	v_add_co_ci_u32_e64 v7, null, s5, v5, s2
	s_and_saveexec_b32 s2, s0
	s_cbranch_execz .LBB226_30
; %bb.27:
	v_lshlrev_b64 v[0:1], 3, v[0:1]
	v_mul_f32_e32 v4, s15, v19
	v_mul_f32_e32 v5, s14, v19
	v_cmp_ne_u32_e32 vcc_lo, 1, v8
	v_fma_f32 v4, v18, s14, -v4
	v_add_co_u32 v0, s0, v6, v0
	v_fmac_f32_e32 v5, s15, v18
	v_add_co_ci_u32_e64 v1, null, v7, v1, s0
	s_cbranch_vccnz .LBB226_29
; %bb.28:
	global_load_dwordx2 v[10:11], v[0:1], off
	s_waitcnt vmcnt(0)
	v_mul_f32_e32 v12, s11, v11
	v_mul_f32_e32 v11, s10, v11
	v_fma_f32 v12, v10, s10, -v12
	v_fmac_f32_e32 v11, s11, v10
	v_add_f32_e32 v4, v4, v12
	v_add_f32_e32 v5, v5, v11
.LBB226_29:
	global_store_dwordx2 v[0:1], v[4:5], off
.LBB226_30:
	s_or_b32 exec_lo, exec_lo, s2
	v_cmp_le_i32_e32 vcc_lo, v9, v2
	s_and_b32 s0, vcc_lo, s1
	s_and_saveexec_b32 s1, s0
	s_cbranch_execz .LBB226_34
; %bb.31:
	v_lshlrev_b64 v[2:3], 3, v[2:3]
	v_mul_f32_e32 v0, s15, v17
	v_mul_f32_e32 v1, s14, v17
	v_cmp_ne_u32_e32 vcc_lo, 1, v8
	v_fma_f32 v0, v16, s14, -v0
	v_add_co_u32 v2, s0, v6, v2
	v_fmac_f32_e32 v1, s15, v16
	v_add_co_ci_u32_e64 v3, null, v7, v3, s0
	s_cbranch_vccnz .LBB226_33
; %bb.32:
	global_load_dwordx2 v[4:5], v[2:3], off
	s_waitcnt vmcnt(0)
	v_mul_f32_e32 v6, s11, v5
	v_mul_f32_e32 v5, s10, v5
	v_fma_f32 v6, v4, s10, -v6
	v_fmac_f32_e32 v5, s11, v4
	v_add_f32_e32 v0, v0, v6
	v_add_f32_e32 v1, v1, v5
.LBB226_33:
	global_store_dwordx2 v[2:3], v[0:1], off
.LBB226_34:
	s_endpgm
	.section	.rodata,"a",@progbits
	.p2align	6, 0x0
	.amdhsa_kernel _ZL29rocblas_internal_gemmt_kernelIlLi16ELi32ELi8ELc78ELc84ELc76ELb0ELb0E19rocblas_complex_numIfEPKS1_S3_PS1_EviT_T9_T10_S5_lS7_S5_lS6_T11_S5_li
		.amdhsa_group_segment_fixed_size 4096
		.amdhsa_private_segment_fixed_size 0
		.amdhsa_kernarg_size 108
		.amdhsa_user_sgpr_count 6
		.amdhsa_user_sgpr_private_segment_buffer 1
		.amdhsa_user_sgpr_dispatch_ptr 0
		.amdhsa_user_sgpr_queue_ptr 0
		.amdhsa_user_sgpr_kernarg_segment_ptr 1
		.amdhsa_user_sgpr_dispatch_id 0
		.amdhsa_user_sgpr_flat_scratch_init 0
		.amdhsa_user_sgpr_private_segment_size 0
		.amdhsa_wavefront_size32 1
		.amdhsa_uses_dynamic_stack 0
		.amdhsa_system_sgpr_private_segment_wavefront_offset 0
		.amdhsa_system_sgpr_workgroup_id_x 1
		.amdhsa_system_sgpr_workgroup_id_y 1
		.amdhsa_system_sgpr_workgroup_id_z 1
		.amdhsa_system_sgpr_workgroup_info 0
		.amdhsa_system_vgpr_workitem_id 1
		.amdhsa_next_free_vgpr 61
		.amdhsa_next_free_sgpr 44
		.amdhsa_reserve_vcc 1
		.amdhsa_reserve_flat_scratch 0
		.amdhsa_float_round_mode_32 0
		.amdhsa_float_round_mode_16_64 0
		.amdhsa_float_denorm_mode_32 3
		.amdhsa_float_denorm_mode_16_64 3
		.amdhsa_dx10_clamp 1
		.amdhsa_ieee_mode 1
		.amdhsa_fp16_overflow 0
		.amdhsa_workgroup_processor_mode 1
		.amdhsa_memory_ordered 1
		.amdhsa_forward_progress 1
		.amdhsa_shared_vgpr_count 0
		.amdhsa_exception_fp_ieee_invalid_op 0
		.amdhsa_exception_fp_denorm_src 0
		.amdhsa_exception_fp_ieee_div_zero 0
		.amdhsa_exception_fp_ieee_overflow 0
		.amdhsa_exception_fp_ieee_underflow 0
		.amdhsa_exception_fp_ieee_inexact 0
		.amdhsa_exception_int_div_zero 0
	.end_amdhsa_kernel
	.section	.text._ZL29rocblas_internal_gemmt_kernelIlLi16ELi32ELi8ELc78ELc84ELc76ELb0ELb0E19rocblas_complex_numIfEPKS1_S3_PS1_EviT_T9_T10_S5_lS7_S5_lS6_T11_S5_li,"axG",@progbits,_ZL29rocblas_internal_gemmt_kernelIlLi16ELi32ELi8ELc78ELc84ELc76ELb0ELb0E19rocblas_complex_numIfEPKS1_S3_PS1_EviT_T9_T10_S5_lS7_S5_lS6_T11_S5_li,comdat
.Lfunc_end226:
	.size	_ZL29rocblas_internal_gemmt_kernelIlLi16ELi32ELi8ELc78ELc84ELc76ELb0ELb0E19rocblas_complex_numIfEPKS1_S3_PS1_EviT_T9_T10_S5_lS7_S5_lS6_T11_S5_li, .Lfunc_end226-_ZL29rocblas_internal_gemmt_kernelIlLi16ELi32ELi8ELc78ELc84ELc76ELb0ELb0E19rocblas_complex_numIfEPKS1_S3_PS1_EviT_T9_T10_S5_lS7_S5_lS6_T11_S5_li
                                        ; -- End function
	.set _ZL29rocblas_internal_gemmt_kernelIlLi16ELi32ELi8ELc78ELc84ELc76ELb0ELb0E19rocblas_complex_numIfEPKS1_S3_PS1_EviT_T9_T10_S5_lS7_S5_lS6_T11_S5_li.num_vgpr, 61
	.set _ZL29rocblas_internal_gemmt_kernelIlLi16ELi32ELi8ELc78ELc84ELc76ELb0ELb0E19rocblas_complex_numIfEPKS1_S3_PS1_EviT_T9_T10_S5_lS7_S5_lS6_T11_S5_li.num_agpr, 0
	.set _ZL29rocblas_internal_gemmt_kernelIlLi16ELi32ELi8ELc78ELc84ELc76ELb0ELb0E19rocblas_complex_numIfEPKS1_S3_PS1_EviT_T9_T10_S5_lS7_S5_lS6_T11_S5_li.numbered_sgpr, 44
	.set _ZL29rocblas_internal_gemmt_kernelIlLi16ELi32ELi8ELc78ELc84ELc76ELb0ELb0E19rocblas_complex_numIfEPKS1_S3_PS1_EviT_T9_T10_S5_lS7_S5_lS6_T11_S5_li.num_named_barrier, 0
	.set _ZL29rocblas_internal_gemmt_kernelIlLi16ELi32ELi8ELc78ELc84ELc76ELb0ELb0E19rocblas_complex_numIfEPKS1_S3_PS1_EviT_T9_T10_S5_lS7_S5_lS6_T11_S5_li.private_seg_size, 0
	.set _ZL29rocblas_internal_gemmt_kernelIlLi16ELi32ELi8ELc78ELc84ELc76ELb0ELb0E19rocblas_complex_numIfEPKS1_S3_PS1_EviT_T9_T10_S5_lS7_S5_lS6_T11_S5_li.uses_vcc, 1
	.set _ZL29rocblas_internal_gemmt_kernelIlLi16ELi32ELi8ELc78ELc84ELc76ELb0ELb0E19rocblas_complex_numIfEPKS1_S3_PS1_EviT_T9_T10_S5_lS7_S5_lS6_T11_S5_li.uses_flat_scratch, 0
	.set _ZL29rocblas_internal_gemmt_kernelIlLi16ELi32ELi8ELc78ELc84ELc76ELb0ELb0E19rocblas_complex_numIfEPKS1_S3_PS1_EviT_T9_T10_S5_lS7_S5_lS6_T11_S5_li.has_dyn_sized_stack, 0
	.set _ZL29rocblas_internal_gemmt_kernelIlLi16ELi32ELi8ELc78ELc84ELc76ELb0ELb0E19rocblas_complex_numIfEPKS1_S3_PS1_EviT_T9_T10_S5_lS7_S5_lS6_T11_S5_li.has_recursion, 0
	.set _ZL29rocblas_internal_gemmt_kernelIlLi16ELi32ELi8ELc78ELc84ELc76ELb0ELb0E19rocblas_complex_numIfEPKS1_S3_PS1_EviT_T9_T10_S5_lS7_S5_lS6_T11_S5_li.has_indirect_call, 0
	.section	.AMDGPU.csdata,"",@progbits
; Kernel info:
; codeLenInByte = 2604
; TotalNumSgprs: 46
; NumVgprs: 61
; ScratchSize: 0
; MemoryBound: 0
; FloatMode: 240
; IeeeMode: 1
; LDSByteSize: 4096 bytes/workgroup (compile time only)
; SGPRBlocks: 0
; VGPRBlocks: 7
; NumSGPRsForWavesPerEU: 46
; NumVGPRsForWavesPerEU: 61
; Occupancy: 16
; WaveLimiterHint : 0
; COMPUTE_PGM_RSRC2:SCRATCH_EN: 0
; COMPUTE_PGM_RSRC2:USER_SGPR: 6
; COMPUTE_PGM_RSRC2:TRAP_HANDLER: 0
; COMPUTE_PGM_RSRC2:TGID_X_EN: 1
; COMPUTE_PGM_RSRC2:TGID_Y_EN: 1
; COMPUTE_PGM_RSRC2:TGID_Z_EN: 1
; COMPUTE_PGM_RSRC2:TIDIG_COMP_CNT: 1
	.section	.text._ZL29rocblas_internal_gemmt_kernelIlLi16ELi32ELi8ELc78ELc67ELc76ELb0ELb1E19rocblas_complex_numIfEPKS1_S3_PS1_EviT_T9_T10_S5_lS7_S5_lS6_T11_S5_li,"axG",@progbits,_ZL29rocblas_internal_gemmt_kernelIlLi16ELi32ELi8ELc78ELc67ELc76ELb0ELb1E19rocblas_complex_numIfEPKS1_S3_PS1_EviT_T9_T10_S5_lS7_S5_lS6_T11_S5_li,comdat
	.globl	_ZL29rocblas_internal_gemmt_kernelIlLi16ELi32ELi8ELc78ELc67ELc76ELb0ELb1E19rocblas_complex_numIfEPKS1_S3_PS1_EviT_T9_T10_S5_lS7_S5_lS6_T11_S5_li ; -- Begin function _ZL29rocblas_internal_gemmt_kernelIlLi16ELi32ELi8ELc78ELc67ELc76ELb0ELb1E19rocblas_complex_numIfEPKS1_S3_PS1_EviT_T9_T10_S5_lS7_S5_lS6_T11_S5_li
	.p2align	8
	.type	_ZL29rocblas_internal_gemmt_kernelIlLi16ELi32ELi8ELc78ELc67ELc76ELb0ELb1E19rocblas_complex_numIfEPKS1_S3_PS1_EviT_T9_T10_S5_lS7_S5_lS6_T11_S5_li,@function
_ZL29rocblas_internal_gemmt_kernelIlLi16ELi32ELi8ELc78ELc67ELc76ELb0ELb1E19rocblas_complex_numIfEPKS1_S3_PS1_EviT_T9_T10_S5_lS7_S5_lS6_T11_S5_li: ; @_ZL29rocblas_internal_gemmt_kernelIlLi16ELi32ELi8ELc78ELc67ELc76ELb0ELb1E19rocblas_complex_numIfEPKS1_S3_PS1_EviT_T9_T10_S5_lS7_S5_lS6_T11_S5_li
; %bb.0:
	s_clause 0x1
	s_load_dwordx8 s[36:43], s[4:5], 0x48
	s_load_dwordx16 s[12:27], s[4:5], 0x8
	s_waitcnt lgkmcnt(0)
	s_load_dwordx2 s[10:11], s[36:37], 0x0
	s_load_dwordx2 s[14:15], s[14:15], 0x0
	s_waitcnt lgkmcnt(0)
	s_and_b32 s0, s11, 0x7fffffff
	v_cmp_eq_f32_e64 s1, s10, 1.0
	s_cmp_eq_u32 s0, 0
	s_mov_b32 s0, 0
	s_cselect_b32 s9, -1, 0
	s_and_b32 s1, s1, s9
	s_andn2_b32 vcc_lo, exec_lo, s1
	s_mov_b32 s1, -1
	s_cbranch_vccnz .LBB227_4
; %bb.1:
	s_cmp_lg_u64 s[12:13], 0
	s_cbranch_scc0 .LBB227_3
; %bb.2:
	v_cmp_neq_f32_e64 s0, s14, 0
	v_cmp_neq_f32_e64 s1, s15, 0
	s_or_b32 s0, s0, s1
.LBB227_3:
	s_mov_b32 s1, s0
.LBB227_4:
	s_and_b32 vcc_lo, exec_lo, s1
	s_cbranch_vccz .LBB227_34
; %bb.5:
	s_load_dword s4, s[4:5], 0x0
	v_cmp_eq_f32_e64 s0, s14, 0
	v_cmp_eq_f32_e64 s1, s15, 0
	v_cmp_lt_i64_e64 s2, s[12:13], 1
	v_mov_b32_e32 v22, 0
	v_mov_b32_e32 v23, 0
	;; [unrolled: 1-line block ×3, first 2 shown]
	s_and_b32 s0, s0, s1
	v_mov_b32_e32 v21, 0
	v_mov_b32_e32 v18, 0
	;; [unrolled: 1-line block ×5, first 2 shown]
	s_or_b32 s0, s0, s2
	s_lshl_b32 s5, s6, 5
	s_and_b32 vcc_lo, exec_lo, s0
	s_lshl_b32 s6, s7, 5
	s_cbranch_vccnz .LBB227_18
; %bb.6:
	v_lshl_add_u32 v2, v1, 4, v0
	s_mul_i32 s0, s27, s8
	s_mul_hi_u32 s1, s26, s8
	v_and_b32_e32 v6, 7, v0
	s_add_i32 s1, s1, s0
	v_and_b32_e32 v5, 31, v2
	v_lshrrev_b32_e32 v11, 3, v2
	v_lshrrev_b32_e32 v7, 5, v2
	s_mul_i32 s0, s26, s8
	s_mul_hi_u32 s3, s20, s8
	v_or_b32_e32 v2, s5, v5
	v_add_nc_u32_e32 v4, s6, v11
	s_lshl_b64 s[0:1], s[0:1], 3
	v_lshlrev_b32_e32 v8, 3, v5
	s_add_u32 s2, s22, s0
	v_ashrrev_i32_e32 v3, 31, v2
	s_mul_i32 s0, s21, s8
	v_ashrrev_i32_e32 v5, 31, v4
	s_addc_u32 s21, s23, s1
	s_add_i32 s1, s3, s0
	s_mul_i32 s0, s20, s8
	v_lshlrev_b32_e32 v12, 3, v6
	s_lshl_b64 s[0:1], s[0:1], 3
	v_lshlrev_b64 v[9:10], 3, v[2:3]
	s_add_u32 s3, s16, s0
	s_waitcnt lgkmcnt(0)
	v_cmp_gt_i32_e64 s0, s4, v2
	v_cmp_le_i32_e64 s7, s4, v2
	v_lshlrev_b64 v[2:3], 3, v[4:5]
	v_lshl_or_b32 v11, v11, 6, v12
	s_addc_u32 s1, s17, s1
	v_add_co_u32 v9, vcc_lo, s3, v9
	v_add_co_ci_u32_e64 v10, null, s1, v10, vcc_lo
	v_cmp_gt_i32_e32 vcc_lo, s4, v4
	v_add_co_u32 v12, s1, s2, v2
	v_lshl_or_b32 v8, v7, 8, v8
	v_add_nc_u32_e32 v11, 0x800, v11
	v_add_co_ci_u32_e64 v13, null, s21, v3, s1
	v_lshlrev_b32_e32 v14, 3, v0
	v_lshl_add_u32 v15, v1, 6, 0x800
	v_mov_b32_e32 v3, 0
	v_mov_b32_e32 v17, 0
	;; [unrolled: 1-line block ×9, first 2 shown]
	s_mov_b64 s[2:3], 0
	s_xor_b32 s1, vcc_lo, -1
                                        ; implicit-def: $vgpr4_vgpr5
	s_branch .LBB227_8
.LBB227_7:                              ;   in Loop: Header=BB227_8 Depth=1
	s_or_b32 exec_lo, exec_lo, s16
	ds_write_b32 v11, v24 offset:4
	s_waitcnt lgkmcnt(0)
	s_barrier
	buffer_gl0_inv
	ds_read_b128 v[24:27], v15
	ds_read2_b64 v[28:31], v14 offset1:16
	ds_read_b128 v[32:35], v15 offset:1024
	ds_read_b128 v[36:39], v15 offset:16
	;; [unrolled: 1-line block ×4, first 2 shown]
	ds_read2_b64 v[48:51], v14 offset0:32 offset1:48
	ds_read_b128 v[52:55], v15 offset:1040
	s_add_u32 s2, s2, 8
	s_addc_u32 s3, s3, 0
	v_cmp_gt_i64_e64 s16, s[12:13], s[2:3]
	s_and_b32 vcc_lo, exec_lo, s16
	s_waitcnt lgkmcnt(6)
	v_mul_f32_e32 v2, v25, v29
	v_mul_f32_e32 v56, v24, v29
	;; [unrolled: 1-line block ×4, first 2 shown]
	s_waitcnt lgkmcnt(5)
	v_mul_f32_e32 v59, v33, v29
	v_mul_f32_e32 v29, v32, v29
	;; [unrolled: 1-line block ×3, first 2 shown]
	v_fma_f32 v2, v24, v28, -v2
	v_fmac_f32_e32 v56, v25, v28
	v_fma_f32 v24, v24, v30, -v57
	v_fmac_f32_e32 v58, v25, v30
	;; [unrolled: 2-line block ×3, first 2 shown]
	v_mul_f32_e32 v31, v32, v31
	v_fma_f32 v28, v32, v30, -v60
	v_add_f32_e32 v2, v22, v2
	v_add_f32_e32 v22, v23, v56
	;; [unrolled: 1-line block ×6, first 2 shown]
	s_waitcnt lgkmcnt(1)
	v_mul_f32_e32 v32, v27, v49
	ds_read2_b64 v[18:21], v14 offset0:64 offset1:80
	v_fmac_f32_e32 v31, v33, v30
	v_add_f32_e32 v16, v16, v28
	v_mul_f32_e32 v28, v26, v49
	v_fma_f32 v30, v26, v48, -v32
	v_mul_f32_e32 v32, v27, v51
	v_add_f32_e32 v17, v17, v31
	v_mul_f32_e32 v31, v26, v51
	v_fmac_f32_e32 v28, v27, v48
	v_add_f32_e32 v2, v2, v30
	v_fma_f32 v26, v26, v50, -v32
	v_mul_f32_e32 v30, v35, v49
	v_fmac_f32_e32 v31, v27, v50
	v_add_f32_e32 v28, v22, v28
	v_mul_f32_e32 v22, v34, v49
	v_add_f32_e32 v26, v23, v26
	v_fma_f32 v23, v34, v48, -v30
	v_mul_f32_e32 v27, v35, v51
	v_add_f32_e32 v30, v24, v31
	v_fmac_f32_e32 v22, v35, v48
	v_mul_f32_e32 v31, v34, v51
	v_add_f32_e32 v32, v25, v23
	v_fma_f32 v23, v34, v50, -v27
	s_waitcnt lgkmcnt(0)
	v_mul_f32_e32 v24, v37, v19
	v_add_f32_e32 v27, v29, v22
	v_fmac_f32_e32 v31, v35, v50
	v_mul_f32_e32 v29, v36, v19
	v_add_f32_e32 v16, v16, v23
	v_fma_f32 v33, v36, v18, -v24
	v_mul_f32_e32 v34, v37, v21
	ds_read2_b64 v[22:25], v14 offset0:96 offset1:112
	v_fmac_f32_e32 v29, v37, v18
	v_add_f32_e32 v31, v17, v31
	v_add_f32_e32 v2, v2, v33
	v_mul_f32_e32 v17, v36, v21
	v_fma_f32 v33, v36, v20, -v34
	v_add_f32_e32 v28, v28, v29
	v_mul_f32_e32 v29, v53, v19
	v_mul_f32_e32 v19, v52, v19
	v_fmac_f32_e32 v17, v37, v20
	v_add_f32_e32 v26, v26, v33
	v_mul_f32_e32 v33, v53, v21
	v_mul_f32_e32 v21, v52, v21
	v_fmac_f32_e32 v19, v53, v18
	v_add_f32_e32 v30, v30, v17
	v_fma_f32 v29, v52, v18, -v29
	v_fma_f32 v17, v52, v20, -v33
	v_fmac_f32_e32 v21, v53, v20
	v_add_f32_e32 v33, v27, v19
	s_waitcnt lgkmcnt(0)
	v_mul_f32_e32 v20, v39, v23
	v_add_f32_e32 v34, v16, v17
	ds_read2_b64 v[16:19], v14 offset0:128 offset1:144
	v_add_f32_e32 v32, v32, v29
	v_mul_f32_e32 v27, v38, v23
	v_mul_f32_e32 v29, v39, v25
	v_fma_f32 v20, v38, v22, -v20
	v_add_f32_e32 v31, v31, v21
	v_mul_f32_e32 v21, v38, v25
	v_fmac_f32_e32 v27, v39, v22
	v_fma_f32 v29, v38, v24, -v29
	v_add_f32_e32 v2, v2, v20
	v_mul_f32_e32 v20, v55, v23
	v_fmac_f32_e32 v21, v39, v24
	v_add_f32_e32 v35, v28, v27
	v_add_f32_e32 v36, v26, v29
	v_mul_f32_e32 v23, v54, v23
	v_fma_f32 v20, v54, v22, -v20
	v_mul_f32_e32 v37, v55, v25
	ds_read_b128 v[26:29], v15 offset:1056
	v_add_f32_e32 v38, v30, v21
	v_fmac_f32_e32 v23, v55, v22
	v_mul_f32_e32 v25, v54, v25
	v_fma_f32 v21, v54, v24, -v37
	v_add_f32_e32 v37, v32, v20
	s_waitcnt lgkmcnt(1)
	v_mul_f32_e32 v20, v41, v17
	v_add_f32_e32 v39, v33, v23
	v_fmac_f32_e32 v25, v55, v24
	v_add_f32_e32 v24, v34, v21
	v_mul_f32_e32 v32, v41, v19
	v_fma_f32 v30, v40, v16, -v20
	ds_read2_b64 v[20:23], v14 offset0:160 offset1:176
	v_mul_f32_e32 v34, v40, v17
	v_add_f32_e32 v25, v31, v25
	v_fma_f32 v48, v40, v18, -v32
	v_mul_f32_e32 v40, v40, v19
	v_add_f32_e32 v2, v2, v30
	v_fmac_f32_e32 v34, v41, v16
	ds_read_b128 v[30:33], v15 offset:1072
	s_waitcnt lgkmcnt(2)
	v_mul_f32_e32 v49, v27, v17
	v_mul_f32_e32 v17, v26, v17
	v_fmac_f32_e32 v40, v41, v18
	v_mul_f32_e32 v41, v27, v19
	v_add_f32_e32 v34, v35, v34
	v_add_f32_e32 v35, v36, v48
	v_fma_f32 v36, v26, v16, -v49
	v_fmac_f32_e32 v17, v27, v16
	v_add_f32_e32 v38, v38, v40
	v_mul_f32_e32 v40, v26, v19
	v_fma_f32 v16, v26, v18, -v41
	v_add_f32_e32 v36, v37, v36
	v_add_f32_e32 v26, v39, v17
	s_waitcnt lgkmcnt(1)
	v_mul_f32_e32 v37, v43, v21
	v_fmac_f32_e32 v40, v27, v18
	v_add_f32_e32 v24, v24, v16
	ds_read2_b64 v[16:19], v14 offset0:192 offset1:208
	v_mul_f32_e32 v27, v42, v21
	v_fma_f32 v37, v42, v20, -v37
	v_mul_f32_e32 v39, v43, v23
	v_add_f32_e32 v40, v25, v40
	v_mul_f32_e32 v25, v42, v23
	v_fmac_f32_e32 v27, v43, v20
	v_add_f32_e32 v2, v2, v37
	v_fma_f32 v37, v42, v22, -v39
	v_fmac_f32_e32 v25, v43, v22
	v_add_f32_e32 v34, v34, v27
	v_mul_f32_e32 v27, v29, v21
	v_mul_f32_e32 v21, v28, v21
	v_add_f32_e32 v35, v35, v37
	v_mul_f32_e32 v37, v29, v23
	v_add_f32_e32 v38, v38, v25
	v_fma_f32 v27, v28, v20, -v27
	v_fmac_f32_e32 v21, v29, v20
	v_mul_f32_e32 v20, v28, v23
	v_fma_f32 v23, v28, v22, -v37
	s_waitcnt lgkmcnt(0)
	v_mul_f32_e32 v25, v45, v17
	v_add_f32_e32 v28, v36, v27
	v_add_f32_e32 v21, v26, v21
	v_fmac_f32_e32 v20, v29, v22
	v_add_f32_e32 v22, v24, v23
	v_fma_f32 v29, v44, v16, -v25
	ds_read2_b64 v[24:27], v14 offset0:224 offset1:240
	v_mul_f32_e32 v23, v44, v17
	v_mul_f32_e32 v37, v31, v17
	;; [unrolled: 1-line block ×4, first 2 shown]
	v_add_f32_e32 v2, v2, v29
	v_fmac_f32_e32 v23, v45, v16
	v_mul_f32_e32 v29, v44, v19
	v_fmac_f32_e32 v17, v31, v16
	v_fma_f32 v36, v44, v18, -v36
	v_add_f32_e32 v20, v40, v20
	v_add_f32_e32 v23, v34, v23
	v_fma_f32 v34, v30, v16, -v37
	v_mul_f32_e32 v16, v31, v19
	v_mul_f32_e32 v19, v30, v19
	v_fmac_f32_e32 v29, v45, v18
	v_add_f32_e32 v17, v21, v17
	v_add_f32_e32 v35, v35, v36
	v_fma_f32 v16, v30, v18, -v16
	v_fmac_f32_e32 v19, v31, v18
	s_waitcnt lgkmcnt(0)
	v_mul_f32_e32 v21, v47, v25
	v_mul_f32_e32 v18, v47, v27
	v_add_f32_e32 v28, v28, v34
	v_mul_f32_e32 v30, v46, v25
	v_add_f32_e32 v16, v22, v16
	v_fma_f32 v21, v46, v24, -v21
	v_fma_f32 v18, v46, v26, -v18
	v_mul_f32_e32 v31, v46, v27
	v_add_f32_e32 v34, v20, v19
	v_mul_f32_e32 v19, v32, v25
	v_add_f32_e32 v22, v2, v21
	v_add_f32_e32 v20, v35, v18
	v_mul_f32_e32 v2, v33, v25
	v_mul_f32_e32 v18, v33, v27
	;; [unrolled: 1-line block ×3, first 2 shown]
	v_add_f32_e32 v29, v38, v29
	v_fmac_f32_e32 v30, v47, v24
	v_fmac_f32_e32 v31, v47, v26
	v_fma_f32 v2, v32, v24, -v2
	v_fmac_f32_e32 v19, v33, v24
	v_fma_f32 v24, v32, v26, -v18
	v_fmac_f32_e32 v25, v33, v26
	v_add_f32_e32 v23, v23, v30
	v_add_f32_e32 v21, v29, v31
	v_add_f32_e32 v18, v28, v2
	v_add_f32_e32 v19, v17, v19
	v_add_f32_e32 v16, v16, v24
	v_add_f32_e32 v17, v34, v25
	s_barrier
	buffer_gl0_inv
	s_cbranch_vccz .LBB227_18
.LBB227_8:                              ; =>This Inner Loop Header: Depth=1
	s_mov_b32 s20, s7
	s_mov_b32 s16, 0
	s_and_saveexec_b32 s17, s0
	s_cbranch_execnz .LBB227_16
; %bb.9:                                ;   in Loop: Header=BB227_8 Depth=1
	s_or_b32 exec_lo, exec_lo, s17
	s_and_saveexec_b32 s17, s20
	s_xor_b32 s17, exec_lo, s17
	s_cbranch_execnz .LBB227_17
.LBB227_10:                             ;   in Loop: Header=BB227_8 Depth=1
	s_or_b32 exec_lo, exec_lo, s17
	s_and_saveexec_b32 s17, s16
	s_cbranch_execz .LBB227_12
.LBB227_11:                             ;   in Loop: Header=BB227_8 Depth=1
	v_mul_lo_u32 v2, s19, v4
	v_mul_lo_u32 v26, s18, v5
	v_mad_u64_u32 v[24:25], null, s18, v4, 0
	v_add3_u32 v25, v25, v26, v2
	v_lshlrev_b64 v[24:25], 3, v[24:25]
	v_add_co_u32 v24, vcc_lo, v9, v24
	v_add_co_ci_u32_e64 v25, null, v10, v25, vcc_lo
	global_load_dwordx2 v[24:25], v[24:25], off
	s_waitcnt vmcnt(0)
	ds_write_b64 v8, v[24:25]
.LBB227_12:                             ;   in Loop: Header=BB227_8 Depth=1
	s_or_b32 exec_lo, exec_lo, s17
	v_add_nc_u32_e32 v2, s2, v6
	v_cmp_le_u64_e32 vcc_lo, s[12:13], v[2:3]
	s_or_b32 s16, vcc_lo, s1
	s_and_saveexec_b32 s17, s16
	s_xor_b32 s16, exec_lo, s17
; %bb.13:                               ;   in Loop: Header=BB227_8 Depth=1
	ds_write_b32 v11, v3
; %bb.14:                               ;   in Loop: Header=BB227_8 Depth=1
	s_or_saveexec_b32 s16, s16
	v_mov_b32_e32 v24, 0
	s_xor_b32 exec_lo, exec_lo, s16
	s_cbranch_execz .LBB227_7
; %bb.15:                               ;   in Loop: Header=BB227_8 Depth=1
	v_mad_u64_u32 v[24:25], null, s24, v2, 0
	v_mad_u64_u32 v[25:26], null, s25, v2, v[25:26]
	v_lshlrev_b64 v[24:25], 3, v[24:25]
	v_add_co_u32 v24, vcc_lo, v12, v24
	v_add_co_ci_u32_e64 v25, null, v13, v25, vcc_lo
	global_load_dwordx2 v[25:26], v[24:25], off
	s_waitcnt vmcnt(0)
	v_xor_b32_e32 v24, 0x80000000, v26
	ds_write_b32 v11, v25
	s_branch .LBB227_7
.LBB227_16:                             ;   in Loop: Header=BB227_8 Depth=1
	v_add_nc_u32_e32 v2, s2, v7
	v_mov_b32_e32 v5, v3
	s_andn2_b32 s20, s7, exec_lo
	s_mov_b32 s16, exec_lo
	v_cmp_le_u64_e32 vcc_lo, s[12:13], v[2:3]
	v_mov_b32_e32 v4, v2
	s_and_b32 s21, vcc_lo, exec_lo
	s_or_b32 s20, s20, s21
	s_or_b32 exec_lo, exec_lo, s17
	s_and_saveexec_b32 s17, s20
	s_xor_b32 s17, exec_lo, s17
	s_cbranch_execz .LBB227_10
.LBB227_17:                             ;   in Loop: Header=BB227_8 Depth=1
	v_mov_b32_e32 v2, v3
	s_andn2_b32 s16, s16, exec_lo
	ds_write_b64 v8, v[2:3]
	s_or_b32 exec_lo, exec_lo, s17
	s_and_saveexec_b32 s17, s16
	s_cbranch_execnz .LBB227_11
	s_branch .LBB227_12
.LBB227_18:
	v_add_nc_u32_e32 v9, s6, v1
	s_mul_i32 s1, s43, s8
	s_mul_hi_u32 s2, s42, s8
	s_mul_i32 s0, s42, s8
	s_add_i32 s1, s2, s1
	v_ashrrev_i32_e32 v3, 31, v9
	v_mul_lo_u32 v4, s41, v9
	v_mad_u64_u32 v[1:2], null, s40, v9, 0
	v_add_nc_u32_e32 v0, s5, v0
	v_mul_lo_u32 v3, s40, v3
	v_cmp_neq_f32_e64 s2, s10, 0
	s_lshl_b64 s[6:7], s[0:1], 3
	s_add_u32 s3, s38, s6
	s_addc_u32 s5, s39, s7
	s_xor_b32 s6, s9, -1
	v_cmp_le_i32_e32 vcc_lo, v9, v0
	v_add3_u32 v2, v2, v3, v4
	s_waitcnt lgkmcnt(0)
	v_cmp_gt_i32_e64 s0, s4, v0
	s_or_b32 s2, s2, s6
	v_cndmask_b32_e64 v8, 0, 1, s2
	v_lshlrev_b64 v[2:3], 3, v[1:2]
	v_ashrrev_i32_e32 v1, 31, v0
	s_and_b32 s6, vcc_lo, s0
	v_add_co_u32 v6, s1, s3, v2
	v_add_co_ci_u32_e64 v7, null, s5, v3, s1
	s_and_saveexec_b32 s1, s6
	s_cbranch_execz .LBB227_22
; %bb.19:
	v_lshlrev_b64 v[4:5], 3, v[0:1]
	v_mul_f32_e32 v2, s15, v23
	v_mul_f32_e32 v3, s14, v23
	v_fma_f32 v2, v22, s14, -v2
	v_add_co_u32 v4, vcc_lo, v6, v4
	v_fmac_f32_e32 v3, s15, v22
	v_add_co_ci_u32_e64 v5, null, v7, v5, vcc_lo
	s_andn2_b32 vcc_lo, exec_lo, s2
	s_cbranch_vccnz .LBB227_21
; %bb.20:
	global_load_dwordx2 v[10:11], v[4:5], off
	s_waitcnt vmcnt(0)
	v_mul_f32_e32 v12, s11, v11
	v_mul_f32_e32 v11, s10, v11
	v_fma_f32 v12, v10, s10, -v12
	v_fmac_f32_e32 v11, s11, v10
	v_add_f32_e32 v2, v2, v12
	v_add_f32_e32 v3, v3, v11
.LBB227_21:
	global_store_dwordx2 v[4:5], v[2:3], off
.LBB227_22:
	s_or_b32 exec_lo, exec_lo, s1
	v_add_nc_u32_e32 v2, 16, v0
	v_cmp_le_i32_e32 vcc_lo, v9, v2
	v_cmp_gt_i32_e64 s1, s4, v2
	v_ashrrev_i32_e32 v3, 31, v2
	s_and_b32 s2, vcc_lo, s1
	s_and_saveexec_b32 s4, s2
	s_cbranch_execz .LBB227_26
; %bb.23:
	v_lshlrev_b64 v[10:11], 3, v[2:3]
	v_mul_f32_e32 v4, s15, v21
	v_mul_f32_e32 v5, s14, v21
	v_cmp_ne_u32_e32 vcc_lo, 1, v8
	v_fma_f32 v4, v20, s14, -v4
	v_add_co_u32 v6, s2, v6, v10
	v_fmac_f32_e32 v5, s15, v20
	v_add_co_ci_u32_e64 v7, null, v7, v11, s2
	s_cbranch_vccnz .LBB227_25
; %bb.24:
	global_load_dwordx2 v[10:11], v[6:7], off
	s_waitcnt vmcnt(0)
	v_mul_f32_e32 v12, s11, v11
	v_mul_f32_e32 v11, s10, v11
	v_fma_f32 v12, v10, s10, -v12
	v_fmac_f32_e32 v11, s11, v10
	v_add_f32_e32 v4, v4, v12
	v_add_f32_e32 v5, v5, v11
.LBB227_25:
	global_store_dwordx2 v[6:7], v[4:5], off
.LBB227_26:
	s_or_b32 exec_lo, exec_lo, s4
	v_add_nc_u32_e32 v9, 16, v9
	v_ashrrev_i32_e32 v6, 31, v9
	v_mul_lo_u32 v7, s41, v9
	v_mad_u64_u32 v[4:5], null, s40, v9, 0
	v_cmp_le_i32_e32 vcc_lo, v9, v0
	v_mul_lo_u32 v6, s40, v6
	s_and_b32 s0, vcc_lo, s0
	v_add3_u32 v5, v5, v6, v7
	v_lshlrev_b64 v[4:5], 3, v[4:5]
	v_add_co_u32 v6, s2, s3, v4
	v_add_co_ci_u32_e64 v7, null, s5, v5, s2
	s_and_saveexec_b32 s2, s0
	s_cbranch_execz .LBB227_30
; %bb.27:
	v_lshlrev_b64 v[0:1], 3, v[0:1]
	v_mul_f32_e32 v4, s15, v19
	v_mul_f32_e32 v5, s14, v19
	v_cmp_ne_u32_e32 vcc_lo, 1, v8
	v_fma_f32 v4, v18, s14, -v4
	v_add_co_u32 v0, s0, v6, v0
	v_fmac_f32_e32 v5, s15, v18
	v_add_co_ci_u32_e64 v1, null, v7, v1, s0
	s_cbranch_vccnz .LBB227_29
; %bb.28:
	global_load_dwordx2 v[10:11], v[0:1], off
	s_waitcnt vmcnt(0)
	v_mul_f32_e32 v12, s11, v11
	v_mul_f32_e32 v11, s10, v11
	v_fma_f32 v12, v10, s10, -v12
	v_fmac_f32_e32 v11, s11, v10
	v_add_f32_e32 v4, v4, v12
	v_add_f32_e32 v5, v5, v11
.LBB227_29:
	global_store_dwordx2 v[0:1], v[4:5], off
.LBB227_30:
	s_or_b32 exec_lo, exec_lo, s2
	v_cmp_le_i32_e32 vcc_lo, v9, v2
	s_and_b32 s0, vcc_lo, s1
	s_and_saveexec_b32 s1, s0
	s_cbranch_execz .LBB227_34
; %bb.31:
	v_lshlrev_b64 v[2:3], 3, v[2:3]
	v_mul_f32_e32 v0, s15, v17
	v_mul_f32_e32 v1, s14, v17
	v_cmp_ne_u32_e32 vcc_lo, 1, v8
	v_fma_f32 v0, v16, s14, -v0
	v_add_co_u32 v2, s0, v6, v2
	v_fmac_f32_e32 v1, s15, v16
	v_add_co_ci_u32_e64 v3, null, v7, v3, s0
	s_cbranch_vccnz .LBB227_33
; %bb.32:
	global_load_dwordx2 v[4:5], v[2:3], off
	s_waitcnt vmcnt(0)
	v_mul_f32_e32 v6, s11, v5
	v_mul_f32_e32 v5, s10, v5
	v_fma_f32 v6, v4, s10, -v6
	v_fmac_f32_e32 v5, s11, v4
	v_add_f32_e32 v0, v0, v6
	v_add_f32_e32 v1, v1, v5
.LBB227_33:
	global_store_dwordx2 v[2:3], v[0:1], off
.LBB227_34:
	s_endpgm
	.section	.rodata,"a",@progbits
	.p2align	6, 0x0
	.amdhsa_kernel _ZL29rocblas_internal_gemmt_kernelIlLi16ELi32ELi8ELc78ELc67ELc76ELb0ELb1E19rocblas_complex_numIfEPKS1_S3_PS1_EviT_T9_T10_S5_lS7_S5_lS6_T11_S5_li
		.amdhsa_group_segment_fixed_size 4096
		.amdhsa_private_segment_fixed_size 0
		.amdhsa_kernarg_size 108
		.amdhsa_user_sgpr_count 6
		.amdhsa_user_sgpr_private_segment_buffer 1
		.amdhsa_user_sgpr_dispatch_ptr 0
		.amdhsa_user_sgpr_queue_ptr 0
		.amdhsa_user_sgpr_kernarg_segment_ptr 1
		.amdhsa_user_sgpr_dispatch_id 0
		.amdhsa_user_sgpr_flat_scratch_init 0
		.amdhsa_user_sgpr_private_segment_size 0
		.amdhsa_wavefront_size32 1
		.amdhsa_uses_dynamic_stack 0
		.amdhsa_system_sgpr_private_segment_wavefront_offset 0
		.amdhsa_system_sgpr_workgroup_id_x 1
		.amdhsa_system_sgpr_workgroup_id_y 1
		.amdhsa_system_sgpr_workgroup_id_z 1
		.amdhsa_system_sgpr_workgroup_info 0
		.amdhsa_system_vgpr_workitem_id 1
		.amdhsa_next_free_vgpr 61
		.amdhsa_next_free_sgpr 44
		.amdhsa_reserve_vcc 1
		.amdhsa_reserve_flat_scratch 0
		.amdhsa_float_round_mode_32 0
		.amdhsa_float_round_mode_16_64 0
		.amdhsa_float_denorm_mode_32 3
		.amdhsa_float_denorm_mode_16_64 3
		.amdhsa_dx10_clamp 1
		.amdhsa_ieee_mode 1
		.amdhsa_fp16_overflow 0
		.amdhsa_workgroup_processor_mode 1
		.amdhsa_memory_ordered 1
		.amdhsa_forward_progress 1
		.amdhsa_shared_vgpr_count 0
		.amdhsa_exception_fp_ieee_invalid_op 0
		.amdhsa_exception_fp_denorm_src 0
		.amdhsa_exception_fp_ieee_div_zero 0
		.amdhsa_exception_fp_ieee_overflow 0
		.amdhsa_exception_fp_ieee_underflow 0
		.amdhsa_exception_fp_ieee_inexact 0
		.amdhsa_exception_int_div_zero 0
	.end_amdhsa_kernel
	.section	.text._ZL29rocblas_internal_gemmt_kernelIlLi16ELi32ELi8ELc78ELc67ELc76ELb0ELb1E19rocblas_complex_numIfEPKS1_S3_PS1_EviT_T9_T10_S5_lS7_S5_lS6_T11_S5_li,"axG",@progbits,_ZL29rocblas_internal_gemmt_kernelIlLi16ELi32ELi8ELc78ELc67ELc76ELb0ELb1E19rocblas_complex_numIfEPKS1_S3_PS1_EviT_T9_T10_S5_lS7_S5_lS6_T11_S5_li,comdat
.Lfunc_end227:
	.size	_ZL29rocblas_internal_gemmt_kernelIlLi16ELi32ELi8ELc78ELc67ELc76ELb0ELb1E19rocblas_complex_numIfEPKS1_S3_PS1_EviT_T9_T10_S5_lS7_S5_lS6_T11_S5_li, .Lfunc_end227-_ZL29rocblas_internal_gemmt_kernelIlLi16ELi32ELi8ELc78ELc67ELc76ELb0ELb1E19rocblas_complex_numIfEPKS1_S3_PS1_EviT_T9_T10_S5_lS7_S5_lS6_T11_S5_li
                                        ; -- End function
	.set _ZL29rocblas_internal_gemmt_kernelIlLi16ELi32ELi8ELc78ELc67ELc76ELb0ELb1E19rocblas_complex_numIfEPKS1_S3_PS1_EviT_T9_T10_S5_lS7_S5_lS6_T11_S5_li.num_vgpr, 61
	.set _ZL29rocblas_internal_gemmt_kernelIlLi16ELi32ELi8ELc78ELc67ELc76ELb0ELb1E19rocblas_complex_numIfEPKS1_S3_PS1_EviT_T9_T10_S5_lS7_S5_lS6_T11_S5_li.num_agpr, 0
	.set _ZL29rocblas_internal_gemmt_kernelIlLi16ELi32ELi8ELc78ELc67ELc76ELb0ELb1E19rocblas_complex_numIfEPKS1_S3_PS1_EviT_T9_T10_S5_lS7_S5_lS6_T11_S5_li.numbered_sgpr, 44
	.set _ZL29rocblas_internal_gemmt_kernelIlLi16ELi32ELi8ELc78ELc67ELc76ELb0ELb1E19rocblas_complex_numIfEPKS1_S3_PS1_EviT_T9_T10_S5_lS7_S5_lS6_T11_S5_li.num_named_barrier, 0
	.set _ZL29rocblas_internal_gemmt_kernelIlLi16ELi32ELi8ELc78ELc67ELc76ELb0ELb1E19rocblas_complex_numIfEPKS1_S3_PS1_EviT_T9_T10_S5_lS7_S5_lS6_T11_S5_li.private_seg_size, 0
	.set _ZL29rocblas_internal_gemmt_kernelIlLi16ELi32ELi8ELc78ELc67ELc76ELb0ELb1E19rocblas_complex_numIfEPKS1_S3_PS1_EviT_T9_T10_S5_lS7_S5_lS6_T11_S5_li.uses_vcc, 1
	.set _ZL29rocblas_internal_gemmt_kernelIlLi16ELi32ELi8ELc78ELc67ELc76ELb0ELb1E19rocblas_complex_numIfEPKS1_S3_PS1_EviT_T9_T10_S5_lS7_S5_lS6_T11_S5_li.uses_flat_scratch, 0
	.set _ZL29rocblas_internal_gemmt_kernelIlLi16ELi32ELi8ELc78ELc67ELc76ELb0ELb1E19rocblas_complex_numIfEPKS1_S3_PS1_EviT_T9_T10_S5_lS7_S5_lS6_T11_S5_li.has_dyn_sized_stack, 0
	.set _ZL29rocblas_internal_gemmt_kernelIlLi16ELi32ELi8ELc78ELc67ELc76ELb0ELb1E19rocblas_complex_numIfEPKS1_S3_PS1_EviT_T9_T10_S5_lS7_S5_lS6_T11_S5_li.has_recursion, 0
	.set _ZL29rocblas_internal_gemmt_kernelIlLi16ELi32ELi8ELc78ELc67ELc76ELb0ELb1E19rocblas_complex_numIfEPKS1_S3_PS1_EviT_T9_T10_S5_lS7_S5_lS6_T11_S5_li.has_indirect_call, 0
	.section	.AMDGPU.csdata,"",@progbits
; Kernel info:
; codeLenInByte = 2624
; TotalNumSgprs: 46
; NumVgprs: 61
; ScratchSize: 0
; MemoryBound: 0
; FloatMode: 240
; IeeeMode: 1
; LDSByteSize: 4096 bytes/workgroup (compile time only)
; SGPRBlocks: 0
; VGPRBlocks: 7
; NumSGPRsForWavesPerEU: 46
; NumVGPRsForWavesPerEU: 61
; Occupancy: 16
; WaveLimiterHint : 0
; COMPUTE_PGM_RSRC2:SCRATCH_EN: 0
; COMPUTE_PGM_RSRC2:USER_SGPR: 6
; COMPUTE_PGM_RSRC2:TRAP_HANDLER: 0
; COMPUTE_PGM_RSRC2:TGID_X_EN: 1
; COMPUTE_PGM_RSRC2:TGID_Y_EN: 1
; COMPUTE_PGM_RSRC2:TGID_Z_EN: 1
; COMPUTE_PGM_RSRC2:TIDIG_COMP_CNT: 1
	.section	.text._ZL29rocblas_internal_gemmt_kernelIlLi16ELi32ELi8ELc84ELc78ELc76ELb0ELb0E19rocblas_complex_numIfEPKS1_S3_PS1_EviT_T9_T10_S5_lS7_S5_lS6_T11_S5_li,"axG",@progbits,_ZL29rocblas_internal_gemmt_kernelIlLi16ELi32ELi8ELc84ELc78ELc76ELb0ELb0E19rocblas_complex_numIfEPKS1_S3_PS1_EviT_T9_T10_S5_lS7_S5_lS6_T11_S5_li,comdat
	.globl	_ZL29rocblas_internal_gemmt_kernelIlLi16ELi32ELi8ELc84ELc78ELc76ELb0ELb0E19rocblas_complex_numIfEPKS1_S3_PS1_EviT_T9_T10_S5_lS7_S5_lS6_T11_S5_li ; -- Begin function _ZL29rocblas_internal_gemmt_kernelIlLi16ELi32ELi8ELc84ELc78ELc76ELb0ELb0E19rocblas_complex_numIfEPKS1_S3_PS1_EviT_T9_T10_S5_lS7_S5_lS6_T11_S5_li
	.p2align	8
	.type	_ZL29rocblas_internal_gemmt_kernelIlLi16ELi32ELi8ELc84ELc78ELc76ELb0ELb0E19rocblas_complex_numIfEPKS1_S3_PS1_EviT_T9_T10_S5_lS7_S5_lS6_T11_S5_li,@function
_ZL29rocblas_internal_gemmt_kernelIlLi16ELi32ELi8ELc84ELc78ELc76ELb0ELb0E19rocblas_complex_numIfEPKS1_S3_PS1_EviT_T9_T10_S5_lS7_S5_lS6_T11_S5_li: ; @_ZL29rocblas_internal_gemmt_kernelIlLi16ELi32ELi8ELc84ELc78ELc76ELb0ELb0E19rocblas_complex_numIfEPKS1_S3_PS1_EviT_T9_T10_S5_lS7_S5_lS6_T11_S5_li
; %bb.0:
	s_clause 0x1
	s_load_dwordx8 s[36:43], s[4:5], 0x48
	s_load_dwordx16 s[12:27], s[4:5], 0x8
	s_waitcnt lgkmcnt(0)
	s_load_dwordx2 s[10:11], s[36:37], 0x0
	s_load_dwordx2 s[14:15], s[14:15], 0x0
	s_waitcnt lgkmcnt(0)
	s_and_b32 s0, s11, 0x7fffffff
	v_cmp_eq_f32_e64 s1, s10, 1.0
	s_cmp_eq_u32 s0, 0
	s_mov_b32 s0, 0
	s_cselect_b32 s9, -1, 0
	s_and_b32 s1, s1, s9
	s_andn2_b32 vcc_lo, exec_lo, s1
	s_mov_b32 s1, -1
	s_cbranch_vccnz .LBB228_4
; %bb.1:
	s_cmp_lg_u64 s[12:13], 0
	s_cbranch_scc0 .LBB228_3
; %bb.2:
	v_cmp_neq_f32_e64 s0, s14, 0
	v_cmp_neq_f32_e64 s1, s15, 0
	s_or_b32 s0, s0, s1
.LBB228_3:
	s_mov_b32 s1, s0
.LBB228_4:
	s_and_b32 vcc_lo, exec_lo, s1
	s_cbranch_vccz .LBB228_34
; %bb.5:
	s_load_dword s4, s[4:5], 0x0
	v_cmp_eq_f32_e64 s0, s14, 0
	v_cmp_eq_f32_e64 s1, s15, 0
	v_cmp_lt_i64_e64 s2, s[12:13], 1
	v_mov_b32_e32 v22, 0
	v_mov_b32_e32 v23, 0
	;; [unrolled: 1-line block ×3, first 2 shown]
	s_and_b32 s0, s0, s1
	v_mov_b32_e32 v21, 0
	v_mov_b32_e32 v18, 0
	;; [unrolled: 1-line block ×5, first 2 shown]
	s_or_b32 s0, s0, s2
	s_lshl_b32 s5, s6, 5
	s_and_b32 vcc_lo, exec_lo, s0
	s_lshl_b32 s6, s7, 5
	s_cbranch_vccnz .LBB228_18
; %bb.6:
	v_lshl_add_u32 v7, v1, 4, v0
	s_mul_i32 s1, s27, s8
	s_mul_hi_u32 s2, s26, s8
	s_mul_i32 s0, s26, s8
	s_add_i32 s1, s2, s1
	v_lshrrev_b32_e32 v9, 3, v7
	v_and_b32_e32 v8, 31, v7
	s_lshl_b64 s[0:1], s[0:1], 3
	s_mul_hi_u32 s3, s20, s8
	s_add_u32 s2, s22, s0
	v_add_nc_u32_e32 v11, s6, v9
	v_or_b32_e32 v10, s5, v8
	s_mul_i32 s0, s21, s8
	s_addc_u32 s21, s23, s1
	s_add_i32 s1, s3, s0
	v_ashrrev_i32_e32 v4, 31, v11
	s_mul_i32 s0, s20, s8
	v_mul_lo_u32 v12, s19, v10
	v_mad_u64_u32 v[2:3], null, s18, v10, 0
	s_lshl_b64 s[0:1], s[0:1], 3
	v_mul_lo_u32 v13, s24, v4
	v_mul_lo_u32 v14, s25, v11
	v_mad_u64_u32 v[4:5], null, s24, v11, 0
	s_add_u32 s3, s16, s0
	s_addc_u32 s1, s17, s1
	s_ashr_i32 s0, s5, 31
	v_and_b32_e32 v6, 7, v0
	s_mul_i32 s0, s18, s0
	v_lshrrev_b32_e32 v7, 5, v7
	v_add3_u32 v3, v3, s0, v12
	v_add3_u32 v5, v5, v13, v14
	v_lshlrev_b32_e32 v12, 3, v6
	v_lshlrev_b32_e32 v8, 3, v8
	s_waitcnt lgkmcnt(0)
	v_cmp_gt_i32_e64 s0, s4, v10
	v_lshlrev_b64 v[2:3], 3, v[2:3]
	v_lshlrev_b64 v[4:5], 3, v[4:5]
	v_lshl_or_b32 v12, v9, 6, v12
	v_cmp_le_i32_e64 s7, s4, v10
	v_lshl_or_b32 v8, v7, 8, v8
	v_lshlrev_b32_e32 v14, 3, v0
	v_add_co_u32 v9, vcc_lo, s3, v2
	v_add_co_ci_u32_e64 v10, null, s1, v3, vcc_lo
	v_cmp_gt_i32_e32 vcc_lo, s4, v11
	v_add_nc_u32_e32 v11, 0x800, v12
	v_add_co_u32 v12, s1, s2, v4
	v_add_co_ci_u32_e64 v13, null, s21, v5, s1
	v_lshl_add_u32 v15, v1, 6, 0x800
	v_mov_b32_e32 v3, 0
	v_mov_b32_e32 v17, 0
	;; [unrolled: 1-line block ×9, first 2 shown]
	s_mov_b64 s[2:3], 0
	s_xor_b32 s1, vcc_lo, -1
                                        ; implicit-def: $vgpr4_vgpr5
	s_branch .LBB228_8
.LBB228_7:                              ;   in Loop: Header=BB228_8 Depth=1
	s_or_b32 exec_lo, exec_lo, s16
	s_waitcnt lgkmcnt(0)
	s_barrier
	buffer_gl0_inv
	ds_read_b128 v[24:27], v15
	ds_read2_b64 v[28:31], v14 offset1:16
	ds_read_b128 v[32:35], v15 offset:1024
	ds_read_b128 v[36:39], v15 offset:16
	;; [unrolled: 1-line block ×4, first 2 shown]
	ds_read2_b64 v[48:51], v14 offset0:32 offset1:48
	ds_read_b128 v[52:55], v15 offset:1040
	s_add_u32 s2, s2, 8
	s_addc_u32 s3, s3, 0
	v_cmp_gt_i64_e64 s16, s[12:13], s[2:3]
	s_and_b32 vcc_lo, exec_lo, s16
	s_waitcnt lgkmcnt(6)
	v_mul_f32_e32 v2, v25, v29
	v_mul_f32_e32 v56, v24, v29
	;; [unrolled: 1-line block ×4, first 2 shown]
	s_waitcnt lgkmcnt(5)
	v_mul_f32_e32 v59, v33, v29
	v_mul_f32_e32 v29, v32, v29
	;; [unrolled: 1-line block ×3, first 2 shown]
	v_fma_f32 v2, v24, v28, -v2
	v_fmac_f32_e32 v56, v25, v28
	v_fma_f32 v24, v24, v30, -v57
	v_fmac_f32_e32 v58, v25, v30
	;; [unrolled: 2-line block ×3, first 2 shown]
	v_mul_f32_e32 v31, v32, v31
	v_fma_f32 v28, v32, v30, -v60
	v_add_f32_e32 v2, v22, v2
	v_add_f32_e32 v22, v23, v56
	;; [unrolled: 1-line block ×6, first 2 shown]
	s_waitcnt lgkmcnt(1)
	v_mul_f32_e32 v32, v27, v49
	ds_read2_b64 v[18:21], v14 offset0:64 offset1:80
	v_fmac_f32_e32 v31, v33, v30
	v_add_f32_e32 v16, v16, v28
	v_mul_f32_e32 v28, v26, v49
	v_fma_f32 v30, v26, v48, -v32
	v_mul_f32_e32 v32, v27, v51
	v_add_f32_e32 v17, v17, v31
	v_mul_f32_e32 v31, v26, v51
	v_fmac_f32_e32 v28, v27, v48
	v_add_f32_e32 v2, v2, v30
	v_fma_f32 v26, v26, v50, -v32
	v_mul_f32_e32 v30, v35, v49
	v_fmac_f32_e32 v31, v27, v50
	v_add_f32_e32 v28, v22, v28
	v_mul_f32_e32 v22, v34, v49
	v_add_f32_e32 v26, v23, v26
	v_fma_f32 v23, v34, v48, -v30
	v_mul_f32_e32 v27, v35, v51
	v_add_f32_e32 v30, v24, v31
	v_fmac_f32_e32 v22, v35, v48
	v_mul_f32_e32 v31, v34, v51
	v_add_f32_e32 v32, v25, v23
	v_fma_f32 v23, v34, v50, -v27
	s_waitcnt lgkmcnt(0)
	v_mul_f32_e32 v24, v37, v19
	v_add_f32_e32 v27, v29, v22
	v_fmac_f32_e32 v31, v35, v50
	v_mul_f32_e32 v29, v36, v19
	v_add_f32_e32 v16, v16, v23
	v_fma_f32 v33, v36, v18, -v24
	v_mul_f32_e32 v34, v37, v21
	ds_read2_b64 v[22:25], v14 offset0:96 offset1:112
	v_fmac_f32_e32 v29, v37, v18
	v_add_f32_e32 v31, v17, v31
	v_add_f32_e32 v2, v2, v33
	v_mul_f32_e32 v17, v36, v21
	v_fma_f32 v33, v36, v20, -v34
	v_add_f32_e32 v28, v28, v29
	v_mul_f32_e32 v29, v53, v19
	v_mul_f32_e32 v19, v52, v19
	v_fmac_f32_e32 v17, v37, v20
	v_add_f32_e32 v26, v26, v33
	v_mul_f32_e32 v33, v53, v21
	v_mul_f32_e32 v21, v52, v21
	v_fmac_f32_e32 v19, v53, v18
	v_add_f32_e32 v30, v30, v17
	v_fma_f32 v29, v52, v18, -v29
	v_fma_f32 v17, v52, v20, -v33
	v_fmac_f32_e32 v21, v53, v20
	v_add_f32_e32 v33, v27, v19
	s_waitcnt lgkmcnt(0)
	v_mul_f32_e32 v20, v39, v23
	v_add_f32_e32 v34, v16, v17
	ds_read2_b64 v[16:19], v14 offset0:128 offset1:144
	v_add_f32_e32 v32, v32, v29
	v_mul_f32_e32 v27, v38, v23
	v_mul_f32_e32 v29, v39, v25
	v_fma_f32 v20, v38, v22, -v20
	v_add_f32_e32 v31, v31, v21
	v_mul_f32_e32 v21, v38, v25
	v_fmac_f32_e32 v27, v39, v22
	v_fma_f32 v29, v38, v24, -v29
	v_add_f32_e32 v2, v2, v20
	v_mul_f32_e32 v20, v55, v23
	v_fmac_f32_e32 v21, v39, v24
	v_add_f32_e32 v35, v28, v27
	v_add_f32_e32 v36, v26, v29
	v_mul_f32_e32 v23, v54, v23
	v_fma_f32 v20, v54, v22, -v20
	v_mul_f32_e32 v37, v55, v25
	ds_read_b128 v[26:29], v15 offset:1056
	v_add_f32_e32 v38, v30, v21
	v_fmac_f32_e32 v23, v55, v22
	v_mul_f32_e32 v25, v54, v25
	v_fma_f32 v21, v54, v24, -v37
	v_add_f32_e32 v37, v32, v20
	s_waitcnt lgkmcnt(1)
	v_mul_f32_e32 v20, v41, v17
	v_add_f32_e32 v39, v33, v23
	v_fmac_f32_e32 v25, v55, v24
	v_add_f32_e32 v24, v34, v21
	v_mul_f32_e32 v32, v41, v19
	v_fma_f32 v30, v40, v16, -v20
	ds_read2_b64 v[20:23], v14 offset0:160 offset1:176
	v_mul_f32_e32 v34, v40, v17
	v_add_f32_e32 v25, v31, v25
	v_fma_f32 v48, v40, v18, -v32
	v_mul_f32_e32 v40, v40, v19
	v_add_f32_e32 v2, v2, v30
	v_fmac_f32_e32 v34, v41, v16
	ds_read_b128 v[30:33], v15 offset:1072
	s_waitcnt lgkmcnt(2)
	v_mul_f32_e32 v49, v27, v17
	v_mul_f32_e32 v17, v26, v17
	v_fmac_f32_e32 v40, v41, v18
	v_mul_f32_e32 v41, v27, v19
	v_add_f32_e32 v34, v35, v34
	v_add_f32_e32 v35, v36, v48
	v_fma_f32 v36, v26, v16, -v49
	v_fmac_f32_e32 v17, v27, v16
	v_add_f32_e32 v38, v38, v40
	v_mul_f32_e32 v40, v26, v19
	v_fma_f32 v16, v26, v18, -v41
	v_add_f32_e32 v36, v37, v36
	v_add_f32_e32 v26, v39, v17
	s_waitcnt lgkmcnt(1)
	v_mul_f32_e32 v37, v43, v21
	v_fmac_f32_e32 v40, v27, v18
	v_add_f32_e32 v24, v24, v16
	ds_read2_b64 v[16:19], v14 offset0:192 offset1:208
	v_mul_f32_e32 v27, v42, v21
	v_fma_f32 v37, v42, v20, -v37
	v_mul_f32_e32 v39, v43, v23
	v_add_f32_e32 v40, v25, v40
	v_mul_f32_e32 v25, v42, v23
	v_fmac_f32_e32 v27, v43, v20
	v_add_f32_e32 v2, v2, v37
	v_fma_f32 v37, v42, v22, -v39
	v_fmac_f32_e32 v25, v43, v22
	v_add_f32_e32 v34, v34, v27
	v_mul_f32_e32 v27, v29, v21
	v_mul_f32_e32 v21, v28, v21
	v_add_f32_e32 v35, v35, v37
	v_mul_f32_e32 v37, v29, v23
	v_add_f32_e32 v38, v38, v25
	v_fma_f32 v27, v28, v20, -v27
	v_fmac_f32_e32 v21, v29, v20
	v_mul_f32_e32 v20, v28, v23
	v_fma_f32 v23, v28, v22, -v37
	s_waitcnt lgkmcnt(0)
	v_mul_f32_e32 v25, v45, v17
	v_add_f32_e32 v28, v36, v27
	v_add_f32_e32 v21, v26, v21
	v_fmac_f32_e32 v20, v29, v22
	v_add_f32_e32 v22, v24, v23
	v_fma_f32 v29, v44, v16, -v25
	ds_read2_b64 v[24:27], v14 offset0:224 offset1:240
	v_mul_f32_e32 v23, v44, v17
	v_mul_f32_e32 v37, v31, v17
	;; [unrolled: 1-line block ×4, first 2 shown]
	v_add_f32_e32 v2, v2, v29
	v_fmac_f32_e32 v23, v45, v16
	v_mul_f32_e32 v29, v44, v19
	v_fmac_f32_e32 v17, v31, v16
	v_fma_f32 v36, v44, v18, -v36
	v_add_f32_e32 v20, v40, v20
	v_add_f32_e32 v23, v34, v23
	v_fma_f32 v34, v30, v16, -v37
	v_mul_f32_e32 v16, v31, v19
	v_mul_f32_e32 v19, v30, v19
	v_fmac_f32_e32 v29, v45, v18
	v_add_f32_e32 v17, v21, v17
	v_add_f32_e32 v35, v35, v36
	v_fma_f32 v16, v30, v18, -v16
	v_fmac_f32_e32 v19, v31, v18
	s_waitcnt lgkmcnt(0)
	v_mul_f32_e32 v21, v47, v25
	v_mul_f32_e32 v18, v47, v27
	v_add_f32_e32 v28, v28, v34
	v_mul_f32_e32 v30, v46, v25
	v_add_f32_e32 v16, v22, v16
	v_fma_f32 v21, v46, v24, -v21
	v_fma_f32 v18, v46, v26, -v18
	v_mul_f32_e32 v31, v46, v27
	v_add_f32_e32 v34, v20, v19
	v_mul_f32_e32 v19, v32, v25
	v_add_f32_e32 v22, v2, v21
	v_add_f32_e32 v20, v35, v18
	v_mul_f32_e32 v2, v33, v25
	v_mul_f32_e32 v18, v33, v27
	;; [unrolled: 1-line block ×3, first 2 shown]
	v_add_f32_e32 v29, v38, v29
	v_fmac_f32_e32 v30, v47, v24
	v_fmac_f32_e32 v31, v47, v26
	v_fma_f32 v2, v32, v24, -v2
	v_fmac_f32_e32 v19, v33, v24
	v_fma_f32 v24, v32, v26, -v18
	v_fmac_f32_e32 v25, v33, v26
	v_add_f32_e32 v23, v23, v30
	v_add_f32_e32 v21, v29, v31
	;; [unrolled: 1-line block ×6, first 2 shown]
	s_barrier
	buffer_gl0_inv
	s_cbranch_vccz .LBB228_18
.LBB228_8:                              ; =>This Inner Loop Header: Depth=1
	s_mov_b32 s18, s7
	s_mov_b32 s16, 0
	s_and_saveexec_b32 s17, s0
	s_cbranch_execnz .LBB228_16
; %bb.9:                                ;   in Loop: Header=BB228_8 Depth=1
	s_or_b32 exec_lo, exec_lo, s17
	s_and_saveexec_b32 s17, s18
	s_xor_b32 s17, exec_lo, s17
	s_cbranch_execnz .LBB228_17
.LBB228_10:                             ;   in Loop: Header=BB228_8 Depth=1
	s_or_b32 exec_lo, exec_lo, s17
	s_and_saveexec_b32 s17, s16
	s_cbranch_execz .LBB228_12
.LBB228_11:                             ;   in Loop: Header=BB228_8 Depth=1
	v_lshlrev_b64 v[24:25], 3, v[4:5]
	v_add_co_u32 v24, vcc_lo, v9, v24
	v_add_co_ci_u32_e64 v25, null, v10, v25, vcc_lo
	global_load_dwordx2 v[24:25], v[24:25], off
	s_waitcnt vmcnt(0)
	ds_write_b64 v8, v[24:25]
.LBB228_12:                             ;   in Loop: Header=BB228_8 Depth=1
	s_or_b32 exec_lo, exec_lo, s17
	v_add_nc_u32_e32 v2, s2, v6
	v_cmp_le_u64_e32 vcc_lo, s[12:13], v[2:3]
	s_or_b32 s16, vcc_lo, s1
	s_and_saveexec_b32 s17, s16
	s_xor_b32 s16, exec_lo, s17
; %bb.13:                               ;   in Loop: Header=BB228_8 Depth=1
	v_mov_b32_e32 v2, v3
	ds_write_b64 v11, v[2:3]
; %bb.14:                               ;   in Loop: Header=BB228_8 Depth=1
	s_andn2_saveexec_b32 s16, s16
	s_cbranch_execz .LBB228_7
; %bb.15:                               ;   in Loop: Header=BB228_8 Depth=1
	v_lshlrev_b64 v[24:25], 3, v[2:3]
	v_add_co_u32 v24, vcc_lo, v12, v24
	v_add_co_ci_u32_e64 v25, null, v13, v25, vcc_lo
	global_load_dwordx2 v[24:25], v[24:25], off
	s_waitcnt vmcnt(0)
	ds_write_b64 v11, v[24:25]
	s_branch .LBB228_7
.LBB228_16:                             ;   in Loop: Header=BB228_8 Depth=1
	v_add_nc_u32_e32 v2, s2, v7
	v_mov_b32_e32 v5, v3
	s_andn2_b32 s18, s7, exec_lo
	s_mov_b32 s16, exec_lo
	v_cmp_le_u64_e32 vcc_lo, s[12:13], v[2:3]
	v_mov_b32_e32 v4, v2
	s_and_b32 s19, vcc_lo, exec_lo
	s_or_b32 s18, s18, s19
	s_or_b32 exec_lo, exec_lo, s17
	s_and_saveexec_b32 s17, s18
	s_xor_b32 s17, exec_lo, s17
	s_cbranch_execz .LBB228_10
.LBB228_17:                             ;   in Loop: Header=BB228_8 Depth=1
	v_mov_b32_e32 v2, v3
	s_andn2_b32 s16, s16, exec_lo
	ds_write_b64 v8, v[2:3]
	s_or_b32 exec_lo, exec_lo, s17
	s_and_saveexec_b32 s17, s16
	s_cbranch_execnz .LBB228_11
	s_branch .LBB228_12
.LBB228_18:
	v_add_nc_u32_e32 v9, s6, v1
	s_mul_i32 s1, s43, s8
	s_mul_hi_u32 s2, s42, s8
	s_mul_i32 s0, s42, s8
	s_add_i32 s1, s2, s1
	v_ashrrev_i32_e32 v3, 31, v9
	v_mul_lo_u32 v4, s41, v9
	v_mad_u64_u32 v[1:2], null, s40, v9, 0
	v_add_nc_u32_e32 v0, s5, v0
	v_mul_lo_u32 v3, s40, v3
	v_cmp_neq_f32_e64 s2, s10, 0
	s_lshl_b64 s[6:7], s[0:1], 3
	s_add_u32 s3, s38, s6
	s_addc_u32 s5, s39, s7
	s_xor_b32 s6, s9, -1
	v_cmp_le_i32_e32 vcc_lo, v9, v0
	v_add3_u32 v2, v2, v3, v4
	s_waitcnt lgkmcnt(0)
	v_cmp_gt_i32_e64 s0, s4, v0
	s_or_b32 s2, s2, s6
	v_cndmask_b32_e64 v8, 0, 1, s2
	v_lshlrev_b64 v[2:3], 3, v[1:2]
	v_ashrrev_i32_e32 v1, 31, v0
	s_and_b32 s6, vcc_lo, s0
	v_add_co_u32 v6, s1, s3, v2
	v_add_co_ci_u32_e64 v7, null, s5, v3, s1
	s_and_saveexec_b32 s1, s6
	s_cbranch_execz .LBB228_22
; %bb.19:
	v_lshlrev_b64 v[4:5], 3, v[0:1]
	v_mul_f32_e32 v2, s15, v23
	v_mul_f32_e32 v3, s14, v23
	v_fma_f32 v2, v22, s14, -v2
	v_add_co_u32 v4, vcc_lo, v6, v4
	v_fmac_f32_e32 v3, s15, v22
	v_add_co_ci_u32_e64 v5, null, v7, v5, vcc_lo
	s_andn2_b32 vcc_lo, exec_lo, s2
	s_cbranch_vccnz .LBB228_21
; %bb.20:
	global_load_dwordx2 v[10:11], v[4:5], off
	s_waitcnt vmcnt(0)
	v_mul_f32_e32 v12, s11, v11
	v_mul_f32_e32 v11, s10, v11
	v_fma_f32 v12, v10, s10, -v12
	v_fmac_f32_e32 v11, s11, v10
	v_add_f32_e32 v2, v2, v12
	v_add_f32_e32 v3, v3, v11
.LBB228_21:
	global_store_dwordx2 v[4:5], v[2:3], off
.LBB228_22:
	s_or_b32 exec_lo, exec_lo, s1
	v_add_nc_u32_e32 v2, 16, v0
	v_cmp_le_i32_e32 vcc_lo, v9, v2
	v_cmp_gt_i32_e64 s1, s4, v2
	v_ashrrev_i32_e32 v3, 31, v2
	s_and_b32 s2, vcc_lo, s1
	s_and_saveexec_b32 s4, s2
	s_cbranch_execz .LBB228_26
; %bb.23:
	v_lshlrev_b64 v[10:11], 3, v[2:3]
	v_mul_f32_e32 v4, s15, v21
	v_mul_f32_e32 v5, s14, v21
	v_cmp_ne_u32_e32 vcc_lo, 1, v8
	v_fma_f32 v4, v20, s14, -v4
	v_add_co_u32 v6, s2, v6, v10
	v_fmac_f32_e32 v5, s15, v20
	v_add_co_ci_u32_e64 v7, null, v7, v11, s2
	s_cbranch_vccnz .LBB228_25
; %bb.24:
	global_load_dwordx2 v[10:11], v[6:7], off
	s_waitcnt vmcnt(0)
	v_mul_f32_e32 v12, s11, v11
	v_mul_f32_e32 v11, s10, v11
	v_fma_f32 v12, v10, s10, -v12
	v_fmac_f32_e32 v11, s11, v10
	v_add_f32_e32 v4, v4, v12
	v_add_f32_e32 v5, v5, v11
.LBB228_25:
	global_store_dwordx2 v[6:7], v[4:5], off
.LBB228_26:
	s_or_b32 exec_lo, exec_lo, s4
	v_add_nc_u32_e32 v9, 16, v9
	v_ashrrev_i32_e32 v6, 31, v9
	v_mul_lo_u32 v7, s41, v9
	v_mad_u64_u32 v[4:5], null, s40, v9, 0
	v_cmp_le_i32_e32 vcc_lo, v9, v0
	v_mul_lo_u32 v6, s40, v6
	s_and_b32 s0, vcc_lo, s0
	v_add3_u32 v5, v5, v6, v7
	v_lshlrev_b64 v[4:5], 3, v[4:5]
	v_add_co_u32 v6, s2, s3, v4
	v_add_co_ci_u32_e64 v7, null, s5, v5, s2
	s_and_saveexec_b32 s2, s0
	s_cbranch_execz .LBB228_30
; %bb.27:
	v_lshlrev_b64 v[0:1], 3, v[0:1]
	v_mul_f32_e32 v4, s15, v19
	v_mul_f32_e32 v5, s14, v19
	v_cmp_ne_u32_e32 vcc_lo, 1, v8
	v_fma_f32 v4, v18, s14, -v4
	v_add_co_u32 v0, s0, v6, v0
	v_fmac_f32_e32 v5, s15, v18
	v_add_co_ci_u32_e64 v1, null, v7, v1, s0
	s_cbranch_vccnz .LBB228_29
; %bb.28:
	global_load_dwordx2 v[10:11], v[0:1], off
	s_waitcnt vmcnt(0)
	v_mul_f32_e32 v12, s11, v11
	v_mul_f32_e32 v11, s10, v11
	v_fma_f32 v12, v10, s10, -v12
	v_fmac_f32_e32 v11, s11, v10
	v_add_f32_e32 v4, v4, v12
	v_add_f32_e32 v5, v5, v11
.LBB228_29:
	global_store_dwordx2 v[0:1], v[4:5], off
.LBB228_30:
	s_or_b32 exec_lo, exec_lo, s2
	v_cmp_le_i32_e32 vcc_lo, v9, v2
	s_and_b32 s0, vcc_lo, s1
	s_and_saveexec_b32 s1, s0
	s_cbranch_execz .LBB228_34
; %bb.31:
	v_lshlrev_b64 v[2:3], 3, v[2:3]
	v_mul_f32_e32 v0, s15, v17
	v_mul_f32_e32 v1, s14, v17
	v_cmp_ne_u32_e32 vcc_lo, 1, v8
	v_fma_f32 v0, v16, s14, -v0
	v_add_co_u32 v2, s0, v6, v2
	v_fmac_f32_e32 v1, s15, v16
	v_add_co_ci_u32_e64 v3, null, v7, v3, s0
	s_cbranch_vccnz .LBB228_33
; %bb.32:
	global_load_dwordx2 v[4:5], v[2:3], off
	s_waitcnt vmcnt(0)
	v_mul_f32_e32 v6, s11, v5
	v_mul_f32_e32 v5, s10, v5
	v_fma_f32 v6, v4, s10, -v6
	v_fmac_f32_e32 v5, s11, v4
	v_add_f32_e32 v0, v0, v6
	v_add_f32_e32 v1, v1, v5
.LBB228_33:
	global_store_dwordx2 v[2:3], v[0:1], off
.LBB228_34:
	s_endpgm
	.section	.rodata,"a",@progbits
	.p2align	6, 0x0
	.amdhsa_kernel _ZL29rocblas_internal_gemmt_kernelIlLi16ELi32ELi8ELc84ELc78ELc76ELb0ELb0E19rocblas_complex_numIfEPKS1_S3_PS1_EviT_T9_T10_S5_lS7_S5_lS6_T11_S5_li
		.amdhsa_group_segment_fixed_size 4096
		.amdhsa_private_segment_fixed_size 0
		.amdhsa_kernarg_size 108
		.amdhsa_user_sgpr_count 6
		.amdhsa_user_sgpr_private_segment_buffer 1
		.amdhsa_user_sgpr_dispatch_ptr 0
		.amdhsa_user_sgpr_queue_ptr 0
		.amdhsa_user_sgpr_kernarg_segment_ptr 1
		.amdhsa_user_sgpr_dispatch_id 0
		.amdhsa_user_sgpr_flat_scratch_init 0
		.amdhsa_user_sgpr_private_segment_size 0
		.amdhsa_wavefront_size32 1
		.amdhsa_uses_dynamic_stack 0
		.amdhsa_system_sgpr_private_segment_wavefront_offset 0
		.amdhsa_system_sgpr_workgroup_id_x 1
		.amdhsa_system_sgpr_workgroup_id_y 1
		.amdhsa_system_sgpr_workgroup_id_z 1
		.amdhsa_system_sgpr_workgroup_info 0
		.amdhsa_system_vgpr_workitem_id 1
		.amdhsa_next_free_vgpr 61
		.amdhsa_next_free_sgpr 44
		.amdhsa_reserve_vcc 1
		.amdhsa_reserve_flat_scratch 0
		.amdhsa_float_round_mode_32 0
		.amdhsa_float_round_mode_16_64 0
		.amdhsa_float_denorm_mode_32 3
		.amdhsa_float_denorm_mode_16_64 3
		.amdhsa_dx10_clamp 1
		.amdhsa_ieee_mode 1
		.amdhsa_fp16_overflow 0
		.amdhsa_workgroup_processor_mode 1
		.amdhsa_memory_ordered 1
		.amdhsa_forward_progress 1
		.amdhsa_shared_vgpr_count 0
		.amdhsa_exception_fp_ieee_invalid_op 0
		.amdhsa_exception_fp_denorm_src 0
		.amdhsa_exception_fp_ieee_div_zero 0
		.amdhsa_exception_fp_ieee_overflow 0
		.amdhsa_exception_fp_ieee_underflow 0
		.amdhsa_exception_fp_ieee_inexact 0
		.amdhsa_exception_int_div_zero 0
	.end_amdhsa_kernel
	.section	.text._ZL29rocblas_internal_gemmt_kernelIlLi16ELi32ELi8ELc84ELc78ELc76ELb0ELb0E19rocblas_complex_numIfEPKS1_S3_PS1_EviT_T9_T10_S5_lS7_S5_lS6_T11_S5_li,"axG",@progbits,_ZL29rocblas_internal_gemmt_kernelIlLi16ELi32ELi8ELc84ELc78ELc76ELb0ELb0E19rocblas_complex_numIfEPKS1_S3_PS1_EviT_T9_T10_S5_lS7_S5_lS6_T11_S5_li,comdat
.Lfunc_end228:
	.size	_ZL29rocblas_internal_gemmt_kernelIlLi16ELi32ELi8ELc84ELc78ELc76ELb0ELb0E19rocblas_complex_numIfEPKS1_S3_PS1_EviT_T9_T10_S5_lS7_S5_lS6_T11_S5_li, .Lfunc_end228-_ZL29rocblas_internal_gemmt_kernelIlLi16ELi32ELi8ELc84ELc78ELc76ELb0ELb0E19rocblas_complex_numIfEPKS1_S3_PS1_EviT_T9_T10_S5_lS7_S5_lS6_T11_S5_li
                                        ; -- End function
	.set _ZL29rocblas_internal_gemmt_kernelIlLi16ELi32ELi8ELc84ELc78ELc76ELb0ELb0E19rocblas_complex_numIfEPKS1_S3_PS1_EviT_T9_T10_S5_lS7_S5_lS6_T11_S5_li.num_vgpr, 61
	.set _ZL29rocblas_internal_gemmt_kernelIlLi16ELi32ELi8ELc84ELc78ELc76ELb0ELb0E19rocblas_complex_numIfEPKS1_S3_PS1_EviT_T9_T10_S5_lS7_S5_lS6_T11_S5_li.num_agpr, 0
	.set _ZL29rocblas_internal_gemmt_kernelIlLi16ELi32ELi8ELc84ELc78ELc76ELb0ELb0E19rocblas_complex_numIfEPKS1_S3_PS1_EviT_T9_T10_S5_lS7_S5_lS6_T11_S5_li.numbered_sgpr, 44
	.set _ZL29rocblas_internal_gemmt_kernelIlLi16ELi32ELi8ELc84ELc78ELc76ELb0ELb0E19rocblas_complex_numIfEPKS1_S3_PS1_EviT_T9_T10_S5_lS7_S5_lS6_T11_S5_li.num_named_barrier, 0
	.set _ZL29rocblas_internal_gemmt_kernelIlLi16ELi32ELi8ELc84ELc78ELc76ELb0ELb0E19rocblas_complex_numIfEPKS1_S3_PS1_EviT_T9_T10_S5_lS7_S5_lS6_T11_S5_li.private_seg_size, 0
	.set _ZL29rocblas_internal_gemmt_kernelIlLi16ELi32ELi8ELc84ELc78ELc76ELb0ELb0E19rocblas_complex_numIfEPKS1_S3_PS1_EviT_T9_T10_S5_lS7_S5_lS6_T11_S5_li.uses_vcc, 1
	.set _ZL29rocblas_internal_gemmt_kernelIlLi16ELi32ELi8ELc84ELc78ELc76ELb0ELb0E19rocblas_complex_numIfEPKS1_S3_PS1_EviT_T9_T10_S5_lS7_S5_lS6_T11_S5_li.uses_flat_scratch, 0
	.set _ZL29rocblas_internal_gemmt_kernelIlLi16ELi32ELi8ELc84ELc78ELc76ELb0ELb0E19rocblas_complex_numIfEPKS1_S3_PS1_EviT_T9_T10_S5_lS7_S5_lS6_T11_S5_li.has_dyn_sized_stack, 0
	.set _ZL29rocblas_internal_gemmt_kernelIlLi16ELi32ELi8ELc84ELc78ELc76ELb0ELb0E19rocblas_complex_numIfEPKS1_S3_PS1_EviT_T9_T10_S5_lS7_S5_lS6_T11_S5_li.has_recursion, 0
	.set _ZL29rocblas_internal_gemmt_kernelIlLi16ELi32ELi8ELc84ELc78ELc76ELb0ELb0E19rocblas_complex_numIfEPKS1_S3_PS1_EviT_T9_T10_S5_lS7_S5_lS6_T11_S5_li.has_indirect_call, 0
	.section	.AMDGPU.csdata,"",@progbits
; Kernel info:
; codeLenInByte = 2616
; TotalNumSgprs: 46
; NumVgprs: 61
; ScratchSize: 0
; MemoryBound: 0
; FloatMode: 240
; IeeeMode: 1
; LDSByteSize: 4096 bytes/workgroup (compile time only)
; SGPRBlocks: 0
; VGPRBlocks: 7
; NumSGPRsForWavesPerEU: 46
; NumVGPRsForWavesPerEU: 61
; Occupancy: 16
; WaveLimiterHint : 0
; COMPUTE_PGM_RSRC2:SCRATCH_EN: 0
; COMPUTE_PGM_RSRC2:USER_SGPR: 6
; COMPUTE_PGM_RSRC2:TRAP_HANDLER: 0
; COMPUTE_PGM_RSRC2:TGID_X_EN: 1
; COMPUTE_PGM_RSRC2:TGID_Y_EN: 1
; COMPUTE_PGM_RSRC2:TGID_Z_EN: 1
; COMPUTE_PGM_RSRC2:TIDIG_COMP_CNT: 1
	.section	.text._ZL29rocblas_internal_gemmt_kernelIlLi16ELi32ELi8ELc84ELc84ELc76ELb0ELb0E19rocblas_complex_numIfEPKS1_S3_PS1_EviT_T9_T10_S5_lS7_S5_lS6_T11_S5_li,"axG",@progbits,_ZL29rocblas_internal_gemmt_kernelIlLi16ELi32ELi8ELc84ELc84ELc76ELb0ELb0E19rocblas_complex_numIfEPKS1_S3_PS1_EviT_T9_T10_S5_lS7_S5_lS6_T11_S5_li,comdat
	.globl	_ZL29rocblas_internal_gemmt_kernelIlLi16ELi32ELi8ELc84ELc84ELc76ELb0ELb0E19rocblas_complex_numIfEPKS1_S3_PS1_EviT_T9_T10_S5_lS7_S5_lS6_T11_S5_li ; -- Begin function _ZL29rocblas_internal_gemmt_kernelIlLi16ELi32ELi8ELc84ELc84ELc76ELb0ELb0E19rocblas_complex_numIfEPKS1_S3_PS1_EviT_T9_T10_S5_lS7_S5_lS6_T11_S5_li
	.p2align	8
	.type	_ZL29rocblas_internal_gemmt_kernelIlLi16ELi32ELi8ELc84ELc84ELc76ELb0ELb0E19rocblas_complex_numIfEPKS1_S3_PS1_EviT_T9_T10_S5_lS7_S5_lS6_T11_S5_li,@function
_ZL29rocblas_internal_gemmt_kernelIlLi16ELi32ELi8ELc84ELc84ELc76ELb0ELb0E19rocblas_complex_numIfEPKS1_S3_PS1_EviT_T9_T10_S5_lS7_S5_lS6_T11_S5_li: ; @_ZL29rocblas_internal_gemmt_kernelIlLi16ELi32ELi8ELc84ELc84ELc76ELb0ELb0E19rocblas_complex_numIfEPKS1_S3_PS1_EviT_T9_T10_S5_lS7_S5_lS6_T11_S5_li
; %bb.0:
	s_clause 0x1
	s_load_dwordx8 s[36:43], s[4:5], 0x48
	s_load_dwordx16 s[12:27], s[4:5], 0x8
	s_waitcnt lgkmcnt(0)
	s_load_dwordx2 s[10:11], s[36:37], 0x0
	s_load_dwordx2 s[14:15], s[14:15], 0x0
	s_waitcnt lgkmcnt(0)
	s_and_b32 s0, s11, 0x7fffffff
	v_cmp_eq_f32_e64 s1, s10, 1.0
	s_cmp_eq_u32 s0, 0
	s_mov_b32 s0, 0
	s_cselect_b32 s9, -1, 0
	s_and_b32 s1, s1, s9
	s_andn2_b32 vcc_lo, exec_lo, s1
	s_mov_b32 s1, -1
	s_cbranch_vccnz .LBB229_4
; %bb.1:
	s_cmp_lg_u64 s[12:13], 0
	s_cbranch_scc0 .LBB229_3
; %bb.2:
	v_cmp_neq_f32_e64 s0, s14, 0
	v_cmp_neq_f32_e64 s1, s15, 0
	s_or_b32 s0, s0, s1
.LBB229_3:
	s_mov_b32 s1, s0
.LBB229_4:
	s_and_b32 vcc_lo, exec_lo, s1
	s_cbranch_vccz .LBB229_34
; %bb.5:
	s_load_dword s4, s[4:5], 0x0
	v_cmp_eq_f32_e64 s0, s14, 0
	v_cmp_eq_f32_e64 s1, s15, 0
	v_cmp_lt_i64_e64 s2, s[12:13], 1
	v_mov_b32_e32 v22, 0
	v_mov_b32_e32 v23, 0
	;; [unrolled: 1-line block ×3, first 2 shown]
	s_and_b32 s0, s0, s1
	v_mov_b32_e32 v21, 0
	v_mov_b32_e32 v18, 0
	;; [unrolled: 1-line block ×5, first 2 shown]
	s_or_b32 s0, s0, s2
	s_lshl_b32 s5, s6, 5
	s_and_b32 vcc_lo, exec_lo, s0
	s_lshl_b32 s6, s7, 5
	s_cbranch_vccnz .LBB229_18
; %bb.6:
	v_lshl_add_u32 v4, v1, 4, v0
	s_mul_i32 s1, s27, s8
	s_mul_hi_u32 s2, s26, s8
	s_mul_i32 s0, s26, s8
	s_add_i32 s1, s2, s1
	v_and_b32_e32 v5, 31, v4
	s_lshl_b64 s[0:1], s[0:1], 3
	s_mul_i32 s2, s21, s8
	s_mul_hi_u32 s3, s20, s8
	s_add_u32 s21, s22, s0
	v_or_b32_e32 v8, s5, v5
	s_addc_u32 s22, s23, s1
	s_add_i32 s1, s3, s2
	s_mul_i32 s0, s20, s8
	v_lshrrev_b32_e32 v10, 3, v4
	v_mul_lo_u32 v9, s19, v8
	v_mad_u64_u32 v[2:3], null, s18, v8, 0
	s_lshl_b64 s[0:1], s[0:1], 3
	v_lshrrev_b32_e32 v7, 5, v4
	s_add_u32 s2, s16, s0
	s_addc_u32 s1, s17, s1
	s_ashr_i32 s0, s5, 31
	v_add_nc_u32_e32 v4, s6, v10
	s_mul_i32 s0, s18, s0
	v_and_b32_e32 v6, 7, v0
	v_add3_u32 v3, v3, s0, v9
	v_lshlrev_b32_e32 v9, 3, v5
	v_ashrrev_i32_e32 v5, 31, v4
	s_waitcnt lgkmcnt(0)
	v_cmp_gt_i32_e64 s0, s4, v8
	v_lshlrev_b32_e32 v11, 3, v6
	v_lshlrev_b64 v[2:3], 3, v[2:3]
	v_cmp_le_i32_e64 s7, s4, v8
	v_lshlrev_b64 v[12:13], 3, v[4:5]
	v_lshl_or_b32 v8, v7, 8, v9
	v_lshl_or_b32 v11, v10, 6, v11
	v_lshlrev_b32_e32 v14, 3, v0
	v_add_co_u32 v9, vcc_lo, s2, v2
	v_add_co_ci_u32_e64 v10, null, s1, v3, vcc_lo
	v_cmp_gt_i32_e32 vcc_lo, s4, v4
	v_add_co_u32 v12, s1, s21, v12
	v_add_nc_u32_e32 v11, 0x800, v11
	v_add_co_ci_u32_e64 v13, null, s22, v13, s1
	v_lshl_add_u32 v15, v1, 6, 0x800
	v_mov_b32_e32 v3, 0
	v_mov_b32_e32 v17, 0
	v_mov_b32_e32 v16, 0
	v_mov_b32_e32 v19, 0
	v_mov_b32_e32 v18, 0
	v_mov_b32_e32 v21, 0
	v_mov_b32_e32 v20, 0
	v_mov_b32_e32 v23, 0
	v_mov_b32_e32 v22, 0
	s_mov_b64 s[2:3], 0
	s_xor_b32 s1, vcc_lo, -1
                                        ; implicit-def: $vgpr4_vgpr5
	s_branch .LBB229_8
.LBB229_7:                              ;   in Loop: Header=BB229_8 Depth=1
	s_or_b32 exec_lo, exec_lo, s16
	s_waitcnt lgkmcnt(0)
	s_barrier
	buffer_gl0_inv
	ds_read_b128 v[24:27], v15
	ds_read2_b64 v[28:31], v14 offset1:16
	ds_read_b128 v[32:35], v15 offset:1024
	ds_read_b128 v[36:39], v15 offset:16
	;; [unrolled: 1-line block ×4, first 2 shown]
	ds_read2_b64 v[48:51], v14 offset0:32 offset1:48
	ds_read_b128 v[52:55], v15 offset:1040
	s_add_u32 s2, s2, 8
	s_addc_u32 s3, s3, 0
	v_cmp_gt_i64_e64 s16, s[12:13], s[2:3]
	s_and_b32 vcc_lo, exec_lo, s16
	s_waitcnt lgkmcnt(6)
	v_mul_f32_e32 v2, v25, v29
	v_mul_f32_e32 v56, v24, v29
	;; [unrolled: 1-line block ×4, first 2 shown]
	s_waitcnt lgkmcnt(5)
	v_mul_f32_e32 v59, v33, v29
	v_mul_f32_e32 v29, v32, v29
	;; [unrolled: 1-line block ×3, first 2 shown]
	v_fma_f32 v2, v24, v28, -v2
	v_fmac_f32_e32 v56, v25, v28
	v_fma_f32 v24, v24, v30, -v57
	v_fmac_f32_e32 v58, v25, v30
	;; [unrolled: 2-line block ×3, first 2 shown]
	v_mul_f32_e32 v31, v32, v31
	v_fma_f32 v28, v32, v30, -v60
	v_add_f32_e32 v2, v22, v2
	v_add_f32_e32 v22, v23, v56
	;; [unrolled: 1-line block ×6, first 2 shown]
	s_waitcnt lgkmcnt(1)
	v_mul_f32_e32 v32, v27, v49
	ds_read2_b64 v[18:21], v14 offset0:64 offset1:80
	v_fmac_f32_e32 v31, v33, v30
	v_add_f32_e32 v16, v16, v28
	v_mul_f32_e32 v28, v26, v49
	v_fma_f32 v30, v26, v48, -v32
	v_mul_f32_e32 v32, v27, v51
	v_add_f32_e32 v17, v17, v31
	v_mul_f32_e32 v31, v26, v51
	v_fmac_f32_e32 v28, v27, v48
	v_add_f32_e32 v2, v2, v30
	v_fma_f32 v26, v26, v50, -v32
	v_mul_f32_e32 v30, v35, v49
	v_fmac_f32_e32 v31, v27, v50
	v_add_f32_e32 v28, v22, v28
	v_mul_f32_e32 v22, v34, v49
	v_add_f32_e32 v26, v23, v26
	v_fma_f32 v23, v34, v48, -v30
	v_mul_f32_e32 v27, v35, v51
	v_add_f32_e32 v30, v24, v31
	v_fmac_f32_e32 v22, v35, v48
	v_mul_f32_e32 v31, v34, v51
	v_add_f32_e32 v32, v25, v23
	v_fma_f32 v23, v34, v50, -v27
	s_waitcnt lgkmcnt(0)
	v_mul_f32_e32 v24, v37, v19
	v_add_f32_e32 v27, v29, v22
	v_fmac_f32_e32 v31, v35, v50
	v_mul_f32_e32 v29, v36, v19
	v_add_f32_e32 v16, v16, v23
	v_fma_f32 v33, v36, v18, -v24
	v_mul_f32_e32 v34, v37, v21
	ds_read2_b64 v[22:25], v14 offset0:96 offset1:112
	v_fmac_f32_e32 v29, v37, v18
	v_add_f32_e32 v31, v17, v31
	v_add_f32_e32 v2, v2, v33
	v_mul_f32_e32 v17, v36, v21
	v_fma_f32 v33, v36, v20, -v34
	v_add_f32_e32 v28, v28, v29
	v_mul_f32_e32 v29, v53, v19
	v_mul_f32_e32 v19, v52, v19
	v_fmac_f32_e32 v17, v37, v20
	v_add_f32_e32 v26, v26, v33
	v_mul_f32_e32 v33, v53, v21
	v_mul_f32_e32 v21, v52, v21
	v_fmac_f32_e32 v19, v53, v18
	v_add_f32_e32 v30, v30, v17
	v_fma_f32 v29, v52, v18, -v29
	v_fma_f32 v17, v52, v20, -v33
	v_fmac_f32_e32 v21, v53, v20
	v_add_f32_e32 v33, v27, v19
	s_waitcnt lgkmcnt(0)
	v_mul_f32_e32 v20, v39, v23
	v_add_f32_e32 v34, v16, v17
	ds_read2_b64 v[16:19], v14 offset0:128 offset1:144
	v_add_f32_e32 v32, v32, v29
	v_mul_f32_e32 v27, v38, v23
	v_mul_f32_e32 v29, v39, v25
	v_fma_f32 v20, v38, v22, -v20
	v_add_f32_e32 v31, v31, v21
	v_mul_f32_e32 v21, v38, v25
	v_fmac_f32_e32 v27, v39, v22
	v_fma_f32 v29, v38, v24, -v29
	v_add_f32_e32 v2, v2, v20
	v_mul_f32_e32 v20, v55, v23
	v_fmac_f32_e32 v21, v39, v24
	v_add_f32_e32 v35, v28, v27
	v_add_f32_e32 v36, v26, v29
	v_mul_f32_e32 v23, v54, v23
	v_fma_f32 v20, v54, v22, -v20
	v_mul_f32_e32 v37, v55, v25
	ds_read_b128 v[26:29], v15 offset:1056
	v_add_f32_e32 v38, v30, v21
	v_fmac_f32_e32 v23, v55, v22
	v_mul_f32_e32 v25, v54, v25
	v_fma_f32 v21, v54, v24, -v37
	v_add_f32_e32 v37, v32, v20
	s_waitcnt lgkmcnt(1)
	v_mul_f32_e32 v20, v41, v17
	v_add_f32_e32 v39, v33, v23
	v_fmac_f32_e32 v25, v55, v24
	v_add_f32_e32 v24, v34, v21
	v_mul_f32_e32 v32, v41, v19
	v_fma_f32 v30, v40, v16, -v20
	ds_read2_b64 v[20:23], v14 offset0:160 offset1:176
	v_mul_f32_e32 v34, v40, v17
	v_add_f32_e32 v25, v31, v25
	v_fma_f32 v48, v40, v18, -v32
	v_mul_f32_e32 v40, v40, v19
	v_add_f32_e32 v2, v2, v30
	v_fmac_f32_e32 v34, v41, v16
	ds_read_b128 v[30:33], v15 offset:1072
	s_waitcnt lgkmcnt(2)
	v_mul_f32_e32 v49, v27, v17
	v_mul_f32_e32 v17, v26, v17
	v_fmac_f32_e32 v40, v41, v18
	v_mul_f32_e32 v41, v27, v19
	v_add_f32_e32 v34, v35, v34
	v_add_f32_e32 v35, v36, v48
	v_fma_f32 v36, v26, v16, -v49
	v_fmac_f32_e32 v17, v27, v16
	v_add_f32_e32 v38, v38, v40
	v_mul_f32_e32 v40, v26, v19
	v_fma_f32 v16, v26, v18, -v41
	v_add_f32_e32 v36, v37, v36
	v_add_f32_e32 v26, v39, v17
	s_waitcnt lgkmcnt(1)
	v_mul_f32_e32 v37, v43, v21
	v_fmac_f32_e32 v40, v27, v18
	v_add_f32_e32 v24, v24, v16
	ds_read2_b64 v[16:19], v14 offset0:192 offset1:208
	v_mul_f32_e32 v27, v42, v21
	v_fma_f32 v37, v42, v20, -v37
	v_mul_f32_e32 v39, v43, v23
	v_add_f32_e32 v40, v25, v40
	v_mul_f32_e32 v25, v42, v23
	v_fmac_f32_e32 v27, v43, v20
	v_add_f32_e32 v2, v2, v37
	v_fma_f32 v37, v42, v22, -v39
	v_fmac_f32_e32 v25, v43, v22
	v_add_f32_e32 v34, v34, v27
	v_mul_f32_e32 v27, v29, v21
	v_mul_f32_e32 v21, v28, v21
	v_add_f32_e32 v35, v35, v37
	v_mul_f32_e32 v37, v29, v23
	v_add_f32_e32 v38, v38, v25
	v_fma_f32 v27, v28, v20, -v27
	v_fmac_f32_e32 v21, v29, v20
	v_mul_f32_e32 v20, v28, v23
	v_fma_f32 v23, v28, v22, -v37
	s_waitcnt lgkmcnt(0)
	v_mul_f32_e32 v25, v45, v17
	v_add_f32_e32 v28, v36, v27
	v_add_f32_e32 v21, v26, v21
	v_fmac_f32_e32 v20, v29, v22
	v_add_f32_e32 v22, v24, v23
	v_fma_f32 v29, v44, v16, -v25
	ds_read2_b64 v[24:27], v14 offset0:224 offset1:240
	v_mul_f32_e32 v23, v44, v17
	v_mul_f32_e32 v37, v31, v17
	;; [unrolled: 1-line block ×4, first 2 shown]
	v_add_f32_e32 v2, v2, v29
	v_fmac_f32_e32 v23, v45, v16
	v_mul_f32_e32 v29, v44, v19
	v_fmac_f32_e32 v17, v31, v16
	v_fma_f32 v36, v44, v18, -v36
	v_add_f32_e32 v20, v40, v20
	v_add_f32_e32 v23, v34, v23
	v_fma_f32 v34, v30, v16, -v37
	v_mul_f32_e32 v16, v31, v19
	v_mul_f32_e32 v19, v30, v19
	v_fmac_f32_e32 v29, v45, v18
	v_add_f32_e32 v17, v21, v17
	v_add_f32_e32 v35, v35, v36
	v_fma_f32 v16, v30, v18, -v16
	v_fmac_f32_e32 v19, v31, v18
	s_waitcnt lgkmcnt(0)
	v_mul_f32_e32 v21, v47, v25
	v_mul_f32_e32 v18, v47, v27
	v_add_f32_e32 v28, v28, v34
	v_mul_f32_e32 v30, v46, v25
	v_add_f32_e32 v16, v22, v16
	v_fma_f32 v21, v46, v24, -v21
	v_fma_f32 v18, v46, v26, -v18
	v_mul_f32_e32 v31, v46, v27
	v_add_f32_e32 v34, v20, v19
	v_mul_f32_e32 v19, v32, v25
	v_add_f32_e32 v22, v2, v21
	v_add_f32_e32 v20, v35, v18
	v_mul_f32_e32 v2, v33, v25
	v_mul_f32_e32 v18, v33, v27
	v_mul_f32_e32 v25, v32, v27
	v_add_f32_e32 v29, v38, v29
	v_fmac_f32_e32 v30, v47, v24
	v_fmac_f32_e32 v31, v47, v26
	v_fma_f32 v2, v32, v24, -v2
	v_fmac_f32_e32 v19, v33, v24
	v_fma_f32 v24, v32, v26, -v18
	v_fmac_f32_e32 v25, v33, v26
	v_add_f32_e32 v23, v23, v30
	v_add_f32_e32 v21, v29, v31
	;; [unrolled: 1-line block ×6, first 2 shown]
	s_barrier
	buffer_gl0_inv
	s_cbranch_vccz .LBB229_18
.LBB229_8:                              ; =>This Inner Loop Header: Depth=1
	s_mov_b32 s18, s7
	s_mov_b32 s16, 0
	s_and_saveexec_b32 s17, s0
	s_cbranch_execnz .LBB229_16
; %bb.9:                                ;   in Loop: Header=BB229_8 Depth=1
	s_or_b32 exec_lo, exec_lo, s17
	s_and_saveexec_b32 s17, s18
	s_xor_b32 s17, exec_lo, s17
	s_cbranch_execnz .LBB229_17
.LBB229_10:                             ;   in Loop: Header=BB229_8 Depth=1
	s_or_b32 exec_lo, exec_lo, s17
	s_and_saveexec_b32 s17, s16
	s_cbranch_execz .LBB229_12
.LBB229_11:                             ;   in Loop: Header=BB229_8 Depth=1
	v_lshlrev_b64 v[24:25], 3, v[4:5]
	v_add_co_u32 v24, vcc_lo, v9, v24
	v_add_co_ci_u32_e64 v25, null, v10, v25, vcc_lo
	global_load_dwordx2 v[24:25], v[24:25], off
	s_waitcnt vmcnt(0)
	ds_write_b64 v8, v[24:25]
.LBB229_12:                             ;   in Loop: Header=BB229_8 Depth=1
	s_or_b32 exec_lo, exec_lo, s17
	v_add_nc_u32_e32 v2, s2, v6
	v_cmp_le_u64_e32 vcc_lo, s[12:13], v[2:3]
	s_or_b32 s16, vcc_lo, s1
	s_and_saveexec_b32 s17, s16
	s_xor_b32 s16, exec_lo, s17
; %bb.13:                               ;   in Loop: Header=BB229_8 Depth=1
	v_mov_b32_e32 v2, v3
	ds_write_b64 v11, v[2:3]
; %bb.14:                               ;   in Loop: Header=BB229_8 Depth=1
	s_andn2_saveexec_b32 s16, s16
	s_cbranch_execz .LBB229_7
; %bb.15:                               ;   in Loop: Header=BB229_8 Depth=1
	v_mad_u64_u32 v[24:25], null, s24, v2, 0
	v_mad_u64_u32 v[25:26], null, s25, v2, v[25:26]
	v_lshlrev_b64 v[24:25], 3, v[24:25]
	v_add_co_u32 v24, vcc_lo, v12, v24
	v_add_co_ci_u32_e64 v25, null, v13, v25, vcc_lo
	global_load_dwordx2 v[24:25], v[24:25], off
	s_waitcnt vmcnt(0)
	ds_write_b64 v11, v[24:25]
	s_branch .LBB229_7
.LBB229_16:                             ;   in Loop: Header=BB229_8 Depth=1
	v_add_nc_u32_e32 v2, s2, v7
	v_mov_b32_e32 v5, v3
	s_andn2_b32 s18, s7, exec_lo
	s_mov_b32 s16, exec_lo
	v_cmp_le_u64_e32 vcc_lo, s[12:13], v[2:3]
	v_mov_b32_e32 v4, v2
	s_and_b32 s19, vcc_lo, exec_lo
	s_or_b32 s18, s18, s19
	s_or_b32 exec_lo, exec_lo, s17
	s_and_saveexec_b32 s17, s18
	s_xor_b32 s17, exec_lo, s17
	s_cbranch_execz .LBB229_10
.LBB229_17:                             ;   in Loop: Header=BB229_8 Depth=1
	v_mov_b32_e32 v2, v3
	s_andn2_b32 s16, s16, exec_lo
	ds_write_b64 v8, v[2:3]
	s_or_b32 exec_lo, exec_lo, s17
	s_and_saveexec_b32 s17, s16
	s_cbranch_execnz .LBB229_11
	s_branch .LBB229_12
.LBB229_18:
	v_add_nc_u32_e32 v9, s6, v1
	s_mul_i32 s1, s43, s8
	s_mul_hi_u32 s2, s42, s8
	s_mul_i32 s0, s42, s8
	s_add_i32 s1, s2, s1
	v_ashrrev_i32_e32 v3, 31, v9
	v_mul_lo_u32 v4, s41, v9
	v_mad_u64_u32 v[1:2], null, s40, v9, 0
	v_add_nc_u32_e32 v0, s5, v0
	v_mul_lo_u32 v3, s40, v3
	v_cmp_neq_f32_e64 s2, s10, 0
	s_lshl_b64 s[6:7], s[0:1], 3
	s_add_u32 s3, s38, s6
	s_addc_u32 s5, s39, s7
	s_xor_b32 s6, s9, -1
	v_cmp_le_i32_e32 vcc_lo, v9, v0
	v_add3_u32 v2, v2, v3, v4
	s_waitcnt lgkmcnt(0)
	v_cmp_gt_i32_e64 s0, s4, v0
	s_or_b32 s2, s2, s6
	v_cndmask_b32_e64 v8, 0, 1, s2
	v_lshlrev_b64 v[2:3], 3, v[1:2]
	v_ashrrev_i32_e32 v1, 31, v0
	s_and_b32 s6, vcc_lo, s0
	v_add_co_u32 v6, s1, s3, v2
	v_add_co_ci_u32_e64 v7, null, s5, v3, s1
	s_and_saveexec_b32 s1, s6
	s_cbranch_execz .LBB229_22
; %bb.19:
	v_lshlrev_b64 v[4:5], 3, v[0:1]
	v_mul_f32_e32 v2, s15, v23
	v_mul_f32_e32 v3, s14, v23
	v_fma_f32 v2, v22, s14, -v2
	v_add_co_u32 v4, vcc_lo, v6, v4
	v_fmac_f32_e32 v3, s15, v22
	v_add_co_ci_u32_e64 v5, null, v7, v5, vcc_lo
	s_andn2_b32 vcc_lo, exec_lo, s2
	s_cbranch_vccnz .LBB229_21
; %bb.20:
	global_load_dwordx2 v[10:11], v[4:5], off
	s_waitcnt vmcnt(0)
	v_mul_f32_e32 v12, s11, v11
	v_mul_f32_e32 v11, s10, v11
	v_fma_f32 v12, v10, s10, -v12
	v_fmac_f32_e32 v11, s11, v10
	v_add_f32_e32 v2, v2, v12
	v_add_f32_e32 v3, v3, v11
.LBB229_21:
	global_store_dwordx2 v[4:5], v[2:3], off
.LBB229_22:
	s_or_b32 exec_lo, exec_lo, s1
	v_add_nc_u32_e32 v2, 16, v0
	v_cmp_le_i32_e32 vcc_lo, v9, v2
	v_cmp_gt_i32_e64 s1, s4, v2
	v_ashrrev_i32_e32 v3, 31, v2
	s_and_b32 s2, vcc_lo, s1
	s_and_saveexec_b32 s4, s2
	s_cbranch_execz .LBB229_26
; %bb.23:
	v_lshlrev_b64 v[10:11], 3, v[2:3]
	v_mul_f32_e32 v4, s15, v21
	v_mul_f32_e32 v5, s14, v21
	v_cmp_ne_u32_e32 vcc_lo, 1, v8
	v_fma_f32 v4, v20, s14, -v4
	v_add_co_u32 v6, s2, v6, v10
	v_fmac_f32_e32 v5, s15, v20
	v_add_co_ci_u32_e64 v7, null, v7, v11, s2
	s_cbranch_vccnz .LBB229_25
; %bb.24:
	global_load_dwordx2 v[10:11], v[6:7], off
	s_waitcnt vmcnt(0)
	v_mul_f32_e32 v12, s11, v11
	v_mul_f32_e32 v11, s10, v11
	v_fma_f32 v12, v10, s10, -v12
	v_fmac_f32_e32 v11, s11, v10
	v_add_f32_e32 v4, v4, v12
	v_add_f32_e32 v5, v5, v11
.LBB229_25:
	global_store_dwordx2 v[6:7], v[4:5], off
.LBB229_26:
	s_or_b32 exec_lo, exec_lo, s4
	v_add_nc_u32_e32 v9, 16, v9
	v_ashrrev_i32_e32 v6, 31, v9
	v_mul_lo_u32 v7, s41, v9
	v_mad_u64_u32 v[4:5], null, s40, v9, 0
	v_cmp_le_i32_e32 vcc_lo, v9, v0
	v_mul_lo_u32 v6, s40, v6
	s_and_b32 s0, vcc_lo, s0
	v_add3_u32 v5, v5, v6, v7
	v_lshlrev_b64 v[4:5], 3, v[4:5]
	v_add_co_u32 v6, s2, s3, v4
	v_add_co_ci_u32_e64 v7, null, s5, v5, s2
	s_and_saveexec_b32 s2, s0
	s_cbranch_execz .LBB229_30
; %bb.27:
	v_lshlrev_b64 v[0:1], 3, v[0:1]
	v_mul_f32_e32 v4, s15, v19
	v_mul_f32_e32 v5, s14, v19
	v_cmp_ne_u32_e32 vcc_lo, 1, v8
	v_fma_f32 v4, v18, s14, -v4
	v_add_co_u32 v0, s0, v6, v0
	v_fmac_f32_e32 v5, s15, v18
	v_add_co_ci_u32_e64 v1, null, v7, v1, s0
	s_cbranch_vccnz .LBB229_29
; %bb.28:
	global_load_dwordx2 v[10:11], v[0:1], off
	s_waitcnt vmcnt(0)
	v_mul_f32_e32 v12, s11, v11
	v_mul_f32_e32 v11, s10, v11
	v_fma_f32 v12, v10, s10, -v12
	v_fmac_f32_e32 v11, s11, v10
	v_add_f32_e32 v4, v4, v12
	v_add_f32_e32 v5, v5, v11
.LBB229_29:
	global_store_dwordx2 v[0:1], v[4:5], off
.LBB229_30:
	s_or_b32 exec_lo, exec_lo, s2
	v_cmp_le_i32_e32 vcc_lo, v9, v2
	s_and_b32 s0, vcc_lo, s1
	s_and_saveexec_b32 s1, s0
	s_cbranch_execz .LBB229_34
; %bb.31:
	v_lshlrev_b64 v[2:3], 3, v[2:3]
	v_mul_f32_e32 v0, s15, v17
	v_mul_f32_e32 v1, s14, v17
	v_cmp_ne_u32_e32 vcc_lo, 1, v8
	v_fma_f32 v0, v16, s14, -v0
	v_add_co_u32 v2, s0, v6, v2
	v_fmac_f32_e32 v1, s15, v16
	v_add_co_ci_u32_e64 v3, null, v7, v3, s0
	s_cbranch_vccnz .LBB229_33
; %bb.32:
	global_load_dwordx2 v[4:5], v[2:3], off
	s_waitcnt vmcnt(0)
	v_mul_f32_e32 v6, s11, v5
	v_mul_f32_e32 v5, s10, v5
	v_fma_f32 v6, v4, s10, -v6
	v_fmac_f32_e32 v5, s11, v4
	v_add_f32_e32 v0, v0, v6
	v_add_f32_e32 v1, v1, v5
.LBB229_33:
	global_store_dwordx2 v[2:3], v[0:1], off
.LBB229_34:
	s_endpgm
	.section	.rodata,"a",@progbits
	.p2align	6, 0x0
	.amdhsa_kernel _ZL29rocblas_internal_gemmt_kernelIlLi16ELi32ELi8ELc84ELc84ELc76ELb0ELb0E19rocblas_complex_numIfEPKS1_S3_PS1_EviT_T9_T10_S5_lS7_S5_lS6_T11_S5_li
		.amdhsa_group_segment_fixed_size 4096
		.amdhsa_private_segment_fixed_size 0
		.amdhsa_kernarg_size 108
		.amdhsa_user_sgpr_count 6
		.amdhsa_user_sgpr_private_segment_buffer 1
		.amdhsa_user_sgpr_dispatch_ptr 0
		.amdhsa_user_sgpr_queue_ptr 0
		.amdhsa_user_sgpr_kernarg_segment_ptr 1
		.amdhsa_user_sgpr_dispatch_id 0
		.amdhsa_user_sgpr_flat_scratch_init 0
		.amdhsa_user_sgpr_private_segment_size 0
		.amdhsa_wavefront_size32 1
		.amdhsa_uses_dynamic_stack 0
		.amdhsa_system_sgpr_private_segment_wavefront_offset 0
		.amdhsa_system_sgpr_workgroup_id_x 1
		.amdhsa_system_sgpr_workgroup_id_y 1
		.amdhsa_system_sgpr_workgroup_id_z 1
		.amdhsa_system_sgpr_workgroup_info 0
		.amdhsa_system_vgpr_workitem_id 1
		.amdhsa_next_free_vgpr 61
		.amdhsa_next_free_sgpr 44
		.amdhsa_reserve_vcc 1
		.amdhsa_reserve_flat_scratch 0
		.amdhsa_float_round_mode_32 0
		.amdhsa_float_round_mode_16_64 0
		.amdhsa_float_denorm_mode_32 3
		.amdhsa_float_denorm_mode_16_64 3
		.amdhsa_dx10_clamp 1
		.amdhsa_ieee_mode 1
		.amdhsa_fp16_overflow 0
		.amdhsa_workgroup_processor_mode 1
		.amdhsa_memory_ordered 1
		.amdhsa_forward_progress 1
		.amdhsa_shared_vgpr_count 0
		.amdhsa_exception_fp_ieee_invalid_op 0
		.amdhsa_exception_fp_denorm_src 0
		.amdhsa_exception_fp_ieee_div_zero 0
		.amdhsa_exception_fp_ieee_overflow 0
		.amdhsa_exception_fp_ieee_underflow 0
		.amdhsa_exception_fp_ieee_inexact 0
		.amdhsa_exception_int_div_zero 0
	.end_amdhsa_kernel
	.section	.text._ZL29rocblas_internal_gemmt_kernelIlLi16ELi32ELi8ELc84ELc84ELc76ELb0ELb0E19rocblas_complex_numIfEPKS1_S3_PS1_EviT_T9_T10_S5_lS7_S5_lS6_T11_S5_li,"axG",@progbits,_ZL29rocblas_internal_gemmt_kernelIlLi16ELi32ELi8ELc84ELc84ELc76ELb0ELb0E19rocblas_complex_numIfEPKS1_S3_PS1_EviT_T9_T10_S5_lS7_S5_lS6_T11_S5_li,comdat
.Lfunc_end229:
	.size	_ZL29rocblas_internal_gemmt_kernelIlLi16ELi32ELi8ELc84ELc84ELc76ELb0ELb0E19rocblas_complex_numIfEPKS1_S3_PS1_EviT_T9_T10_S5_lS7_S5_lS6_T11_S5_li, .Lfunc_end229-_ZL29rocblas_internal_gemmt_kernelIlLi16ELi32ELi8ELc84ELc84ELc76ELb0ELb0E19rocblas_complex_numIfEPKS1_S3_PS1_EviT_T9_T10_S5_lS7_S5_lS6_T11_S5_li
                                        ; -- End function
	.set _ZL29rocblas_internal_gemmt_kernelIlLi16ELi32ELi8ELc84ELc84ELc76ELb0ELb0E19rocblas_complex_numIfEPKS1_S3_PS1_EviT_T9_T10_S5_lS7_S5_lS6_T11_S5_li.num_vgpr, 61
	.set _ZL29rocblas_internal_gemmt_kernelIlLi16ELi32ELi8ELc84ELc84ELc76ELb0ELb0E19rocblas_complex_numIfEPKS1_S3_PS1_EviT_T9_T10_S5_lS7_S5_lS6_T11_S5_li.num_agpr, 0
	.set _ZL29rocblas_internal_gemmt_kernelIlLi16ELi32ELi8ELc84ELc84ELc76ELb0ELb0E19rocblas_complex_numIfEPKS1_S3_PS1_EviT_T9_T10_S5_lS7_S5_lS6_T11_S5_li.numbered_sgpr, 44
	.set _ZL29rocblas_internal_gemmt_kernelIlLi16ELi32ELi8ELc84ELc84ELc76ELb0ELb0E19rocblas_complex_numIfEPKS1_S3_PS1_EviT_T9_T10_S5_lS7_S5_lS6_T11_S5_li.num_named_barrier, 0
	.set _ZL29rocblas_internal_gemmt_kernelIlLi16ELi32ELi8ELc84ELc84ELc76ELb0ELb0E19rocblas_complex_numIfEPKS1_S3_PS1_EviT_T9_T10_S5_lS7_S5_lS6_T11_S5_li.private_seg_size, 0
	.set _ZL29rocblas_internal_gemmt_kernelIlLi16ELi32ELi8ELc84ELc84ELc76ELb0ELb0E19rocblas_complex_numIfEPKS1_S3_PS1_EviT_T9_T10_S5_lS7_S5_lS6_T11_S5_li.uses_vcc, 1
	.set _ZL29rocblas_internal_gemmt_kernelIlLi16ELi32ELi8ELc84ELc84ELc76ELb0ELb0E19rocblas_complex_numIfEPKS1_S3_PS1_EviT_T9_T10_S5_lS7_S5_lS6_T11_S5_li.uses_flat_scratch, 0
	.set _ZL29rocblas_internal_gemmt_kernelIlLi16ELi32ELi8ELc84ELc84ELc76ELb0ELb0E19rocblas_complex_numIfEPKS1_S3_PS1_EviT_T9_T10_S5_lS7_S5_lS6_T11_S5_li.has_dyn_sized_stack, 0
	.set _ZL29rocblas_internal_gemmt_kernelIlLi16ELi32ELi8ELc84ELc84ELc76ELb0ELb0E19rocblas_complex_numIfEPKS1_S3_PS1_EviT_T9_T10_S5_lS7_S5_lS6_T11_S5_li.has_recursion, 0
	.set _ZL29rocblas_internal_gemmt_kernelIlLi16ELi32ELi8ELc84ELc84ELc76ELb0ELb0E19rocblas_complex_numIfEPKS1_S3_PS1_EviT_T9_T10_S5_lS7_S5_lS6_T11_S5_li.has_indirect_call, 0
	.section	.AMDGPU.csdata,"",@progbits
; Kernel info:
; codeLenInByte = 2600
; TotalNumSgprs: 46
; NumVgprs: 61
; ScratchSize: 0
; MemoryBound: 0
; FloatMode: 240
; IeeeMode: 1
; LDSByteSize: 4096 bytes/workgroup (compile time only)
; SGPRBlocks: 0
; VGPRBlocks: 7
; NumSGPRsForWavesPerEU: 46
; NumVGPRsForWavesPerEU: 61
; Occupancy: 16
; WaveLimiterHint : 0
; COMPUTE_PGM_RSRC2:SCRATCH_EN: 0
; COMPUTE_PGM_RSRC2:USER_SGPR: 6
; COMPUTE_PGM_RSRC2:TRAP_HANDLER: 0
; COMPUTE_PGM_RSRC2:TGID_X_EN: 1
; COMPUTE_PGM_RSRC2:TGID_Y_EN: 1
; COMPUTE_PGM_RSRC2:TGID_Z_EN: 1
; COMPUTE_PGM_RSRC2:TIDIG_COMP_CNT: 1
	.section	.text._ZL29rocblas_internal_gemmt_kernelIlLi16ELi32ELi8ELc84ELc67ELc76ELb0ELb1E19rocblas_complex_numIfEPKS1_S3_PS1_EviT_T9_T10_S5_lS7_S5_lS6_T11_S5_li,"axG",@progbits,_ZL29rocblas_internal_gemmt_kernelIlLi16ELi32ELi8ELc84ELc67ELc76ELb0ELb1E19rocblas_complex_numIfEPKS1_S3_PS1_EviT_T9_T10_S5_lS7_S5_lS6_T11_S5_li,comdat
	.globl	_ZL29rocblas_internal_gemmt_kernelIlLi16ELi32ELi8ELc84ELc67ELc76ELb0ELb1E19rocblas_complex_numIfEPKS1_S3_PS1_EviT_T9_T10_S5_lS7_S5_lS6_T11_S5_li ; -- Begin function _ZL29rocblas_internal_gemmt_kernelIlLi16ELi32ELi8ELc84ELc67ELc76ELb0ELb1E19rocblas_complex_numIfEPKS1_S3_PS1_EviT_T9_T10_S5_lS7_S5_lS6_T11_S5_li
	.p2align	8
	.type	_ZL29rocblas_internal_gemmt_kernelIlLi16ELi32ELi8ELc84ELc67ELc76ELb0ELb1E19rocblas_complex_numIfEPKS1_S3_PS1_EviT_T9_T10_S5_lS7_S5_lS6_T11_S5_li,@function
_ZL29rocblas_internal_gemmt_kernelIlLi16ELi32ELi8ELc84ELc67ELc76ELb0ELb1E19rocblas_complex_numIfEPKS1_S3_PS1_EviT_T9_T10_S5_lS7_S5_lS6_T11_S5_li: ; @_ZL29rocblas_internal_gemmt_kernelIlLi16ELi32ELi8ELc84ELc67ELc76ELb0ELb1E19rocblas_complex_numIfEPKS1_S3_PS1_EviT_T9_T10_S5_lS7_S5_lS6_T11_S5_li
; %bb.0:
	s_clause 0x1
	s_load_dwordx8 s[36:43], s[4:5], 0x48
	s_load_dwordx16 s[12:27], s[4:5], 0x8
	s_waitcnt lgkmcnt(0)
	s_load_dwordx2 s[10:11], s[36:37], 0x0
	s_load_dwordx2 s[14:15], s[14:15], 0x0
	s_waitcnt lgkmcnt(0)
	s_and_b32 s0, s11, 0x7fffffff
	v_cmp_eq_f32_e64 s1, s10, 1.0
	s_cmp_eq_u32 s0, 0
	s_mov_b32 s0, 0
	s_cselect_b32 s9, -1, 0
	s_and_b32 s1, s1, s9
	s_andn2_b32 vcc_lo, exec_lo, s1
	s_mov_b32 s1, -1
	s_cbranch_vccnz .LBB230_4
; %bb.1:
	s_cmp_lg_u64 s[12:13], 0
	s_cbranch_scc0 .LBB230_3
; %bb.2:
	v_cmp_neq_f32_e64 s0, s14, 0
	v_cmp_neq_f32_e64 s1, s15, 0
	s_or_b32 s0, s0, s1
.LBB230_3:
	s_mov_b32 s1, s0
.LBB230_4:
	s_and_b32 vcc_lo, exec_lo, s1
	s_cbranch_vccz .LBB230_34
; %bb.5:
	s_load_dword s4, s[4:5], 0x0
	v_cmp_eq_f32_e64 s0, s14, 0
	v_cmp_eq_f32_e64 s1, s15, 0
	v_cmp_lt_i64_e64 s2, s[12:13], 1
	v_mov_b32_e32 v22, 0
	v_mov_b32_e32 v23, 0
	v_mov_b32_e32 v20, 0
	s_and_b32 s0, s0, s1
	v_mov_b32_e32 v21, 0
	v_mov_b32_e32 v18, 0
	;; [unrolled: 1-line block ×5, first 2 shown]
	s_or_b32 s0, s0, s2
	s_lshl_b32 s5, s6, 5
	s_and_b32 vcc_lo, exec_lo, s0
	s_lshl_b32 s6, s7, 5
	s_cbranch_vccnz .LBB230_18
; %bb.6:
	v_lshl_add_u32 v4, v1, 4, v0
	s_mul_i32 s1, s27, s8
	s_mul_hi_u32 s2, s26, s8
	s_mul_i32 s0, s26, s8
	s_add_i32 s1, s2, s1
	v_and_b32_e32 v5, 31, v4
	s_lshl_b64 s[0:1], s[0:1], 3
	s_mul_i32 s2, s21, s8
	s_mul_hi_u32 s3, s20, s8
	s_add_u32 s21, s22, s0
	v_or_b32_e32 v8, s5, v5
	s_addc_u32 s22, s23, s1
	s_add_i32 s1, s3, s2
	s_mul_i32 s0, s20, s8
	v_lshrrev_b32_e32 v10, 3, v4
	v_mul_lo_u32 v9, s19, v8
	v_mad_u64_u32 v[2:3], null, s18, v8, 0
	s_lshl_b64 s[0:1], s[0:1], 3
	v_lshrrev_b32_e32 v7, 5, v4
	s_add_u32 s2, s16, s0
	s_addc_u32 s1, s17, s1
	s_ashr_i32 s0, s5, 31
	v_add_nc_u32_e32 v4, s6, v10
	s_mul_i32 s0, s18, s0
	v_and_b32_e32 v6, 7, v0
	v_add3_u32 v3, v3, s0, v9
	v_lshlrev_b32_e32 v9, 3, v5
	v_ashrrev_i32_e32 v5, 31, v4
	s_waitcnt lgkmcnt(0)
	v_cmp_gt_i32_e64 s0, s4, v8
	v_lshlrev_b32_e32 v11, 3, v6
	v_lshlrev_b64 v[2:3], 3, v[2:3]
	v_cmp_le_i32_e64 s7, s4, v8
	v_lshlrev_b64 v[12:13], 3, v[4:5]
	v_lshl_or_b32 v8, v7, 8, v9
	v_lshl_or_b32 v11, v10, 6, v11
	v_lshlrev_b32_e32 v14, 3, v0
	v_add_co_u32 v9, vcc_lo, s2, v2
	v_add_co_ci_u32_e64 v10, null, s1, v3, vcc_lo
	v_cmp_gt_i32_e32 vcc_lo, s4, v4
	v_add_co_u32 v12, s1, s21, v12
	v_add_nc_u32_e32 v11, 0x800, v11
	v_add_co_ci_u32_e64 v13, null, s22, v13, s1
	v_lshl_add_u32 v15, v1, 6, 0x800
	v_mov_b32_e32 v3, 0
	v_mov_b32_e32 v17, 0
	;; [unrolled: 1-line block ×9, first 2 shown]
	s_mov_b64 s[2:3], 0
	s_xor_b32 s1, vcc_lo, -1
                                        ; implicit-def: $vgpr4_vgpr5
	s_branch .LBB230_8
.LBB230_7:                              ;   in Loop: Header=BB230_8 Depth=1
	s_or_b32 exec_lo, exec_lo, s16
	ds_write_b32 v11, v24 offset:4
	s_waitcnt lgkmcnt(0)
	s_barrier
	buffer_gl0_inv
	ds_read_b128 v[24:27], v15
	ds_read2_b64 v[28:31], v14 offset1:16
	ds_read_b128 v[32:35], v15 offset:1024
	ds_read_b128 v[36:39], v15 offset:16
	;; [unrolled: 1-line block ×4, first 2 shown]
	ds_read2_b64 v[48:51], v14 offset0:32 offset1:48
	ds_read_b128 v[52:55], v15 offset:1040
	s_add_u32 s2, s2, 8
	s_addc_u32 s3, s3, 0
	v_cmp_gt_i64_e64 s16, s[12:13], s[2:3]
	s_and_b32 vcc_lo, exec_lo, s16
	s_waitcnt lgkmcnt(6)
	v_mul_f32_e32 v2, v25, v29
	v_mul_f32_e32 v56, v24, v29
	v_mul_f32_e32 v57, v25, v31
	v_mul_f32_e32 v58, v24, v31
	s_waitcnt lgkmcnt(5)
	v_mul_f32_e32 v59, v33, v29
	v_mul_f32_e32 v29, v32, v29
	;; [unrolled: 1-line block ×3, first 2 shown]
	v_fma_f32 v2, v24, v28, -v2
	v_fmac_f32_e32 v56, v25, v28
	v_fma_f32 v24, v24, v30, -v57
	v_fmac_f32_e32 v58, v25, v30
	;; [unrolled: 2-line block ×3, first 2 shown]
	v_mul_f32_e32 v31, v32, v31
	v_fma_f32 v28, v32, v30, -v60
	v_add_f32_e32 v2, v22, v2
	v_add_f32_e32 v22, v23, v56
	;; [unrolled: 1-line block ×6, first 2 shown]
	s_waitcnt lgkmcnt(1)
	v_mul_f32_e32 v32, v27, v49
	ds_read2_b64 v[18:21], v14 offset0:64 offset1:80
	v_fmac_f32_e32 v31, v33, v30
	v_add_f32_e32 v16, v16, v28
	v_mul_f32_e32 v28, v26, v49
	v_fma_f32 v30, v26, v48, -v32
	v_mul_f32_e32 v32, v27, v51
	v_add_f32_e32 v17, v17, v31
	v_mul_f32_e32 v31, v26, v51
	v_fmac_f32_e32 v28, v27, v48
	v_add_f32_e32 v2, v2, v30
	v_fma_f32 v26, v26, v50, -v32
	v_mul_f32_e32 v30, v35, v49
	v_fmac_f32_e32 v31, v27, v50
	v_add_f32_e32 v28, v22, v28
	v_mul_f32_e32 v22, v34, v49
	v_add_f32_e32 v26, v23, v26
	v_fma_f32 v23, v34, v48, -v30
	v_mul_f32_e32 v27, v35, v51
	v_add_f32_e32 v30, v24, v31
	v_fmac_f32_e32 v22, v35, v48
	v_mul_f32_e32 v31, v34, v51
	v_add_f32_e32 v32, v25, v23
	v_fma_f32 v23, v34, v50, -v27
	s_waitcnt lgkmcnt(0)
	v_mul_f32_e32 v24, v37, v19
	v_add_f32_e32 v27, v29, v22
	v_fmac_f32_e32 v31, v35, v50
	v_mul_f32_e32 v29, v36, v19
	v_add_f32_e32 v16, v16, v23
	v_fma_f32 v33, v36, v18, -v24
	v_mul_f32_e32 v34, v37, v21
	ds_read2_b64 v[22:25], v14 offset0:96 offset1:112
	v_fmac_f32_e32 v29, v37, v18
	v_add_f32_e32 v31, v17, v31
	v_add_f32_e32 v2, v2, v33
	v_mul_f32_e32 v17, v36, v21
	v_fma_f32 v33, v36, v20, -v34
	v_add_f32_e32 v28, v28, v29
	v_mul_f32_e32 v29, v53, v19
	v_mul_f32_e32 v19, v52, v19
	v_fmac_f32_e32 v17, v37, v20
	v_add_f32_e32 v26, v26, v33
	v_mul_f32_e32 v33, v53, v21
	v_mul_f32_e32 v21, v52, v21
	v_fmac_f32_e32 v19, v53, v18
	v_add_f32_e32 v30, v30, v17
	v_fma_f32 v29, v52, v18, -v29
	v_fma_f32 v17, v52, v20, -v33
	v_fmac_f32_e32 v21, v53, v20
	v_add_f32_e32 v33, v27, v19
	s_waitcnt lgkmcnt(0)
	v_mul_f32_e32 v20, v39, v23
	v_add_f32_e32 v34, v16, v17
	ds_read2_b64 v[16:19], v14 offset0:128 offset1:144
	v_add_f32_e32 v32, v32, v29
	v_mul_f32_e32 v27, v38, v23
	v_mul_f32_e32 v29, v39, v25
	v_fma_f32 v20, v38, v22, -v20
	v_add_f32_e32 v31, v31, v21
	v_mul_f32_e32 v21, v38, v25
	v_fmac_f32_e32 v27, v39, v22
	v_fma_f32 v29, v38, v24, -v29
	v_add_f32_e32 v2, v2, v20
	v_mul_f32_e32 v20, v55, v23
	v_fmac_f32_e32 v21, v39, v24
	v_add_f32_e32 v35, v28, v27
	v_add_f32_e32 v36, v26, v29
	v_mul_f32_e32 v23, v54, v23
	v_fma_f32 v20, v54, v22, -v20
	v_mul_f32_e32 v37, v55, v25
	ds_read_b128 v[26:29], v15 offset:1056
	v_add_f32_e32 v38, v30, v21
	v_fmac_f32_e32 v23, v55, v22
	v_mul_f32_e32 v25, v54, v25
	v_fma_f32 v21, v54, v24, -v37
	v_add_f32_e32 v37, v32, v20
	s_waitcnt lgkmcnt(1)
	v_mul_f32_e32 v20, v41, v17
	v_add_f32_e32 v39, v33, v23
	v_fmac_f32_e32 v25, v55, v24
	v_add_f32_e32 v24, v34, v21
	v_mul_f32_e32 v32, v41, v19
	v_fma_f32 v30, v40, v16, -v20
	ds_read2_b64 v[20:23], v14 offset0:160 offset1:176
	v_mul_f32_e32 v34, v40, v17
	v_add_f32_e32 v25, v31, v25
	v_fma_f32 v48, v40, v18, -v32
	v_mul_f32_e32 v40, v40, v19
	v_add_f32_e32 v2, v2, v30
	v_fmac_f32_e32 v34, v41, v16
	ds_read_b128 v[30:33], v15 offset:1072
	s_waitcnt lgkmcnt(2)
	v_mul_f32_e32 v49, v27, v17
	v_mul_f32_e32 v17, v26, v17
	v_fmac_f32_e32 v40, v41, v18
	v_mul_f32_e32 v41, v27, v19
	v_add_f32_e32 v34, v35, v34
	v_add_f32_e32 v35, v36, v48
	v_fma_f32 v36, v26, v16, -v49
	v_fmac_f32_e32 v17, v27, v16
	v_add_f32_e32 v38, v38, v40
	v_mul_f32_e32 v40, v26, v19
	v_fma_f32 v16, v26, v18, -v41
	v_add_f32_e32 v36, v37, v36
	v_add_f32_e32 v26, v39, v17
	s_waitcnt lgkmcnt(1)
	v_mul_f32_e32 v37, v43, v21
	v_fmac_f32_e32 v40, v27, v18
	v_add_f32_e32 v24, v24, v16
	ds_read2_b64 v[16:19], v14 offset0:192 offset1:208
	v_mul_f32_e32 v27, v42, v21
	v_fma_f32 v37, v42, v20, -v37
	v_mul_f32_e32 v39, v43, v23
	v_add_f32_e32 v40, v25, v40
	v_mul_f32_e32 v25, v42, v23
	v_fmac_f32_e32 v27, v43, v20
	v_add_f32_e32 v2, v2, v37
	v_fma_f32 v37, v42, v22, -v39
	v_fmac_f32_e32 v25, v43, v22
	v_add_f32_e32 v34, v34, v27
	v_mul_f32_e32 v27, v29, v21
	v_mul_f32_e32 v21, v28, v21
	v_add_f32_e32 v35, v35, v37
	v_mul_f32_e32 v37, v29, v23
	v_add_f32_e32 v38, v38, v25
	v_fma_f32 v27, v28, v20, -v27
	v_fmac_f32_e32 v21, v29, v20
	v_mul_f32_e32 v20, v28, v23
	v_fma_f32 v23, v28, v22, -v37
	s_waitcnt lgkmcnt(0)
	v_mul_f32_e32 v25, v45, v17
	v_add_f32_e32 v28, v36, v27
	v_add_f32_e32 v21, v26, v21
	v_fmac_f32_e32 v20, v29, v22
	v_add_f32_e32 v22, v24, v23
	v_fma_f32 v29, v44, v16, -v25
	ds_read2_b64 v[24:27], v14 offset0:224 offset1:240
	v_mul_f32_e32 v23, v44, v17
	v_mul_f32_e32 v37, v31, v17
	v_mul_f32_e32 v17, v30, v17
	v_mul_f32_e32 v36, v45, v19
	v_add_f32_e32 v2, v2, v29
	v_fmac_f32_e32 v23, v45, v16
	v_mul_f32_e32 v29, v44, v19
	v_fmac_f32_e32 v17, v31, v16
	v_fma_f32 v36, v44, v18, -v36
	v_add_f32_e32 v20, v40, v20
	v_add_f32_e32 v23, v34, v23
	v_fma_f32 v34, v30, v16, -v37
	v_mul_f32_e32 v16, v31, v19
	v_mul_f32_e32 v19, v30, v19
	v_fmac_f32_e32 v29, v45, v18
	v_add_f32_e32 v17, v21, v17
	v_add_f32_e32 v35, v35, v36
	v_fma_f32 v16, v30, v18, -v16
	v_fmac_f32_e32 v19, v31, v18
	s_waitcnt lgkmcnt(0)
	v_mul_f32_e32 v21, v47, v25
	v_mul_f32_e32 v18, v47, v27
	v_add_f32_e32 v28, v28, v34
	v_mul_f32_e32 v30, v46, v25
	v_add_f32_e32 v16, v22, v16
	v_fma_f32 v21, v46, v24, -v21
	v_fma_f32 v18, v46, v26, -v18
	v_mul_f32_e32 v31, v46, v27
	v_add_f32_e32 v34, v20, v19
	v_mul_f32_e32 v19, v32, v25
	v_add_f32_e32 v22, v2, v21
	v_add_f32_e32 v20, v35, v18
	v_mul_f32_e32 v2, v33, v25
	v_mul_f32_e32 v18, v33, v27
	;; [unrolled: 1-line block ×3, first 2 shown]
	v_add_f32_e32 v29, v38, v29
	v_fmac_f32_e32 v30, v47, v24
	v_fmac_f32_e32 v31, v47, v26
	v_fma_f32 v2, v32, v24, -v2
	v_fmac_f32_e32 v19, v33, v24
	v_fma_f32 v24, v32, v26, -v18
	v_fmac_f32_e32 v25, v33, v26
	v_add_f32_e32 v23, v23, v30
	v_add_f32_e32 v21, v29, v31
	;; [unrolled: 1-line block ×6, first 2 shown]
	s_barrier
	buffer_gl0_inv
	s_cbranch_vccz .LBB230_18
.LBB230_8:                              ; =>This Inner Loop Header: Depth=1
	s_mov_b32 s18, s7
	s_mov_b32 s16, 0
	s_and_saveexec_b32 s17, s0
	s_cbranch_execnz .LBB230_16
; %bb.9:                                ;   in Loop: Header=BB230_8 Depth=1
	s_or_b32 exec_lo, exec_lo, s17
	s_and_saveexec_b32 s17, s18
	s_xor_b32 s17, exec_lo, s17
	s_cbranch_execnz .LBB230_17
.LBB230_10:                             ;   in Loop: Header=BB230_8 Depth=1
	s_or_b32 exec_lo, exec_lo, s17
	s_and_saveexec_b32 s17, s16
	s_cbranch_execz .LBB230_12
.LBB230_11:                             ;   in Loop: Header=BB230_8 Depth=1
	v_lshlrev_b64 v[24:25], 3, v[4:5]
	v_add_co_u32 v24, vcc_lo, v9, v24
	v_add_co_ci_u32_e64 v25, null, v10, v25, vcc_lo
	global_load_dwordx2 v[24:25], v[24:25], off
	s_waitcnt vmcnt(0)
	ds_write_b64 v8, v[24:25]
.LBB230_12:                             ;   in Loop: Header=BB230_8 Depth=1
	s_or_b32 exec_lo, exec_lo, s17
	v_add_nc_u32_e32 v2, s2, v6
	v_cmp_le_u64_e32 vcc_lo, s[12:13], v[2:3]
	s_or_b32 s16, vcc_lo, s1
	s_and_saveexec_b32 s17, s16
	s_xor_b32 s16, exec_lo, s17
; %bb.13:                               ;   in Loop: Header=BB230_8 Depth=1
	ds_write_b32 v11, v3
; %bb.14:                               ;   in Loop: Header=BB230_8 Depth=1
	s_or_saveexec_b32 s16, s16
	v_mov_b32_e32 v24, 0
	s_xor_b32 exec_lo, exec_lo, s16
	s_cbranch_execz .LBB230_7
; %bb.15:                               ;   in Loop: Header=BB230_8 Depth=1
	v_mad_u64_u32 v[24:25], null, s24, v2, 0
	v_mad_u64_u32 v[25:26], null, s25, v2, v[25:26]
	v_lshlrev_b64 v[24:25], 3, v[24:25]
	v_add_co_u32 v24, vcc_lo, v12, v24
	v_add_co_ci_u32_e64 v25, null, v13, v25, vcc_lo
	global_load_dwordx2 v[25:26], v[24:25], off
	s_waitcnt vmcnt(0)
	v_xor_b32_e32 v24, 0x80000000, v26
	ds_write_b32 v11, v25
	s_branch .LBB230_7
.LBB230_16:                             ;   in Loop: Header=BB230_8 Depth=1
	v_add_nc_u32_e32 v2, s2, v7
	v_mov_b32_e32 v5, v3
	s_andn2_b32 s18, s7, exec_lo
	s_mov_b32 s16, exec_lo
	v_cmp_le_u64_e32 vcc_lo, s[12:13], v[2:3]
	v_mov_b32_e32 v4, v2
	s_and_b32 s19, vcc_lo, exec_lo
	s_or_b32 s18, s18, s19
	s_or_b32 exec_lo, exec_lo, s17
	s_and_saveexec_b32 s17, s18
	s_xor_b32 s17, exec_lo, s17
	s_cbranch_execz .LBB230_10
.LBB230_17:                             ;   in Loop: Header=BB230_8 Depth=1
	v_mov_b32_e32 v2, v3
	s_andn2_b32 s16, s16, exec_lo
	ds_write_b64 v8, v[2:3]
	s_or_b32 exec_lo, exec_lo, s17
	s_and_saveexec_b32 s17, s16
	s_cbranch_execnz .LBB230_11
	s_branch .LBB230_12
.LBB230_18:
	v_add_nc_u32_e32 v9, s6, v1
	s_mul_i32 s1, s43, s8
	s_mul_hi_u32 s2, s42, s8
	s_mul_i32 s0, s42, s8
	s_add_i32 s1, s2, s1
	v_ashrrev_i32_e32 v3, 31, v9
	v_mul_lo_u32 v4, s41, v9
	v_mad_u64_u32 v[1:2], null, s40, v9, 0
	v_add_nc_u32_e32 v0, s5, v0
	v_mul_lo_u32 v3, s40, v3
	v_cmp_neq_f32_e64 s2, s10, 0
	s_lshl_b64 s[6:7], s[0:1], 3
	s_add_u32 s3, s38, s6
	s_addc_u32 s5, s39, s7
	s_xor_b32 s6, s9, -1
	v_cmp_le_i32_e32 vcc_lo, v9, v0
	v_add3_u32 v2, v2, v3, v4
	s_waitcnt lgkmcnt(0)
	v_cmp_gt_i32_e64 s0, s4, v0
	s_or_b32 s2, s2, s6
	v_cndmask_b32_e64 v8, 0, 1, s2
	v_lshlrev_b64 v[2:3], 3, v[1:2]
	v_ashrrev_i32_e32 v1, 31, v0
	s_and_b32 s6, vcc_lo, s0
	v_add_co_u32 v6, s1, s3, v2
	v_add_co_ci_u32_e64 v7, null, s5, v3, s1
	s_and_saveexec_b32 s1, s6
	s_cbranch_execz .LBB230_22
; %bb.19:
	v_lshlrev_b64 v[4:5], 3, v[0:1]
	v_mul_f32_e32 v2, s15, v23
	v_mul_f32_e32 v3, s14, v23
	v_fma_f32 v2, v22, s14, -v2
	v_add_co_u32 v4, vcc_lo, v6, v4
	v_fmac_f32_e32 v3, s15, v22
	v_add_co_ci_u32_e64 v5, null, v7, v5, vcc_lo
	s_andn2_b32 vcc_lo, exec_lo, s2
	s_cbranch_vccnz .LBB230_21
; %bb.20:
	global_load_dwordx2 v[10:11], v[4:5], off
	s_waitcnt vmcnt(0)
	v_mul_f32_e32 v12, s11, v11
	v_mul_f32_e32 v11, s10, v11
	v_fma_f32 v12, v10, s10, -v12
	v_fmac_f32_e32 v11, s11, v10
	v_add_f32_e32 v2, v2, v12
	v_add_f32_e32 v3, v3, v11
.LBB230_21:
	global_store_dwordx2 v[4:5], v[2:3], off
.LBB230_22:
	s_or_b32 exec_lo, exec_lo, s1
	v_add_nc_u32_e32 v2, 16, v0
	v_cmp_le_i32_e32 vcc_lo, v9, v2
	v_cmp_gt_i32_e64 s1, s4, v2
	v_ashrrev_i32_e32 v3, 31, v2
	s_and_b32 s2, vcc_lo, s1
	s_and_saveexec_b32 s4, s2
	s_cbranch_execz .LBB230_26
; %bb.23:
	v_lshlrev_b64 v[10:11], 3, v[2:3]
	v_mul_f32_e32 v4, s15, v21
	v_mul_f32_e32 v5, s14, v21
	v_cmp_ne_u32_e32 vcc_lo, 1, v8
	v_fma_f32 v4, v20, s14, -v4
	v_add_co_u32 v6, s2, v6, v10
	v_fmac_f32_e32 v5, s15, v20
	v_add_co_ci_u32_e64 v7, null, v7, v11, s2
	s_cbranch_vccnz .LBB230_25
; %bb.24:
	global_load_dwordx2 v[10:11], v[6:7], off
	s_waitcnt vmcnt(0)
	v_mul_f32_e32 v12, s11, v11
	v_mul_f32_e32 v11, s10, v11
	v_fma_f32 v12, v10, s10, -v12
	v_fmac_f32_e32 v11, s11, v10
	v_add_f32_e32 v4, v4, v12
	v_add_f32_e32 v5, v5, v11
.LBB230_25:
	global_store_dwordx2 v[6:7], v[4:5], off
.LBB230_26:
	s_or_b32 exec_lo, exec_lo, s4
	v_add_nc_u32_e32 v9, 16, v9
	v_ashrrev_i32_e32 v6, 31, v9
	v_mul_lo_u32 v7, s41, v9
	v_mad_u64_u32 v[4:5], null, s40, v9, 0
	v_cmp_le_i32_e32 vcc_lo, v9, v0
	v_mul_lo_u32 v6, s40, v6
	s_and_b32 s0, vcc_lo, s0
	v_add3_u32 v5, v5, v6, v7
	v_lshlrev_b64 v[4:5], 3, v[4:5]
	v_add_co_u32 v6, s2, s3, v4
	v_add_co_ci_u32_e64 v7, null, s5, v5, s2
	s_and_saveexec_b32 s2, s0
	s_cbranch_execz .LBB230_30
; %bb.27:
	v_lshlrev_b64 v[0:1], 3, v[0:1]
	v_mul_f32_e32 v4, s15, v19
	v_mul_f32_e32 v5, s14, v19
	v_cmp_ne_u32_e32 vcc_lo, 1, v8
	v_fma_f32 v4, v18, s14, -v4
	v_add_co_u32 v0, s0, v6, v0
	v_fmac_f32_e32 v5, s15, v18
	v_add_co_ci_u32_e64 v1, null, v7, v1, s0
	s_cbranch_vccnz .LBB230_29
; %bb.28:
	global_load_dwordx2 v[10:11], v[0:1], off
	s_waitcnt vmcnt(0)
	v_mul_f32_e32 v12, s11, v11
	v_mul_f32_e32 v11, s10, v11
	v_fma_f32 v12, v10, s10, -v12
	v_fmac_f32_e32 v11, s11, v10
	v_add_f32_e32 v4, v4, v12
	v_add_f32_e32 v5, v5, v11
.LBB230_29:
	global_store_dwordx2 v[0:1], v[4:5], off
.LBB230_30:
	s_or_b32 exec_lo, exec_lo, s2
	v_cmp_le_i32_e32 vcc_lo, v9, v2
	s_and_b32 s0, vcc_lo, s1
	s_and_saveexec_b32 s1, s0
	s_cbranch_execz .LBB230_34
; %bb.31:
	v_lshlrev_b64 v[2:3], 3, v[2:3]
	v_mul_f32_e32 v0, s15, v17
	v_mul_f32_e32 v1, s14, v17
	v_cmp_ne_u32_e32 vcc_lo, 1, v8
	v_fma_f32 v0, v16, s14, -v0
	v_add_co_u32 v2, s0, v6, v2
	v_fmac_f32_e32 v1, s15, v16
	v_add_co_ci_u32_e64 v3, null, v7, v3, s0
	s_cbranch_vccnz .LBB230_33
; %bb.32:
	global_load_dwordx2 v[4:5], v[2:3], off
	s_waitcnt vmcnt(0)
	v_mul_f32_e32 v6, s11, v5
	v_mul_f32_e32 v5, s10, v5
	v_fma_f32 v6, v4, s10, -v6
	v_fmac_f32_e32 v5, s11, v4
	v_add_f32_e32 v0, v0, v6
	v_add_f32_e32 v1, v1, v5
.LBB230_33:
	global_store_dwordx2 v[2:3], v[0:1], off
.LBB230_34:
	s_endpgm
	.section	.rodata,"a",@progbits
	.p2align	6, 0x0
	.amdhsa_kernel _ZL29rocblas_internal_gemmt_kernelIlLi16ELi32ELi8ELc84ELc67ELc76ELb0ELb1E19rocblas_complex_numIfEPKS1_S3_PS1_EviT_T9_T10_S5_lS7_S5_lS6_T11_S5_li
		.amdhsa_group_segment_fixed_size 4096
		.amdhsa_private_segment_fixed_size 0
		.amdhsa_kernarg_size 108
		.amdhsa_user_sgpr_count 6
		.amdhsa_user_sgpr_private_segment_buffer 1
		.amdhsa_user_sgpr_dispatch_ptr 0
		.amdhsa_user_sgpr_queue_ptr 0
		.amdhsa_user_sgpr_kernarg_segment_ptr 1
		.amdhsa_user_sgpr_dispatch_id 0
		.amdhsa_user_sgpr_flat_scratch_init 0
		.amdhsa_user_sgpr_private_segment_size 0
		.amdhsa_wavefront_size32 1
		.amdhsa_uses_dynamic_stack 0
		.amdhsa_system_sgpr_private_segment_wavefront_offset 0
		.amdhsa_system_sgpr_workgroup_id_x 1
		.amdhsa_system_sgpr_workgroup_id_y 1
		.amdhsa_system_sgpr_workgroup_id_z 1
		.amdhsa_system_sgpr_workgroup_info 0
		.amdhsa_system_vgpr_workitem_id 1
		.amdhsa_next_free_vgpr 61
		.amdhsa_next_free_sgpr 44
		.amdhsa_reserve_vcc 1
		.amdhsa_reserve_flat_scratch 0
		.amdhsa_float_round_mode_32 0
		.amdhsa_float_round_mode_16_64 0
		.amdhsa_float_denorm_mode_32 3
		.amdhsa_float_denorm_mode_16_64 3
		.amdhsa_dx10_clamp 1
		.amdhsa_ieee_mode 1
		.amdhsa_fp16_overflow 0
		.amdhsa_workgroup_processor_mode 1
		.amdhsa_memory_ordered 1
		.amdhsa_forward_progress 1
		.amdhsa_shared_vgpr_count 0
		.amdhsa_exception_fp_ieee_invalid_op 0
		.amdhsa_exception_fp_denorm_src 0
		.amdhsa_exception_fp_ieee_div_zero 0
		.amdhsa_exception_fp_ieee_overflow 0
		.amdhsa_exception_fp_ieee_underflow 0
		.amdhsa_exception_fp_ieee_inexact 0
		.amdhsa_exception_int_div_zero 0
	.end_amdhsa_kernel
	.section	.text._ZL29rocblas_internal_gemmt_kernelIlLi16ELi32ELi8ELc84ELc67ELc76ELb0ELb1E19rocblas_complex_numIfEPKS1_S3_PS1_EviT_T9_T10_S5_lS7_S5_lS6_T11_S5_li,"axG",@progbits,_ZL29rocblas_internal_gemmt_kernelIlLi16ELi32ELi8ELc84ELc67ELc76ELb0ELb1E19rocblas_complex_numIfEPKS1_S3_PS1_EviT_T9_T10_S5_lS7_S5_lS6_T11_S5_li,comdat
.Lfunc_end230:
	.size	_ZL29rocblas_internal_gemmt_kernelIlLi16ELi32ELi8ELc84ELc67ELc76ELb0ELb1E19rocblas_complex_numIfEPKS1_S3_PS1_EviT_T9_T10_S5_lS7_S5_lS6_T11_S5_li, .Lfunc_end230-_ZL29rocblas_internal_gemmt_kernelIlLi16ELi32ELi8ELc84ELc67ELc76ELb0ELb1E19rocblas_complex_numIfEPKS1_S3_PS1_EviT_T9_T10_S5_lS7_S5_lS6_T11_S5_li
                                        ; -- End function
	.set _ZL29rocblas_internal_gemmt_kernelIlLi16ELi32ELi8ELc84ELc67ELc76ELb0ELb1E19rocblas_complex_numIfEPKS1_S3_PS1_EviT_T9_T10_S5_lS7_S5_lS6_T11_S5_li.num_vgpr, 61
	.set _ZL29rocblas_internal_gemmt_kernelIlLi16ELi32ELi8ELc84ELc67ELc76ELb0ELb1E19rocblas_complex_numIfEPKS1_S3_PS1_EviT_T9_T10_S5_lS7_S5_lS6_T11_S5_li.num_agpr, 0
	.set _ZL29rocblas_internal_gemmt_kernelIlLi16ELi32ELi8ELc84ELc67ELc76ELb0ELb1E19rocblas_complex_numIfEPKS1_S3_PS1_EviT_T9_T10_S5_lS7_S5_lS6_T11_S5_li.numbered_sgpr, 44
	.set _ZL29rocblas_internal_gemmt_kernelIlLi16ELi32ELi8ELc84ELc67ELc76ELb0ELb1E19rocblas_complex_numIfEPKS1_S3_PS1_EviT_T9_T10_S5_lS7_S5_lS6_T11_S5_li.num_named_barrier, 0
	.set _ZL29rocblas_internal_gemmt_kernelIlLi16ELi32ELi8ELc84ELc67ELc76ELb0ELb1E19rocblas_complex_numIfEPKS1_S3_PS1_EviT_T9_T10_S5_lS7_S5_lS6_T11_S5_li.private_seg_size, 0
	.set _ZL29rocblas_internal_gemmt_kernelIlLi16ELi32ELi8ELc84ELc67ELc76ELb0ELb1E19rocblas_complex_numIfEPKS1_S3_PS1_EviT_T9_T10_S5_lS7_S5_lS6_T11_S5_li.uses_vcc, 1
	.set _ZL29rocblas_internal_gemmt_kernelIlLi16ELi32ELi8ELc84ELc67ELc76ELb0ELb1E19rocblas_complex_numIfEPKS1_S3_PS1_EviT_T9_T10_S5_lS7_S5_lS6_T11_S5_li.uses_flat_scratch, 0
	.set _ZL29rocblas_internal_gemmt_kernelIlLi16ELi32ELi8ELc84ELc67ELc76ELb0ELb1E19rocblas_complex_numIfEPKS1_S3_PS1_EviT_T9_T10_S5_lS7_S5_lS6_T11_S5_li.has_dyn_sized_stack, 0
	.set _ZL29rocblas_internal_gemmt_kernelIlLi16ELi32ELi8ELc84ELc67ELc76ELb0ELb1E19rocblas_complex_numIfEPKS1_S3_PS1_EviT_T9_T10_S5_lS7_S5_lS6_T11_S5_li.has_recursion, 0
	.set _ZL29rocblas_internal_gemmt_kernelIlLi16ELi32ELi8ELc84ELc67ELc76ELb0ELb1E19rocblas_complex_numIfEPKS1_S3_PS1_EviT_T9_T10_S5_lS7_S5_lS6_T11_S5_li.has_indirect_call, 0
	.section	.AMDGPU.csdata,"",@progbits
; Kernel info:
; codeLenInByte = 2620
; TotalNumSgprs: 46
; NumVgprs: 61
; ScratchSize: 0
; MemoryBound: 0
; FloatMode: 240
; IeeeMode: 1
; LDSByteSize: 4096 bytes/workgroup (compile time only)
; SGPRBlocks: 0
; VGPRBlocks: 7
; NumSGPRsForWavesPerEU: 46
; NumVGPRsForWavesPerEU: 61
; Occupancy: 16
; WaveLimiterHint : 0
; COMPUTE_PGM_RSRC2:SCRATCH_EN: 0
; COMPUTE_PGM_RSRC2:USER_SGPR: 6
; COMPUTE_PGM_RSRC2:TRAP_HANDLER: 0
; COMPUTE_PGM_RSRC2:TGID_X_EN: 1
; COMPUTE_PGM_RSRC2:TGID_Y_EN: 1
; COMPUTE_PGM_RSRC2:TGID_Z_EN: 1
; COMPUTE_PGM_RSRC2:TIDIG_COMP_CNT: 1
	.section	.text._ZL29rocblas_internal_gemmt_kernelIlLi16ELi32ELi8ELc67ELc78ELc76ELb1ELb0E19rocblas_complex_numIfEPKS1_S3_PS1_EviT_T9_T10_S5_lS7_S5_lS6_T11_S5_li,"axG",@progbits,_ZL29rocblas_internal_gemmt_kernelIlLi16ELi32ELi8ELc67ELc78ELc76ELb1ELb0E19rocblas_complex_numIfEPKS1_S3_PS1_EviT_T9_T10_S5_lS7_S5_lS6_T11_S5_li,comdat
	.globl	_ZL29rocblas_internal_gemmt_kernelIlLi16ELi32ELi8ELc67ELc78ELc76ELb1ELb0E19rocblas_complex_numIfEPKS1_S3_PS1_EviT_T9_T10_S5_lS7_S5_lS6_T11_S5_li ; -- Begin function _ZL29rocblas_internal_gemmt_kernelIlLi16ELi32ELi8ELc67ELc78ELc76ELb1ELb0E19rocblas_complex_numIfEPKS1_S3_PS1_EviT_T9_T10_S5_lS7_S5_lS6_T11_S5_li
	.p2align	8
	.type	_ZL29rocblas_internal_gemmt_kernelIlLi16ELi32ELi8ELc67ELc78ELc76ELb1ELb0E19rocblas_complex_numIfEPKS1_S3_PS1_EviT_T9_T10_S5_lS7_S5_lS6_T11_S5_li,@function
_ZL29rocblas_internal_gemmt_kernelIlLi16ELi32ELi8ELc67ELc78ELc76ELb1ELb0E19rocblas_complex_numIfEPKS1_S3_PS1_EviT_T9_T10_S5_lS7_S5_lS6_T11_S5_li: ; @_ZL29rocblas_internal_gemmt_kernelIlLi16ELi32ELi8ELc67ELc78ELc76ELb1ELb0E19rocblas_complex_numIfEPKS1_S3_PS1_EviT_T9_T10_S5_lS7_S5_lS6_T11_S5_li
; %bb.0:
	s_clause 0x1
	s_load_dwordx8 s[36:43], s[4:5], 0x48
	s_load_dwordx16 s[12:27], s[4:5], 0x8
	s_waitcnt lgkmcnt(0)
	s_load_dwordx2 s[10:11], s[36:37], 0x0
	s_load_dwordx2 s[14:15], s[14:15], 0x0
	s_waitcnt lgkmcnt(0)
	s_and_b32 s0, s11, 0x7fffffff
	v_cmp_eq_f32_e64 s1, s10, 1.0
	s_cmp_eq_u32 s0, 0
	s_mov_b32 s0, 0
	s_cselect_b32 s9, -1, 0
	s_and_b32 s1, s1, s9
	s_andn2_b32 vcc_lo, exec_lo, s1
	s_mov_b32 s1, -1
	s_cbranch_vccnz .LBB231_4
; %bb.1:
	s_cmp_lg_u64 s[12:13], 0
	s_cbranch_scc0 .LBB231_3
; %bb.2:
	v_cmp_neq_f32_e64 s0, s14, 0
	v_cmp_neq_f32_e64 s1, s15, 0
	s_or_b32 s0, s0, s1
.LBB231_3:
	s_mov_b32 s1, s0
.LBB231_4:
	s_and_b32 vcc_lo, exec_lo, s1
	s_cbranch_vccz .LBB231_34
; %bb.5:
	s_load_dword s4, s[4:5], 0x0
	v_cmp_eq_f32_e64 s0, s14, 0
	v_cmp_eq_f32_e64 s1, s15, 0
	v_cmp_lt_i64_e64 s2, s[12:13], 1
	v_mov_b32_e32 v22, 0
	v_mov_b32_e32 v23, 0
	;; [unrolled: 1-line block ×3, first 2 shown]
	s_and_b32 s0, s0, s1
	v_mov_b32_e32 v21, 0
	v_mov_b32_e32 v18, 0
	;; [unrolled: 1-line block ×5, first 2 shown]
	s_or_b32 s0, s0, s2
	s_lshl_b32 s5, s6, 5
	s_and_b32 vcc_lo, exec_lo, s0
	s_lshl_b32 s6, s7, 5
	s_cbranch_vccnz .LBB231_18
; %bb.6:
	v_lshl_add_u32 v7, v1, 4, v0
	s_mul_i32 s1, s27, s8
	s_mul_hi_u32 s2, s26, s8
	s_mul_i32 s0, s26, s8
	s_add_i32 s1, s2, s1
	v_lshrrev_b32_e32 v9, 3, v7
	v_and_b32_e32 v8, 31, v7
	s_lshl_b64 s[0:1], s[0:1], 3
	s_mul_hi_u32 s3, s20, s8
	s_add_u32 s2, s22, s0
	v_add_nc_u32_e32 v11, s6, v9
	v_or_b32_e32 v10, s5, v8
	s_mul_i32 s0, s21, s8
	s_addc_u32 s21, s23, s1
	s_add_i32 s1, s3, s0
	v_ashrrev_i32_e32 v4, 31, v11
	s_mul_i32 s0, s20, s8
	v_mul_lo_u32 v12, s19, v10
	v_mad_u64_u32 v[2:3], null, s18, v10, 0
	s_lshl_b64 s[0:1], s[0:1], 3
	v_mul_lo_u32 v13, s24, v4
	v_mul_lo_u32 v14, s25, v11
	v_mad_u64_u32 v[4:5], null, s24, v11, 0
	s_add_u32 s3, s16, s0
	s_addc_u32 s1, s17, s1
	s_ashr_i32 s0, s5, 31
	v_and_b32_e32 v6, 7, v0
	s_mul_i32 s0, s18, s0
	v_lshrrev_b32_e32 v7, 5, v7
	v_add3_u32 v3, v3, s0, v12
	v_add3_u32 v5, v5, v13, v14
	v_lshlrev_b32_e32 v12, 3, v6
	v_lshlrev_b32_e32 v8, 3, v8
	s_waitcnt lgkmcnt(0)
	v_cmp_gt_i32_e64 s0, s4, v10
	v_lshlrev_b64 v[2:3], 3, v[2:3]
	v_lshlrev_b64 v[4:5], 3, v[4:5]
	v_lshl_or_b32 v12, v9, 6, v12
	v_cmp_le_i32_e64 s7, s4, v10
	v_lshl_or_b32 v8, v7, 8, v8
	v_lshlrev_b32_e32 v14, 3, v0
	v_add_co_u32 v9, vcc_lo, s3, v2
	v_add_co_ci_u32_e64 v10, null, s1, v3, vcc_lo
	v_cmp_gt_i32_e32 vcc_lo, s4, v11
	v_add_nc_u32_e32 v11, 0x800, v12
	v_add_co_u32 v12, s1, s2, v4
	v_add_co_ci_u32_e64 v13, null, s21, v5, s1
	v_lshl_add_u32 v15, v1, 6, 0x800
	v_mov_b32_e32 v3, 0
	v_mov_b32_e32 v17, 0
	;; [unrolled: 1-line block ×9, first 2 shown]
	s_mov_b64 s[2:3], 0
	s_xor_b32 s1, vcc_lo, -1
                                        ; implicit-def: $vgpr4_vgpr5
	s_branch .LBB231_8
.LBB231_7:                              ;   in Loop: Header=BB231_8 Depth=1
	s_or_b32 exec_lo, exec_lo, s16
	s_waitcnt lgkmcnt(0)
	s_barrier
	buffer_gl0_inv
	ds_read_b128 v[24:27], v15
	ds_read2_b64 v[28:31], v14 offset1:16
	ds_read_b128 v[32:35], v15 offset:1024
	ds_read_b128 v[36:39], v15 offset:16
	ds_read_b128 v[40:43], v15 offset:32
	ds_read_b128 v[44:47], v15 offset:48
	ds_read2_b64 v[48:51], v14 offset0:32 offset1:48
	ds_read_b128 v[52:55], v15 offset:1040
	s_add_u32 s2, s2, 8
	s_addc_u32 s3, s3, 0
	v_cmp_gt_i64_e64 s16, s[12:13], s[2:3]
	s_and_b32 vcc_lo, exec_lo, s16
	s_waitcnt lgkmcnt(6)
	v_mul_f32_e32 v2, v25, v29
	v_mul_f32_e32 v56, v24, v29
	;; [unrolled: 1-line block ×4, first 2 shown]
	s_waitcnt lgkmcnt(5)
	v_mul_f32_e32 v59, v33, v29
	v_mul_f32_e32 v29, v32, v29
	;; [unrolled: 1-line block ×3, first 2 shown]
	v_fma_f32 v2, v24, v28, -v2
	v_fmac_f32_e32 v56, v25, v28
	v_fma_f32 v24, v24, v30, -v57
	v_fmac_f32_e32 v58, v25, v30
	;; [unrolled: 2-line block ×3, first 2 shown]
	v_mul_f32_e32 v31, v32, v31
	v_fma_f32 v28, v32, v30, -v60
	v_add_f32_e32 v2, v22, v2
	v_add_f32_e32 v22, v23, v56
	;; [unrolled: 1-line block ×6, first 2 shown]
	s_waitcnt lgkmcnt(1)
	v_mul_f32_e32 v32, v27, v49
	ds_read2_b64 v[18:21], v14 offset0:64 offset1:80
	v_fmac_f32_e32 v31, v33, v30
	v_add_f32_e32 v16, v16, v28
	v_mul_f32_e32 v28, v26, v49
	v_fma_f32 v30, v26, v48, -v32
	v_mul_f32_e32 v32, v27, v51
	v_add_f32_e32 v17, v17, v31
	v_mul_f32_e32 v31, v26, v51
	v_fmac_f32_e32 v28, v27, v48
	v_add_f32_e32 v2, v2, v30
	v_fma_f32 v26, v26, v50, -v32
	v_mul_f32_e32 v30, v35, v49
	v_fmac_f32_e32 v31, v27, v50
	v_add_f32_e32 v28, v22, v28
	v_mul_f32_e32 v22, v34, v49
	v_add_f32_e32 v26, v23, v26
	v_fma_f32 v23, v34, v48, -v30
	v_mul_f32_e32 v27, v35, v51
	v_add_f32_e32 v30, v24, v31
	v_fmac_f32_e32 v22, v35, v48
	v_mul_f32_e32 v31, v34, v51
	v_add_f32_e32 v32, v25, v23
	v_fma_f32 v23, v34, v50, -v27
	s_waitcnt lgkmcnt(0)
	v_mul_f32_e32 v24, v37, v19
	v_add_f32_e32 v27, v29, v22
	v_fmac_f32_e32 v31, v35, v50
	v_mul_f32_e32 v29, v36, v19
	v_add_f32_e32 v16, v16, v23
	v_fma_f32 v33, v36, v18, -v24
	v_mul_f32_e32 v34, v37, v21
	ds_read2_b64 v[22:25], v14 offset0:96 offset1:112
	v_fmac_f32_e32 v29, v37, v18
	v_add_f32_e32 v31, v17, v31
	v_add_f32_e32 v2, v2, v33
	v_mul_f32_e32 v17, v36, v21
	v_fma_f32 v33, v36, v20, -v34
	v_add_f32_e32 v28, v28, v29
	v_mul_f32_e32 v29, v53, v19
	v_mul_f32_e32 v19, v52, v19
	v_fmac_f32_e32 v17, v37, v20
	v_add_f32_e32 v26, v26, v33
	v_mul_f32_e32 v33, v53, v21
	v_mul_f32_e32 v21, v52, v21
	v_fmac_f32_e32 v19, v53, v18
	v_add_f32_e32 v30, v30, v17
	v_fma_f32 v29, v52, v18, -v29
	v_fma_f32 v17, v52, v20, -v33
	v_fmac_f32_e32 v21, v53, v20
	v_add_f32_e32 v33, v27, v19
	s_waitcnt lgkmcnt(0)
	v_mul_f32_e32 v20, v39, v23
	v_add_f32_e32 v34, v16, v17
	ds_read2_b64 v[16:19], v14 offset0:128 offset1:144
	v_add_f32_e32 v32, v32, v29
	v_mul_f32_e32 v27, v38, v23
	v_mul_f32_e32 v29, v39, v25
	v_fma_f32 v20, v38, v22, -v20
	v_add_f32_e32 v31, v31, v21
	v_mul_f32_e32 v21, v38, v25
	v_fmac_f32_e32 v27, v39, v22
	v_fma_f32 v29, v38, v24, -v29
	v_add_f32_e32 v2, v2, v20
	v_mul_f32_e32 v20, v55, v23
	v_fmac_f32_e32 v21, v39, v24
	v_add_f32_e32 v35, v28, v27
	v_add_f32_e32 v36, v26, v29
	v_mul_f32_e32 v23, v54, v23
	v_fma_f32 v20, v54, v22, -v20
	v_mul_f32_e32 v37, v55, v25
	ds_read_b128 v[26:29], v15 offset:1056
	v_add_f32_e32 v38, v30, v21
	v_fmac_f32_e32 v23, v55, v22
	v_mul_f32_e32 v25, v54, v25
	v_fma_f32 v21, v54, v24, -v37
	v_add_f32_e32 v37, v32, v20
	s_waitcnt lgkmcnt(1)
	v_mul_f32_e32 v20, v41, v17
	v_add_f32_e32 v39, v33, v23
	v_fmac_f32_e32 v25, v55, v24
	v_add_f32_e32 v24, v34, v21
	v_mul_f32_e32 v32, v41, v19
	v_fma_f32 v30, v40, v16, -v20
	ds_read2_b64 v[20:23], v14 offset0:160 offset1:176
	v_mul_f32_e32 v34, v40, v17
	v_add_f32_e32 v25, v31, v25
	v_fma_f32 v48, v40, v18, -v32
	v_mul_f32_e32 v40, v40, v19
	v_add_f32_e32 v2, v2, v30
	v_fmac_f32_e32 v34, v41, v16
	ds_read_b128 v[30:33], v15 offset:1072
	s_waitcnt lgkmcnt(2)
	v_mul_f32_e32 v49, v27, v17
	v_mul_f32_e32 v17, v26, v17
	v_fmac_f32_e32 v40, v41, v18
	v_mul_f32_e32 v41, v27, v19
	v_add_f32_e32 v34, v35, v34
	v_add_f32_e32 v35, v36, v48
	v_fma_f32 v36, v26, v16, -v49
	v_fmac_f32_e32 v17, v27, v16
	v_add_f32_e32 v38, v38, v40
	v_mul_f32_e32 v40, v26, v19
	v_fma_f32 v16, v26, v18, -v41
	v_add_f32_e32 v36, v37, v36
	v_add_f32_e32 v26, v39, v17
	s_waitcnt lgkmcnt(1)
	v_mul_f32_e32 v37, v43, v21
	v_fmac_f32_e32 v40, v27, v18
	v_add_f32_e32 v24, v24, v16
	ds_read2_b64 v[16:19], v14 offset0:192 offset1:208
	v_mul_f32_e32 v27, v42, v21
	v_fma_f32 v37, v42, v20, -v37
	v_mul_f32_e32 v39, v43, v23
	v_add_f32_e32 v40, v25, v40
	v_mul_f32_e32 v25, v42, v23
	v_fmac_f32_e32 v27, v43, v20
	v_add_f32_e32 v2, v2, v37
	v_fma_f32 v37, v42, v22, -v39
	v_fmac_f32_e32 v25, v43, v22
	v_add_f32_e32 v34, v34, v27
	v_mul_f32_e32 v27, v29, v21
	v_mul_f32_e32 v21, v28, v21
	v_add_f32_e32 v35, v35, v37
	v_mul_f32_e32 v37, v29, v23
	v_add_f32_e32 v38, v38, v25
	v_fma_f32 v27, v28, v20, -v27
	v_fmac_f32_e32 v21, v29, v20
	v_mul_f32_e32 v20, v28, v23
	v_fma_f32 v23, v28, v22, -v37
	s_waitcnt lgkmcnt(0)
	v_mul_f32_e32 v25, v45, v17
	v_add_f32_e32 v28, v36, v27
	v_add_f32_e32 v21, v26, v21
	v_fmac_f32_e32 v20, v29, v22
	v_add_f32_e32 v22, v24, v23
	v_fma_f32 v29, v44, v16, -v25
	ds_read2_b64 v[24:27], v14 offset0:224 offset1:240
	v_mul_f32_e32 v23, v44, v17
	v_mul_f32_e32 v37, v31, v17
	v_mul_f32_e32 v17, v30, v17
	v_mul_f32_e32 v36, v45, v19
	v_add_f32_e32 v2, v2, v29
	v_fmac_f32_e32 v23, v45, v16
	v_mul_f32_e32 v29, v44, v19
	v_fmac_f32_e32 v17, v31, v16
	v_fma_f32 v36, v44, v18, -v36
	v_add_f32_e32 v20, v40, v20
	v_add_f32_e32 v23, v34, v23
	v_fma_f32 v34, v30, v16, -v37
	v_mul_f32_e32 v16, v31, v19
	v_mul_f32_e32 v19, v30, v19
	v_fmac_f32_e32 v29, v45, v18
	v_add_f32_e32 v17, v21, v17
	v_add_f32_e32 v35, v35, v36
	v_fma_f32 v16, v30, v18, -v16
	v_fmac_f32_e32 v19, v31, v18
	s_waitcnt lgkmcnt(0)
	v_mul_f32_e32 v21, v47, v25
	v_mul_f32_e32 v18, v47, v27
	v_add_f32_e32 v28, v28, v34
	v_mul_f32_e32 v30, v46, v25
	v_add_f32_e32 v16, v22, v16
	v_fma_f32 v21, v46, v24, -v21
	v_fma_f32 v18, v46, v26, -v18
	v_mul_f32_e32 v31, v46, v27
	v_add_f32_e32 v34, v20, v19
	v_mul_f32_e32 v19, v32, v25
	v_add_f32_e32 v22, v2, v21
	v_add_f32_e32 v20, v35, v18
	v_mul_f32_e32 v2, v33, v25
	v_mul_f32_e32 v18, v33, v27
	;; [unrolled: 1-line block ×3, first 2 shown]
	v_add_f32_e32 v29, v38, v29
	v_fmac_f32_e32 v30, v47, v24
	v_fmac_f32_e32 v31, v47, v26
	v_fma_f32 v2, v32, v24, -v2
	v_fmac_f32_e32 v19, v33, v24
	v_fma_f32 v24, v32, v26, -v18
	v_fmac_f32_e32 v25, v33, v26
	v_add_f32_e32 v23, v23, v30
	v_add_f32_e32 v21, v29, v31
	;; [unrolled: 1-line block ×6, first 2 shown]
	s_barrier
	buffer_gl0_inv
	s_cbranch_vccz .LBB231_18
.LBB231_8:                              ; =>This Inner Loop Header: Depth=1
	s_mov_b32 s18, s7
	s_mov_b32 s16, 0
	s_and_saveexec_b32 s17, s0
	s_cbranch_execnz .LBB231_16
; %bb.9:                                ;   in Loop: Header=BB231_8 Depth=1
	s_or_b32 exec_lo, exec_lo, s17
	s_and_saveexec_b32 s17, s18
	s_xor_b32 s17, exec_lo, s17
	s_cbranch_execnz .LBB231_17
.LBB231_10:                             ;   in Loop: Header=BB231_8 Depth=1
	s_or_b32 exec_lo, exec_lo, s17
	v_mov_b32_e32 v24, 0
	s_and_saveexec_b32 s17, s16
	s_cbranch_execz .LBB231_12
.LBB231_11:                             ;   in Loop: Header=BB231_8 Depth=1
	v_lshlrev_b64 v[24:25], 3, v[4:5]
	v_add_co_u32 v24, vcc_lo, v9, v24
	v_add_co_ci_u32_e64 v25, null, v10, v25, vcc_lo
	global_load_dwordx2 v[25:26], v[24:25], off
	s_waitcnt vmcnt(0)
	v_xor_b32_e32 v24, 0x80000000, v26
	ds_write_b32 v8, v25
.LBB231_12:                             ;   in Loop: Header=BB231_8 Depth=1
	s_or_b32 exec_lo, exec_lo, s17
	v_add_nc_u32_e32 v2, s2, v6
	ds_write_b32 v8, v24 offset:4
	v_cmp_le_u64_e32 vcc_lo, s[12:13], v[2:3]
	s_or_b32 s16, vcc_lo, s1
	s_and_saveexec_b32 s17, s16
	s_xor_b32 s16, exec_lo, s17
; %bb.13:                               ;   in Loop: Header=BB231_8 Depth=1
	v_mov_b32_e32 v2, v3
	ds_write_b64 v11, v[2:3]
; %bb.14:                               ;   in Loop: Header=BB231_8 Depth=1
	s_andn2_saveexec_b32 s16, s16
	s_cbranch_execz .LBB231_7
; %bb.15:                               ;   in Loop: Header=BB231_8 Depth=1
	v_lshlrev_b64 v[24:25], 3, v[2:3]
	v_add_co_u32 v24, vcc_lo, v12, v24
	v_add_co_ci_u32_e64 v25, null, v13, v25, vcc_lo
	global_load_dwordx2 v[24:25], v[24:25], off
	s_waitcnt vmcnt(0)
	ds_write_b64 v11, v[24:25]
	s_branch .LBB231_7
.LBB231_16:                             ;   in Loop: Header=BB231_8 Depth=1
	v_add_nc_u32_e32 v2, s2, v7
	v_mov_b32_e32 v5, v3
	s_andn2_b32 s18, s7, exec_lo
	s_mov_b32 s16, exec_lo
	v_cmp_le_u64_e32 vcc_lo, s[12:13], v[2:3]
	v_mov_b32_e32 v4, v2
	s_and_b32 s19, vcc_lo, exec_lo
	s_or_b32 s18, s18, s19
	s_or_b32 exec_lo, exec_lo, s17
	s_and_saveexec_b32 s17, s18
	s_xor_b32 s17, exec_lo, s17
	s_cbranch_execz .LBB231_10
.LBB231_17:                             ;   in Loop: Header=BB231_8 Depth=1
	s_andn2_b32 s16, s16, exec_lo
	ds_write_b32 v8, v3
	s_or_b32 exec_lo, exec_lo, s17
	v_mov_b32_e32 v24, 0
	s_and_saveexec_b32 s17, s16
	s_cbranch_execnz .LBB231_11
	s_branch .LBB231_12
.LBB231_18:
	v_add_nc_u32_e32 v9, s6, v1
	s_mul_i32 s1, s43, s8
	s_mul_hi_u32 s2, s42, s8
	s_mul_i32 s0, s42, s8
	s_add_i32 s1, s2, s1
	v_ashrrev_i32_e32 v3, 31, v9
	v_mul_lo_u32 v4, s41, v9
	v_mad_u64_u32 v[1:2], null, s40, v9, 0
	v_add_nc_u32_e32 v0, s5, v0
	v_mul_lo_u32 v3, s40, v3
	v_cmp_neq_f32_e64 s2, s10, 0
	s_lshl_b64 s[6:7], s[0:1], 3
	s_add_u32 s3, s38, s6
	s_addc_u32 s5, s39, s7
	s_xor_b32 s6, s9, -1
	v_cmp_le_i32_e32 vcc_lo, v9, v0
	v_add3_u32 v2, v2, v3, v4
	s_waitcnt lgkmcnt(0)
	v_cmp_gt_i32_e64 s0, s4, v0
	s_or_b32 s2, s2, s6
	v_cndmask_b32_e64 v8, 0, 1, s2
	v_lshlrev_b64 v[2:3], 3, v[1:2]
	v_ashrrev_i32_e32 v1, 31, v0
	s_and_b32 s6, vcc_lo, s0
	v_add_co_u32 v6, s1, s3, v2
	v_add_co_ci_u32_e64 v7, null, s5, v3, s1
	s_and_saveexec_b32 s1, s6
	s_cbranch_execz .LBB231_22
; %bb.19:
	v_lshlrev_b64 v[4:5], 3, v[0:1]
	v_mul_f32_e32 v2, s15, v23
	v_mul_f32_e32 v3, s14, v23
	v_fma_f32 v2, v22, s14, -v2
	v_add_co_u32 v4, vcc_lo, v6, v4
	v_fmac_f32_e32 v3, s15, v22
	v_add_co_ci_u32_e64 v5, null, v7, v5, vcc_lo
	s_andn2_b32 vcc_lo, exec_lo, s2
	s_cbranch_vccnz .LBB231_21
; %bb.20:
	global_load_dwordx2 v[10:11], v[4:5], off
	s_waitcnt vmcnt(0)
	v_mul_f32_e32 v12, s11, v11
	v_mul_f32_e32 v11, s10, v11
	v_fma_f32 v12, v10, s10, -v12
	v_fmac_f32_e32 v11, s11, v10
	v_add_f32_e32 v2, v2, v12
	v_add_f32_e32 v3, v3, v11
.LBB231_21:
	global_store_dwordx2 v[4:5], v[2:3], off
.LBB231_22:
	s_or_b32 exec_lo, exec_lo, s1
	v_add_nc_u32_e32 v2, 16, v0
	v_cmp_le_i32_e32 vcc_lo, v9, v2
	v_cmp_gt_i32_e64 s1, s4, v2
	v_ashrrev_i32_e32 v3, 31, v2
	s_and_b32 s2, vcc_lo, s1
	s_and_saveexec_b32 s4, s2
	s_cbranch_execz .LBB231_26
; %bb.23:
	v_lshlrev_b64 v[10:11], 3, v[2:3]
	v_mul_f32_e32 v4, s15, v21
	v_mul_f32_e32 v5, s14, v21
	v_cmp_ne_u32_e32 vcc_lo, 1, v8
	v_fma_f32 v4, v20, s14, -v4
	v_add_co_u32 v6, s2, v6, v10
	v_fmac_f32_e32 v5, s15, v20
	v_add_co_ci_u32_e64 v7, null, v7, v11, s2
	s_cbranch_vccnz .LBB231_25
; %bb.24:
	global_load_dwordx2 v[10:11], v[6:7], off
	s_waitcnt vmcnt(0)
	v_mul_f32_e32 v12, s11, v11
	v_mul_f32_e32 v11, s10, v11
	v_fma_f32 v12, v10, s10, -v12
	v_fmac_f32_e32 v11, s11, v10
	v_add_f32_e32 v4, v4, v12
	v_add_f32_e32 v5, v5, v11
.LBB231_25:
	global_store_dwordx2 v[6:7], v[4:5], off
.LBB231_26:
	s_or_b32 exec_lo, exec_lo, s4
	v_add_nc_u32_e32 v9, 16, v9
	v_ashrrev_i32_e32 v6, 31, v9
	v_mul_lo_u32 v7, s41, v9
	v_mad_u64_u32 v[4:5], null, s40, v9, 0
	v_cmp_le_i32_e32 vcc_lo, v9, v0
	v_mul_lo_u32 v6, s40, v6
	s_and_b32 s0, vcc_lo, s0
	v_add3_u32 v5, v5, v6, v7
	v_lshlrev_b64 v[4:5], 3, v[4:5]
	v_add_co_u32 v6, s2, s3, v4
	v_add_co_ci_u32_e64 v7, null, s5, v5, s2
	s_and_saveexec_b32 s2, s0
	s_cbranch_execz .LBB231_30
; %bb.27:
	v_lshlrev_b64 v[0:1], 3, v[0:1]
	v_mul_f32_e32 v4, s15, v19
	v_mul_f32_e32 v5, s14, v19
	v_cmp_ne_u32_e32 vcc_lo, 1, v8
	v_fma_f32 v4, v18, s14, -v4
	v_add_co_u32 v0, s0, v6, v0
	v_fmac_f32_e32 v5, s15, v18
	v_add_co_ci_u32_e64 v1, null, v7, v1, s0
	s_cbranch_vccnz .LBB231_29
; %bb.28:
	global_load_dwordx2 v[10:11], v[0:1], off
	s_waitcnt vmcnt(0)
	v_mul_f32_e32 v12, s11, v11
	v_mul_f32_e32 v11, s10, v11
	v_fma_f32 v12, v10, s10, -v12
	v_fmac_f32_e32 v11, s11, v10
	v_add_f32_e32 v4, v4, v12
	v_add_f32_e32 v5, v5, v11
.LBB231_29:
	global_store_dwordx2 v[0:1], v[4:5], off
.LBB231_30:
	s_or_b32 exec_lo, exec_lo, s2
	v_cmp_le_i32_e32 vcc_lo, v9, v2
	s_and_b32 s0, vcc_lo, s1
	s_and_saveexec_b32 s1, s0
	s_cbranch_execz .LBB231_34
; %bb.31:
	v_lshlrev_b64 v[2:3], 3, v[2:3]
	v_mul_f32_e32 v0, s15, v17
	v_mul_f32_e32 v1, s14, v17
	v_cmp_ne_u32_e32 vcc_lo, 1, v8
	v_fma_f32 v0, v16, s14, -v0
	v_add_co_u32 v2, s0, v6, v2
	v_fmac_f32_e32 v1, s15, v16
	v_add_co_ci_u32_e64 v3, null, v7, v3, s0
	s_cbranch_vccnz .LBB231_33
; %bb.32:
	global_load_dwordx2 v[4:5], v[2:3], off
	s_waitcnt vmcnt(0)
	v_mul_f32_e32 v6, s11, v5
	v_mul_f32_e32 v5, s10, v5
	v_fma_f32 v6, v4, s10, -v6
	v_fmac_f32_e32 v5, s11, v4
	v_add_f32_e32 v0, v0, v6
	v_add_f32_e32 v1, v1, v5
.LBB231_33:
	global_store_dwordx2 v[2:3], v[0:1], off
.LBB231_34:
	s_endpgm
	.section	.rodata,"a",@progbits
	.p2align	6, 0x0
	.amdhsa_kernel _ZL29rocblas_internal_gemmt_kernelIlLi16ELi32ELi8ELc67ELc78ELc76ELb1ELb0E19rocblas_complex_numIfEPKS1_S3_PS1_EviT_T9_T10_S5_lS7_S5_lS6_T11_S5_li
		.amdhsa_group_segment_fixed_size 4096
		.amdhsa_private_segment_fixed_size 0
		.amdhsa_kernarg_size 108
		.amdhsa_user_sgpr_count 6
		.amdhsa_user_sgpr_private_segment_buffer 1
		.amdhsa_user_sgpr_dispatch_ptr 0
		.amdhsa_user_sgpr_queue_ptr 0
		.amdhsa_user_sgpr_kernarg_segment_ptr 1
		.amdhsa_user_sgpr_dispatch_id 0
		.amdhsa_user_sgpr_flat_scratch_init 0
		.amdhsa_user_sgpr_private_segment_size 0
		.amdhsa_wavefront_size32 1
		.amdhsa_uses_dynamic_stack 0
		.amdhsa_system_sgpr_private_segment_wavefront_offset 0
		.amdhsa_system_sgpr_workgroup_id_x 1
		.amdhsa_system_sgpr_workgroup_id_y 1
		.amdhsa_system_sgpr_workgroup_id_z 1
		.amdhsa_system_sgpr_workgroup_info 0
		.amdhsa_system_vgpr_workitem_id 1
		.amdhsa_next_free_vgpr 61
		.amdhsa_next_free_sgpr 44
		.amdhsa_reserve_vcc 1
		.amdhsa_reserve_flat_scratch 0
		.amdhsa_float_round_mode_32 0
		.amdhsa_float_round_mode_16_64 0
		.amdhsa_float_denorm_mode_32 3
		.amdhsa_float_denorm_mode_16_64 3
		.amdhsa_dx10_clamp 1
		.amdhsa_ieee_mode 1
		.amdhsa_fp16_overflow 0
		.amdhsa_workgroup_processor_mode 1
		.amdhsa_memory_ordered 1
		.amdhsa_forward_progress 1
		.amdhsa_shared_vgpr_count 0
		.amdhsa_exception_fp_ieee_invalid_op 0
		.amdhsa_exception_fp_denorm_src 0
		.amdhsa_exception_fp_ieee_div_zero 0
		.amdhsa_exception_fp_ieee_overflow 0
		.amdhsa_exception_fp_ieee_underflow 0
		.amdhsa_exception_fp_ieee_inexact 0
		.amdhsa_exception_int_div_zero 0
	.end_amdhsa_kernel
	.section	.text._ZL29rocblas_internal_gemmt_kernelIlLi16ELi32ELi8ELc67ELc78ELc76ELb1ELb0E19rocblas_complex_numIfEPKS1_S3_PS1_EviT_T9_T10_S5_lS7_S5_lS6_T11_S5_li,"axG",@progbits,_ZL29rocblas_internal_gemmt_kernelIlLi16ELi32ELi8ELc67ELc78ELc76ELb1ELb0E19rocblas_complex_numIfEPKS1_S3_PS1_EviT_T9_T10_S5_lS7_S5_lS6_T11_S5_li,comdat
.Lfunc_end231:
	.size	_ZL29rocblas_internal_gemmt_kernelIlLi16ELi32ELi8ELc67ELc78ELc76ELb1ELb0E19rocblas_complex_numIfEPKS1_S3_PS1_EviT_T9_T10_S5_lS7_S5_lS6_T11_S5_li, .Lfunc_end231-_ZL29rocblas_internal_gemmt_kernelIlLi16ELi32ELi8ELc67ELc78ELc76ELb1ELb0E19rocblas_complex_numIfEPKS1_S3_PS1_EviT_T9_T10_S5_lS7_S5_lS6_T11_S5_li
                                        ; -- End function
	.set _ZL29rocblas_internal_gemmt_kernelIlLi16ELi32ELi8ELc67ELc78ELc76ELb1ELb0E19rocblas_complex_numIfEPKS1_S3_PS1_EviT_T9_T10_S5_lS7_S5_lS6_T11_S5_li.num_vgpr, 61
	.set _ZL29rocblas_internal_gemmt_kernelIlLi16ELi32ELi8ELc67ELc78ELc76ELb1ELb0E19rocblas_complex_numIfEPKS1_S3_PS1_EviT_T9_T10_S5_lS7_S5_lS6_T11_S5_li.num_agpr, 0
	.set _ZL29rocblas_internal_gemmt_kernelIlLi16ELi32ELi8ELc67ELc78ELc76ELb1ELb0E19rocblas_complex_numIfEPKS1_S3_PS1_EviT_T9_T10_S5_lS7_S5_lS6_T11_S5_li.numbered_sgpr, 44
	.set _ZL29rocblas_internal_gemmt_kernelIlLi16ELi32ELi8ELc67ELc78ELc76ELb1ELb0E19rocblas_complex_numIfEPKS1_S3_PS1_EviT_T9_T10_S5_lS7_S5_lS6_T11_S5_li.num_named_barrier, 0
	.set _ZL29rocblas_internal_gemmt_kernelIlLi16ELi32ELi8ELc67ELc78ELc76ELb1ELb0E19rocblas_complex_numIfEPKS1_S3_PS1_EviT_T9_T10_S5_lS7_S5_lS6_T11_S5_li.private_seg_size, 0
	.set _ZL29rocblas_internal_gemmt_kernelIlLi16ELi32ELi8ELc67ELc78ELc76ELb1ELb0E19rocblas_complex_numIfEPKS1_S3_PS1_EviT_T9_T10_S5_lS7_S5_lS6_T11_S5_li.uses_vcc, 1
	.set _ZL29rocblas_internal_gemmt_kernelIlLi16ELi32ELi8ELc67ELc78ELc76ELb1ELb0E19rocblas_complex_numIfEPKS1_S3_PS1_EviT_T9_T10_S5_lS7_S5_lS6_T11_S5_li.uses_flat_scratch, 0
	.set _ZL29rocblas_internal_gemmt_kernelIlLi16ELi32ELi8ELc67ELc78ELc76ELb1ELb0E19rocblas_complex_numIfEPKS1_S3_PS1_EviT_T9_T10_S5_lS7_S5_lS6_T11_S5_li.has_dyn_sized_stack, 0
	.set _ZL29rocblas_internal_gemmt_kernelIlLi16ELi32ELi8ELc67ELc78ELc76ELb1ELb0E19rocblas_complex_numIfEPKS1_S3_PS1_EviT_T9_T10_S5_lS7_S5_lS6_T11_S5_li.has_recursion, 0
	.set _ZL29rocblas_internal_gemmt_kernelIlLi16ELi32ELi8ELc67ELc78ELc76ELb1ELb0E19rocblas_complex_numIfEPKS1_S3_PS1_EviT_T9_T10_S5_lS7_S5_lS6_T11_S5_li.has_indirect_call, 0
	.section	.AMDGPU.csdata,"",@progbits
; Kernel info:
; codeLenInByte = 2636
; TotalNumSgprs: 46
; NumVgprs: 61
; ScratchSize: 0
; MemoryBound: 0
; FloatMode: 240
; IeeeMode: 1
; LDSByteSize: 4096 bytes/workgroup (compile time only)
; SGPRBlocks: 0
; VGPRBlocks: 7
; NumSGPRsForWavesPerEU: 46
; NumVGPRsForWavesPerEU: 61
; Occupancy: 16
; WaveLimiterHint : 0
; COMPUTE_PGM_RSRC2:SCRATCH_EN: 0
; COMPUTE_PGM_RSRC2:USER_SGPR: 6
; COMPUTE_PGM_RSRC2:TRAP_HANDLER: 0
; COMPUTE_PGM_RSRC2:TGID_X_EN: 1
; COMPUTE_PGM_RSRC2:TGID_Y_EN: 1
; COMPUTE_PGM_RSRC2:TGID_Z_EN: 1
; COMPUTE_PGM_RSRC2:TIDIG_COMP_CNT: 1
	.section	.text._ZL29rocblas_internal_gemmt_kernelIlLi16ELi32ELi8ELc67ELc84ELc76ELb1ELb0E19rocblas_complex_numIfEPKS1_S3_PS1_EviT_T9_T10_S5_lS7_S5_lS6_T11_S5_li,"axG",@progbits,_ZL29rocblas_internal_gemmt_kernelIlLi16ELi32ELi8ELc67ELc84ELc76ELb1ELb0E19rocblas_complex_numIfEPKS1_S3_PS1_EviT_T9_T10_S5_lS7_S5_lS6_T11_S5_li,comdat
	.globl	_ZL29rocblas_internal_gemmt_kernelIlLi16ELi32ELi8ELc67ELc84ELc76ELb1ELb0E19rocblas_complex_numIfEPKS1_S3_PS1_EviT_T9_T10_S5_lS7_S5_lS6_T11_S5_li ; -- Begin function _ZL29rocblas_internal_gemmt_kernelIlLi16ELi32ELi8ELc67ELc84ELc76ELb1ELb0E19rocblas_complex_numIfEPKS1_S3_PS1_EviT_T9_T10_S5_lS7_S5_lS6_T11_S5_li
	.p2align	8
	.type	_ZL29rocblas_internal_gemmt_kernelIlLi16ELi32ELi8ELc67ELc84ELc76ELb1ELb0E19rocblas_complex_numIfEPKS1_S3_PS1_EviT_T9_T10_S5_lS7_S5_lS6_T11_S5_li,@function
_ZL29rocblas_internal_gemmt_kernelIlLi16ELi32ELi8ELc67ELc84ELc76ELb1ELb0E19rocblas_complex_numIfEPKS1_S3_PS1_EviT_T9_T10_S5_lS7_S5_lS6_T11_S5_li: ; @_ZL29rocblas_internal_gemmt_kernelIlLi16ELi32ELi8ELc67ELc84ELc76ELb1ELb0E19rocblas_complex_numIfEPKS1_S3_PS1_EviT_T9_T10_S5_lS7_S5_lS6_T11_S5_li
; %bb.0:
	s_clause 0x1
	s_load_dwordx8 s[36:43], s[4:5], 0x48
	s_load_dwordx16 s[12:27], s[4:5], 0x8
	s_waitcnt lgkmcnt(0)
	s_load_dwordx2 s[10:11], s[36:37], 0x0
	s_load_dwordx2 s[14:15], s[14:15], 0x0
	s_waitcnt lgkmcnt(0)
	s_and_b32 s0, s11, 0x7fffffff
	v_cmp_eq_f32_e64 s1, s10, 1.0
	s_cmp_eq_u32 s0, 0
	s_mov_b32 s0, 0
	s_cselect_b32 s9, -1, 0
	s_and_b32 s1, s1, s9
	s_andn2_b32 vcc_lo, exec_lo, s1
	s_mov_b32 s1, -1
	s_cbranch_vccnz .LBB232_4
; %bb.1:
	s_cmp_lg_u64 s[12:13], 0
	s_cbranch_scc0 .LBB232_3
; %bb.2:
	v_cmp_neq_f32_e64 s0, s14, 0
	v_cmp_neq_f32_e64 s1, s15, 0
	s_or_b32 s0, s0, s1
.LBB232_3:
	s_mov_b32 s1, s0
.LBB232_4:
	s_and_b32 vcc_lo, exec_lo, s1
	s_cbranch_vccz .LBB232_34
; %bb.5:
	s_load_dword s4, s[4:5], 0x0
	v_cmp_eq_f32_e64 s0, s14, 0
	v_cmp_eq_f32_e64 s1, s15, 0
	v_cmp_lt_i64_e64 s2, s[12:13], 1
	v_mov_b32_e32 v22, 0
	v_mov_b32_e32 v23, 0
	;; [unrolled: 1-line block ×3, first 2 shown]
	s_and_b32 s0, s0, s1
	v_mov_b32_e32 v21, 0
	v_mov_b32_e32 v18, 0
	;; [unrolled: 1-line block ×5, first 2 shown]
	s_or_b32 s0, s0, s2
	s_lshl_b32 s5, s6, 5
	s_and_b32 vcc_lo, exec_lo, s0
	s_lshl_b32 s6, s7, 5
	s_cbranch_vccnz .LBB232_18
; %bb.6:
	v_lshl_add_u32 v4, v1, 4, v0
	s_mul_i32 s1, s27, s8
	s_mul_hi_u32 s2, s26, s8
	s_mul_i32 s0, s26, s8
	s_add_i32 s1, s2, s1
	v_and_b32_e32 v5, 31, v4
	s_lshl_b64 s[0:1], s[0:1], 3
	s_mul_i32 s2, s21, s8
	s_mul_hi_u32 s3, s20, s8
	s_add_u32 s21, s22, s0
	v_or_b32_e32 v8, s5, v5
	s_addc_u32 s22, s23, s1
	s_add_i32 s1, s3, s2
	s_mul_i32 s0, s20, s8
	v_lshrrev_b32_e32 v10, 3, v4
	v_mul_lo_u32 v9, s19, v8
	v_mad_u64_u32 v[2:3], null, s18, v8, 0
	s_lshl_b64 s[0:1], s[0:1], 3
	v_lshrrev_b32_e32 v7, 5, v4
	s_add_u32 s2, s16, s0
	s_addc_u32 s1, s17, s1
	s_ashr_i32 s0, s5, 31
	v_add_nc_u32_e32 v4, s6, v10
	s_mul_i32 s0, s18, s0
	v_and_b32_e32 v6, 7, v0
	v_add3_u32 v3, v3, s0, v9
	v_lshlrev_b32_e32 v9, 3, v5
	v_ashrrev_i32_e32 v5, 31, v4
	s_waitcnt lgkmcnt(0)
	v_cmp_gt_i32_e64 s0, s4, v8
	v_lshlrev_b32_e32 v11, 3, v6
	v_lshlrev_b64 v[2:3], 3, v[2:3]
	v_cmp_le_i32_e64 s7, s4, v8
	v_lshlrev_b64 v[12:13], 3, v[4:5]
	v_lshl_or_b32 v8, v7, 8, v9
	v_lshl_or_b32 v11, v10, 6, v11
	v_lshlrev_b32_e32 v14, 3, v0
	v_add_co_u32 v9, vcc_lo, s2, v2
	v_add_co_ci_u32_e64 v10, null, s1, v3, vcc_lo
	v_cmp_gt_i32_e32 vcc_lo, s4, v4
	v_add_co_u32 v12, s1, s21, v12
	v_add_nc_u32_e32 v11, 0x800, v11
	v_add_co_ci_u32_e64 v13, null, s22, v13, s1
	v_lshl_add_u32 v15, v1, 6, 0x800
	v_mov_b32_e32 v3, 0
	v_mov_b32_e32 v17, 0
	v_mov_b32_e32 v16, 0
	v_mov_b32_e32 v19, 0
	v_mov_b32_e32 v18, 0
	v_mov_b32_e32 v21, 0
	v_mov_b32_e32 v20, 0
	v_mov_b32_e32 v23, 0
	v_mov_b32_e32 v22, 0
	s_mov_b64 s[2:3], 0
	s_xor_b32 s1, vcc_lo, -1
                                        ; implicit-def: $vgpr4_vgpr5
	s_branch .LBB232_8
.LBB232_7:                              ;   in Loop: Header=BB232_8 Depth=1
	s_or_b32 exec_lo, exec_lo, s16
	s_waitcnt lgkmcnt(0)
	s_barrier
	buffer_gl0_inv
	ds_read_b128 v[24:27], v15
	ds_read2_b64 v[28:31], v14 offset1:16
	ds_read_b128 v[32:35], v15 offset:1024
	ds_read_b128 v[36:39], v15 offset:16
	;; [unrolled: 1-line block ×4, first 2 shown]
	ds_read2_b64 v[48:51], v14 offset0:32 offset1:48
	ds_read_b128 v[52:55], v15 offset:1040
	s_add_u32 s2, s2, 8
	s_addc_u32 s3, s3, 0
	v_cmp_gt_i64_e64 s16, s[12:13], s[2:3]
	s_and_b32 vcc_lo, exec_lo, s16
	s_waitcnt lgkmcnt(6)
	v_mul_f32_e32 v2, v25, v29
	v_mul_f32_e32 v56, v24, v29
	;; [unrolled: 1-line block ×4, first 2 shown]
	s_waitcnt lgkmcnt(5)
	v_mul_f32_e32 v59, v33, v29
	v_mul_f32_e32 v29, v32, v29
	;; [unrolled: 1-line block ×3, first 2 shown]
	v_fma_f32 v2, v24, v28, -v2
	v_fmac_f32_e32 v56, v25, v28
	v_fma_f32 v24, v24, v30, -v57
	v_fmac_f32_e32 v58, v25, v30
	;; [unrolled: 2-line block ×3, first 2 shown]
	v_mul_f32_e32 v31, v32, v31
	v_fma_f32 v28, v32, v30, -v60
	v_add_f32_e32 v2, v22, v2
	v_add_f32_e32 v22, v23, v56
	;; [unrolled: 1-line block ×6, first 2 shown]
	s_waitcnt lgkmcnt(1)
	v_mul_f32_e32 v32, v27, v49
	ds_read2_b64 v[18:21], v14 offset0:64 offset1:80
	v_fmac_f32_e32 v31, v33, v30
	v_add_f32_e32 v16, v16, v28
	v_mul_f32_e32 v28, v26, v49
	v_fma_f32 v30, v26, v48, -v32
	v_mul_f32_e32 v32, v27, v51
	v_add_f32_e32 v17, v17, v31
	v_mul_f32_e32 v31, v26, v51
	v_fmac_f32_e32 v28, v27, v48
	v_add_f32_e32 v2, v2, v30
	v_fma_f32 v26, v26, v50, -v32
	v_mul_f32_e32 v30, v35, v49
	v_fmac_f32_e32 v31, v27, v50
	v_add_f32_e32 v28, v22, v28
	v_mul_f32_e32 v22, v34, v49
	v_add_f32_e32 v26, v23, v26
	v_fma_f32 v23, v34, v48, -v30
	v_mul_f32_e32 v27, v35, v51
	v_add_f32_e32 v30, v24, v31
	v_fmac_f32_e32 v22, v35, v48
	v_mul_f32_e32 v31, v34, v51
	v_add_f32_e32 v32, v25, v23
	v_fma_f32 v23, v34, v50, -v27
	s_waitcnt lgkmcnt(0)
	v_mul_f32_e32 v24, v37, v19
	v_add_f32_e32 v27, v29, v22
	v_fmac_f32_e32 v31, v35, v50
	v_mul_f32_e32 v29, v36, v19
	v_add_f32_e32 v16, v16, v23
	v_fma_f32 v33, v36, v18, -v24
	v_mul_f32_e32 v34, v37, v21
	ds_read2_b64 v[22:25], v14 offset0:96 offset1:112
	v_fmac_f32_e32 v29, v37, v18
	v_add_f32_e32 v31, v17, v31
	v_add_f32_e32 v2, v2, v33
	v_mul_f32_e32 v17, v36, v21
	v_fma_f32 v33, v36, v20, -v34
	v_add_f32_e32 v28, v28, v29
	v_mul_f32_e32 v29, v53, v19
	v_mul_f32_e32 v19, v52, v19
	v_fmac_f32_e32 v17, v37, v20
	v_add_f32_e32 v26, v26, v33
	v_mul_f32_e32 v33, v53, v21
	v_mul_f32_e32 v21, v52, v21
	v_fmac_f32_e32 v19, v53, v18
	v_add_f32_e32 v30, v30, v17
	v_fma_f32 v29, v52, v18, -v29
	v_fma_f32 v17, v52, v20, -v33
	v_fmac_f32_e32 v21, v53, v20
	v_add_f32_e32 v33, v27, v19
	s_waitcnt lgkmcnt(0)
	v_mul_f32_e32 v20, v39, v23
	v_add_f32_e32 v34, v16, v17
	ds_read2_b64 v[16:19], v14 offset0:128 offset1:144
	v_add_f32_e32 v32, v32, v29
	v_mul_f32_e32 v27, v38, v23
	v_mul_f32_e32 v29, v39, v25
	v_fma_f32 v20, v38, v22, -v20
	v_add_f32_e32 v31, v31, v21
	v_mul_f32_e32 v21, v38, v25
	v_fmac_f32_e32 v27, v39, v22
	v_fma_f32 v29, v38, v24, -v29
	v_add_f32_e32 v2, v2, v20
	v_mul_f32_e32 v20, v55, v23
	v_fmac_f32_e32 v21, v39, v24
	v_add_f32_e32 v35, v28, v27
	v_add_f32_e32 v36, v26, v29
	v_mul_f32_e32 v23, v54, v23
	v_fma_f32 v20, v54, v22, -v20
	v_mul_f32_e32 v37, v55, v25
	ds_read_b128 v[26:29], v15 offset:1056
	v_add_f32_e32 v38, v30, v21
	v_fmac_f32_e32 v23, v55, v22
	v_mul_f32_e32 v25, v54, v25
	v_fma_f32 v21, v54, v24, -v37
	v_add_f32_e32 v37, v32, v20
	s_waitcnt lgkmcnt(1)
	v_mul_f32_e32 v20, v41, v17
	v_add_f32_e32 v39, v33, v23
	v_fmac_f32_e32 v25, v55, v24
	v_add_f32_e32 v24, v34, v21
	v_mul_f32_e32 v32, v41, v19
	v_fma_f32 v30, v40, v16, -v20
	ds_read2_b64 v[20:23], v14 offset0:160 offset1:176
	v_mul_f32_e32 v34, v40, v17
	v_add_f32_e32 v25, v31, v25
	v_fma_f32 v48, v40, v18, -v32
	v_mul_f32_e32 v40, v40, v19
	v_add_f32_e32 v2, v2, v30
	v_fmac_f32_e32 v34, v41, v16
	ds_read_b128 v[30:33], v15 offset:1072
	s_waitcnt lgkmcnt(2)
	v_mul_f32_e32 v49, v27, v17
	v_mul_f32_e32 v17, v26, v17
	v_fmac_f32_e32 v40, v41, v18
	v_mul_f32_e32 v41, v27, v19
	v_add_f32_e32 v34, v35, v34
	v_add_f32_e32 v35, v36, v48
	v_fma_f32 v36, v26, v16, -v49
	v_fmac_f32_e32 v17, v27, v16
	v_add_f32_e32 v38, v38, v40
	v_mul_f32_e32 v40, v26, v19
	v_fma_f32 v16, v26, v18, -v41
	v_add_f32_e32 v36, v37, v36
	v_add_f32_e32 v26, v39, v17
	s_waitcnt lgkmcnt(1)
	v_mul_f32_e32 v37, v43, v21
	v_fmac_f32_e32 v40, v27, v18
	v_add_f32_e32 v24, v24, v16
	ds_read2_b64 v[16:19], v14 offset0:192 offset1:208
	v_mul_f32_e32 v27, v42, v21
	v_fma_f32 v37, v42, v20, -v37
	v_mul_f32_e32 v39, v43, v23
	v_add_f32_e32 v40, v25, v40
	v_mul_f32_e32 v25, v42, v23
	v_fmac_f32_e32 v27, v43, v20
	v_add_f32_e32 v2, v2, v37
	v_fma_f32 v37, v42, v22, -v39
	v_fmac_f32_e32 v25, v43, v22
	v_add_f32_e32 v34, v34, v27
	v_mul_f32_e32 v27, v29, v21
	v_mul_f32_e32 v21, v28, v21
	v_add_f32_e32 v35, v35, v37
	v_mul_f32_e32 v37, v29, v23
	v_add_f32_e32 v38, v38, v25
	v_fma_f32 v27, v28, v20, -v27
	v_fmac_f32_e32 v21, v29, v20
	v_mul_f32_e32 v20, v28, v23
	v_fma_f32 v23, v28, v22, -v37
	s_waitcnt lgkmcnt(0)
	v_mul_f32_e32 v25, v45, v17
	v_add_f32_e32 v28, v36, v27
	v_add_f32_e32 v21, v26, v21
	v_fmac_f32_e32 v20, v29, v22
	v_add_f32_e32 v22, v24, v23
	v_fma_f32 v29, v44, v16, -v25
	ds_read2_b64 v[24:27], v14 offset0:224 offset1:240
	v_mul_f32_e32 v23, v44, v17
	v_mul_f32_e32 v37, v31, v17
	;; [unrolled: 1-line block ×4, first 2 shown]
	v_add_f32_e32 v2, v2, v29
	v_fmac_f32_e32 v23, v45, v16
	v_mul_f32_e32 v29, v44, v19
	v_fmac_f32_e32 v17, v31, v16
	v_fma_f32 v36, v44, v18, -v36
	v_add_f32_e32 v20, v40, v20
	v_add_f32_e32 v23, v34, v23
	v_fma_f32 v34, v30, v16, -v37
	v_mul_f32_e32 v16, v31, v19
	v_mul_f32_e32 v19, v30, v19
	v_fmac_f32_e32 v29, v45, v18
	v_add_f32_e32 v17, v21, v17
	v_add_f32_e32 v35, v35, v36
	v_fma_f32 v16, v30, v18, -v16
	v_fmac_f32_e32 v19, v31, v18
	s_waitcnt lgkmcnt(0)
	v_mul_f32_e32 v21, v47, v25
	v_mul_f32_e32 v18, v47, v27
	v_add_f32_e32 v28, v28, v34
	v_mul_f32_e32 v30, v46, v25
	v_add_f32_e32 v16, v22, v16
	v_fma_f32 v21, v46, v24, -v21
	v_fma_f32 v18, v46, v26, -v18
	v_mul_f32_e32 v31, v46, v27
	v_add_f32_e32 v34, v20, v19
	v_mul_f32_e32 v19, v32, v25
	v_add_f32_e32 v22, v2, v21
	v_add_f32_e32 v20, v35, v18
	v_mul_f32_e32 v2, v33, v25
	v_mul_f32_e32 v18, v33, v27
	;; [unrolled: 1-line block ×3, first 2 shown]
	v_add_f32_e32 v29, v38, v29
	v_fmac_f32_e32 v30, v47, v24
	v_fmac_f32_e32 v31, v47, v26
	v_fma_f32 v2, v32, v24, -v2
	v_fmac_f32_e32 v19, v33, v24
	v_fma_f32 v24, v32, v26, -v18
	v_fmac_f32_e32 v25, v33, v26
	v_add_f32_e32 v23, v23, v30
	v_add_f32_e32 v21, v29, v31
	;; [unrolled: 1-line block ×6, first 2 shown]
	s_barrier
	buffer_gl0_inv
	s_cbranch_vccz .LBB232_18
.LBB232_8:                              ; =>This Inner Loop Header: Depth=1
	s_mov_b32 s18, s7
	s_mov_b32 s16, 0
	s_and_saveexec_b32 s17, s0
	s_cbranch_execnz .LBB232_16
; %bb.9:                                ;   in Loop: Header=BB232_8 Depth=1
	s_or_b32 exec_lo, exec_lo, s17
	s_and_saveexec_b32 s17, s18
	s_xor_b32 s17, exec_lo, s17
	s_cbranch_execnz .LBB232_17
.LBB232_10:                             ;   in Loop: Header=BB232_8 Depth=1
	s_or_b32 exec_lo, exec_lo, s17
	v_mov_b32_e32 v24, 0
	s_and_saveexec_b32 s17, s16
	s_cbranch_execz .LBB232_12
.LBB232_11:                             ;   in Loop: Header=BB232_8 Depth=1
	v_lshlrev_b64 v[24:25], 3, v[4:5]
	v_add_co_u32 v24, vcc_lo, v9, v24
	v_add_co_ci_u32_e64 v25, null, v10, v25, vcc_lo
	global_load_dwordx2 v[25:26], v[24:25], off
	s_waitcnt vmcnt(0)
	v_xor_b32_e32 v24, 0x80000000, v26
	ds_write_b32 v8, v25
.LBB232_12:                             ;   in Loop: Header=BB232_8 Depth=1
	s_or_b32 exec_lo, exec_lo, s17
	v_add_nc_u32_e32 v2, s2, v6
	ds_write_b32 v8, v24 offset:4
	v_cmp_le_u64_e32 vcc_lo, s[12:13], v[2:3]
	s_or_b32 s16, vcc_lo, s1
	s_and_saveexec_b32 s17, s16
	s_xor_b32 s16, exec_lo, s17
; %bb.13:                               ;   in Loop: Header=BB232_8 Depth=1
	v_mov_b32_e32 v2, v3
	ds_write_b64 v11, v[2:3]
; %bb.14:                               ;   in Loop: Header=BB232_8 Depth=1
	s_andn2_saveexec_b32 s16, s16
	s_cbranch_execz .LBB232_7
; %bb.15:                               ;   in Loop: Header=BB232_8 Depth=1
	v_mad_u64_u32 v[24:25], null, s24, v2, 0
	v_mad_u64_u32 v[25:26], null, s25, v2, v[25:26]
	v_lshlrev_b64 v[24:25], 3, v[24:25]
	v_add_co_u32 v24, vcc_lo, v12, v24
	v_add_co_ci_u32_e64 v25, null, v13, v25, vcc_lo
	global_load_dwordx2 v[24:25], v[24:25], off
	s_waitcnt vmcnt(0)
	ds_write_b64 v11, v[24:25]
	s_branch .LBB232_7
.LBB232_16:                             ;   in Loop: Header=BB232_8 Depth=1
	v_add_nc_u32_e32 v2, s2, v7
	v_mov_b32_e32 v5, v3
	s_andn2_b32 s18, s7, exec_lo
	s_mov_b32 s16, exec_lo
	v_cmp_le_u64_e32 vcc_lo, s[12:13], v[2:3]
	v_mov_b32_e32 v4, v2
	s_and_b32 s19, vcc_lo, exec_lo
	s_or_b32 s18, s18, s19
	s_or_b32 exec_lo, exec_lo, s17
	s_and_saveexec_b32 s17, s18
	s_xor_b32 s17, exec_lo, s17
	s_cbranch_execz .LBB232_10
.LBB232_17:                             ;   in Loop: Header=BB232_8 Depth=1
	s_andn2_b32 s16, s16, exec_lo
	ds_write_b32 v8, v3
	s_or_b32 exec_lo, exec_lo, s17
	v_mov_b32_e32 v24, 0
	s_and_saveexec_b32 s17, s16
	s_cbranch_execnz .LBB232_11
	s_branch .LBB232_12
.LBB232_18:
	v_add_nc_u32_e32 v9, s6, v1
	s_mul_i32 s1, s43, s8
	s_mul_hi_u32 s2, s42, s8
	s_mul_i32 s0, s42, s8
	s_add_i32 s1, s2, s1
	v_ashrrev_i32_e32 v3, 31, v9
	v_mul_lo_u32 v4, s41, v9
	v_mad_u64_u32 v[1:2], null, s40, v9, 0
	v_add_nc_u32_e32 v0, s5, v0
	v_mul_lo_u32 v3, s40, v3
	v_cmp_neq_f32_e64 s2, s10, 0
	s_lshl_b64 s[6:7], s[0:1], 3
	s_add_u32 s3, s38, s6
	s_addc_u32 s5, s39, s7
	s_xor_b32 s6, s9, -1
	v_cmp_le_i32_e32 vcc_lo, v9, v0
	v_add3_u32 v2, v2, v3, v4
	s_waitcnt lgkmcnt(0)
	v_cmp_gt_i32_e64 s0, s4, v0
	s_or_b32 s2, s2, s6
	v_cndmask_b32_e64 v8, 0, 1, s2
	v_lshlrev_b64 v[2:3], 3, v[1:2]
	v_ashrrev_i32_e32 v1, 31, v0
	s_and_b32 s6, vcc_lo, s0
	v_add_co_u32 v6, s1, s3, v2
	v_add_co_ci_u32_e64 v7, null, s5, v3, s1
	s_and_saveexec_b32 s1, s6
	s_cbranch_execz .LBB232_22
; %bb.19:
	v_lshlrev_b64 v[4:5], 3, v[0:1]
	v_mul_f32_e32 v2, s15, v23
	v_mul_f32_e32 v3, s14, v23
	v_fma_f32 v2, v22, s14, -v2
	v_add_co_u32 v4, vcc_lo, v6, v4
	v_fmac_f32_e32 v3, s15, v22
	v_add_co_ci_u32_e64 v5, null, v7, v5, vcc_lo
	s_andn2_b32 vcc_lo, exec_lo, s2
	s_cbranch_vccnz .LBB232_21
; %bb.20:
	global_load_dwordx2 v[10:11], v[4:5], off
	s_waitcnt vmcnt(0)
	v_mul_f32_e32 v12, s11, v11
	v_mul_f32_e32 v11, s10, v11
	v_fma_f32 v12, v10, s10, -v12
	v_fmac_f32_e32 v11, s11, v10
	v_add_f32_e32 v2, v2, v12
	v_add_f32_e32 v3, v3, v11
.LBB232_21:
	global_store_dwordx2 v[4:5], v[2:3], off
.LBB232_22:
	s_or_b32 exec_lo, exec_lo, s1
	v_add_nc_u32_e32 v2, 16, v0
	v_cmp_le_i32_e32 vcc_lo, v9, v2
	v_cmp_gt_i32_e64 s1, s4, v2
	v_ashrrev_i32_e32 v3, 31, v2
	s_and_b32 s2, vcc_lo, s1
	s_and_saveexec_b32 s4, s2
	s_cbranch_execz .LBB232_26
; %bb.23:
	v_lshlrev_b64 v[10:11], 3, v[2:3]
	v_mul_f32_e32 v4, s15, v21
	v_mul_f32_e32 v5, s14, v21
	v_cmp_ne_u32_e32 vcc_lo, 1, v8
	v_fma_f32 v4, v20, s14, -v4
	v_add_co_u32 v6, s2, v6, v10
	v_fmac_f32_e32 v5, s15, v20
	v_add_co_ci_u32_e64 v7, null, v7, v11, s2
	s_cbranch_vccnz .LBB232_25
; %bb.24:
	global_load_dwordx2 v[10:11], v[6:7], off
	s_waitcnt vmcnt(0)
	v_mul_f32_e32 v12, s11, v11
	v_mul_f32_e32 v11, s10, v11
	v_fma_f32 v12, v10, s10, -v12
	v_fmac_f32_e32 v11, s11, v10
	v_add_f32_e32 v4, v4, v12
	v_add_f32_e32 v5, v5, v11
.LBB232_25:
	global_store_dwordx2 v[6:7], v[4:5], off
.LBB232_26:
	s_or_b32 exec_lo, exec_lo, s4
	v_add_nc_u32_e32 v9, 16, v9
	v_ashrrev_i32_e32 v6, 31, v9
	v_mul_lo_u32 v7, s41, v9
	v_mad_u64_u32 v[4:5], null, s40, v9, 0
	v_cmp_le_i32_e32 vcc_lo, v9, v0
	v_mul_lo_u32 v6, s40, v6
	s_and_b32 s0, vcc_lo, s0
	v_add3_u32 v5, v5, v6, v7
	v_lshlrev_b64 v[4:5], 3, v[4:5]
	v_add_co_u32 v6, s2, s3, v4
	v_add_co_ci_u32_e64 v7, null, s5, v5, s2
	s_and_saveexec_b32 s2, s0
	s_cbranch_execz .LBB232_30
; %bb.27:
	v_lshlrev_b64 v[0:1], 3, v[0:1]
	v_mul_f32_e32 v4, s15, v19
	v_mul_f32_e32 v5, s14, v19
	v_cmp_ne_u32_e32 vcc_lo, 1, v8
	v_fma_f32 v4, v18, s14, -v4
	v_add_co_u32 v0, s0, v6, v0
	v_fmac_f32_e32 v5, s15, v18
	v_add_co_ci_u32_e64 v1, null, v7, v1, s0
	s_cbranch_vccnz .LBB232_29
; %bb.28:
	global_load_dwordx2 v[10:11], v[0:1], off
	s_waitcnt vmcnt(0)
	v_mul_f32_e32 v12, s11, v11
	v_mul_f32_e32 v11, s10, v11
	v_fma_f32 v12, v10, s10, -v12
	v_fmac_f32_e32 v11, s11, v10
	v_add_f32_e32 v4, v4, v12
	v_add_f32_e32 v5, v5, v11
.LBB232_29:
	global_store_dwordx2 v[0:1], v[4:5], off
.LBB232_30:
	s_or_b32 exec_lo, exec_lo, s2
	v_cmp_le_i32_e32 vcc_lo, v9, v2
	s_and_b32 s0, vcc_lo, s1
	s_and_saveexec_b32 s1, s0
	s_cbranch_execz .LBB232_34
; %bb.31:
	v_lshlrev_b64 v[2:3], 3, v[2:3]
	v_mul_f32_e32 v0, s15, v17
	v_mul_f32_e32 v1, s14, v17
	v_cmp_ne_u32_e32 vcc_lo, 1, v8
	v_fma_f32 v0, v16, s14, -v0
	v_add_co_u32 v2, s0, v6, v2
	v_fmac_f32_e32 v1, s15, v16
	v_add_co_ci_u32_e64 v3, null, v7, v3, s0
	s_cbranch_vccnz .LBB232_33
; %bb.32:
	global_load_dwordx2 v[4:5], v[2:3], off
	s_waitcnt vmcnt(0)
	v_mul_f32_e32 v6, s11, v5
	v_mul_f32_e32 v5, s10, v5
	v_fma_f32 v6, v4, s10, -v6
	v_fmac_f32_e32 v5, s11, v4
	v_add_f32_e32 v0, v0, v6
	v_add_f32_e32 v1, v1, v5
.LBB232_33:
	global_store_dwordx2 v[2:3], v[0:1], off
.LBB232_34:
	s_endpgm
	.section	.rodata,"a",@progbits
	.p2align	6, 0x0
	.amdhsa_kernel _ZL29rocblas_internal_gemmt_kernelIlLi16ELi32ELi8ELc67ELc84ELc76ELb1ELb0E19rocblas_complex_numIfEPKS1_S3_PS1_EviT_T9_T10_S5_lS7_S5_lS6_T11_S5_li
		.amdhsa_group_segment_fixed_size 4096
		.amdhsa_private_segment_fixed_size 0
		.amdhsa_kernarg_size 108
		.amdhsa_user_sgpr_count 6
		.amdhsa_user_sgpr_private_segment_buffer 1
		.amdhsa_user_sgpr_dispatch_ptr 0
		.amdhsa_user_sgpr_queue_ptr 0
		.amdhsa_user_sgpr_kernarg_segment_ptr 1
		.amdhsa_user_sgpr_dispatch_id 0
		.amdhsa_user_sgpr_flat_scratch_init 0
		.amdhsa_user_sgpr_private_segment_size 0
		.amdhsa_wavefront_size32 1
		.amdhsa_uses_dynamic_stack 0
		.amdhsa_system_sgpr_private_segment_wavefront_offset 0
		.amdhsa_system_sgpr_workgroup_id_x 1
		.amdhsa_system_sgpr_workgroup_id_y 1
		.amdhsa_system_sgpr_workgroup_id_z 1
		.amdhsa_system_sgpr_workgroup_info 0
		.amdhsa_system_vgpr_workitem_id 1
		.amdhsa_next_free_vgpr 61
		.amdhsa_next_free_sgpr 44
		.amdhsa_reserve_vcc 1
		.amdhsa_reserve_flat_scratch 0
		.amdhsa_float_round_mode_32 0
		.amdhsa_float_round_mode_16_64 0
		.amdhsa_float_denorm_mode_32 3
		.amdhsa_float_denorm_mode_16_64 3
		.amdhsa_dx10_clamp 1
		.amdhsa_ieee_mode 1
		.amdhsa_fp16_overflow 0
		.amdhsa_workgroup_processor_mode 1
		.amdhsa_memory_ordered 1
		.amdhsa_forward_progress 1
		.amdhsa_shared_vgpr_count 0
		.amdhsa_exception_fp_ieee_invalid_op 0
		.amdhsa_exception_fp_denorm_src 0
		.amdhsa_exception_fp_ieee_div_zero 0
		.amdhsa_exception_fp_ieee_overflow 0
		.amdhsa_exception_fp_ieee_underflow 0
		.amdhsa_exception_fp_ieee_inexact 0
		.amdhsa_exception_int_div_zero 0
	.end_amdhsa_kernel
	.section	.text._ZL29rocblas_internal_gemmt_kernelIlLi16ELi32ELi8ELc67ELc84ELc76ELb1ELb0E19rocblas_complex_numIfEPKS1_S3_PS1_EviT_T9_T10_S5_lS7_S5_lS6_T11_S5_li,"axG",@progbits,_ZL29rocblas_internal_gemmt_kernelIlLi16ELi32ELi8ELc67ELc84ELc76ELb1ELb0E19rocblas_complex_numIfEPKS1_S3_PS1_EviT_T9_T10_S5_lS7_S5_lS6_T11_S5_li,comdat
.Lfunc_end232:
	.size	_ZL29rocblas_internal_gemmt_kernelIlLi16ELi32ELi8ELc67ELc84ELc76ELb1ELb0E19rocblas_complex_numIfEPKS1_S3_PS1_EviT_T9_T10_S5_lS7_S5_lS6_T11_S5_li, .Lfunc_end232-_ZL29rocblas_internal_gemmt_kernelIlLi16ELi32ELi8ELc67ELc84ELc76ELb1ELb0E19rocblas_complex_numIfEPKS1_S3_PS1_EviT_T9_T10_S5_lS7_S5_lS6_T11_S5_li
                                        ; -- End function
	.set _ZL29rocblas_internal_gemmt_kernelIlLi16ELi32ELi8ELc67ELc84ELc76ELb1ELb0E19rocblas_complex_numIfEPKS1_S3_PS1_EviT_T9_T10_S5_lS7_S5_lS6_T11_S5_li.num_vgpr, 61
	.set _ZL29rocblas_internal_gemmt_kernelIlLi16ELi32ELi8ELc67ELc84ELc76ELb1ELb0E19rocblas_complex_numIfEPKS1_S3_PS1_EviT_T9_T10_S5_lS7_S5_lS6_T11_S5_li.num_agpr, 0
	.set _ZL29rocblas_internal_gemmt_kernelIlLi16ELi32ELi8ELc67ELc84ELc76ELb1ELb0E19rocblas_complex_numIfEPKS1_S3_PS1_EviT_T9_T10_S5_lS7_S5_lS6_T11_S5_li.numbered_sgpr, 44
	.set _ZL29rocblas_internal_gemmt_kernelIlLi16ELi32ELi8ELc67ELc84ELc76ELb1ELb0E19rocblas_complex_numIfEPKS1_S3_PS1_EviT_T9_T10_S5_lS7_S5_lS6_T11_S5_li.num_named_barrier, 0
	.set _ZL29rocblas_internal_gemmt_kernelIlLi16ELi32ELi8ELc67ELc84ELc76ELb1ELb0E19rocblas_complex_numIfEPKS1_S3_PS1_EviT_T9_T10_S5_lS7_S5_lS6_T11_S5_li.private_seg_size, 0
	.set _ZL29rocblas_internal_gemmt_kernelIlLi16ELi32ELi8ELc67ELc84ELc76ELb1ELb0E19rocblas_complex_numIfEPKS1_S3_PS1_EviT_T9_T10_S5_lS7_S5_lS6_T11_S5_li.uses_vcc, 1
	.set _ZL29rocblas_internal_gemmt_kernelIlLi16ELi32ELi8ELc67ELc84ELc76ELb1ELb0E19rocblas_complex_numIfEPKS1_S3_PS1_EviT_T9_T10_S5_lS7_S5_lS6_T11_S5_li.uses_flat_scratch, 0
	.set _ZL29rocblas_internal_gemmt_kernelIlLi16ELi32ELi8ELc67ELc84ELc76ELb1ELb0E19rocblas_complex_numIfEPKS1_S3_PS1_EviT_T9_T10_S5_lS7_S5_lS6_T11_S5_li.has_dyn_sized_stack, 0
	.set _ZL29rocblas_internal_gemmt_kernelIlLi16ELi32ELi8ELc67ELc84ELc76ELb1ELb0E19rocblas_complex_numIfEPKS1_S3_PS1_EviT_T9_T10_S5_lS7_S5_lS6_T11_S5_li.has_recursion, 0
	.set _ZL29rocblas_internal_gemmt_kernelIlLi16ELi32ELi8ELc67ELc84ELc76ELb1ELb0E19rocblas_complex_numIfEPKS1_S3_PS1_EviT_T9_T10_S5_lS7_S5_lS6_T11_S5_li.has_indirect_call, 0
	.section	.AMDGPU.csdata,"",@progbits
; Kernel info:
; codeLenInByte = 2620
; TotalNumSgprs: 46
; NumVgprs: 61
; ScratchSize: 0
; MemoryBound: 0
; FloatMode: 240
; IeeeMode: 1
; LDSByteSize: 4096 bytes/workgroup (compile time only)
; SGPRBlocks: 0
; VGPRBlocks: 7
; NumSGPRsForWavesPerEU: 46
; NumVGPRsForWavesPerEU: 61
; Occupancy: 16
; WaveLimiterHint : 0
; COMPUTE_PGM_RSRC2:SCRATCH_EN: 0
; COMPUTE_PGM_RSRC2:USER_SGPR: 6
; COMPUTE_PGM_RSRC2:TRAP_HANDLER: 0
; COMPUTE_PGM_RSRC2:TGID_X_EN: 1
; COMPUTE_PGM_RSRC2:TGID_Y_EN: 1
; COMPUTE_PGM_RSRC2:TGID_Z_EN: 1
; COMPUTE_PGM_RSRC2:TIDIG_COMP_CNT: 1
	.section	.text._ZL29rocblas_internal_gemmt_kernelIlLi16ELi32ELi8ELc67ELc67ELc76ELb1ELb1E19rocblas_complex_numIfEPKS1_S3_PS1_EviT_T9_T10_S5_lS7_S5_lS6_T11_S5_li,"axG",@progbits,_ZL29rocblas_internal_gemmt_kernelIlLi16ELi32ELi8ELc67ELc67ELc76ELb1ELb1E19rocblas_complex_numIfEPKS1_S3_PS1_EviT_T9_T10_S5_lS7_S5_lS6_T11_S5_li,comdat
	.globl	_ZL29rocblas_internal_gemmt_kernelIlLi16ELi32ELi8ELc67ELc67ELc76ELb1ELb1E19rocblas_complex_numIfEPKS1_S3_PS1_EviT_T9_T10_S5_lS7_S5_lS6_T11_S5_li ; -- Begin function _ZL29rocblas_internal_gemmt_kernelIlLi16ELi32ELi8ELc67ELc67ELc76ELb1ELb1E19rocblas_complex_numIfEPKS1_S3_PS1_EviT_T9_T10_S5_lS7_S5_lS6_T11_S5_li
	.p2align	8
	.type	_ZL29rocblas_internal_gemmt_kernelIlLi16ELi32ELi8ELc67ELc67ELc76ELb1ELb1E19rocblas_complex_numIfEPKS1_S3_PS1_EviT_T9_T10_S5_lS7_S5_lS6_T11_S5_li,@function
_ZL29rocblas_internal_gemmt_kernelIlLi16ELi32ELi8ELc67ELc67ELc76ELb1ELb1E19rocblas_complex_numIfEPKS1_S3_PS1_EviT_T9_T10_S5_lS7_S5_lS6_T11_S5_li: ; @_ZL29rocblas_internal_gemmt_kernelIlLi16ELi32ELi8ELc67ELc67ELc76ELb1ELb1E19rocblas_complex_numIfEPKS1_S3_PS1_EviT_T9_T10_S5_lS7_S5_lS6_T11_S5_li
; %bb.0:
	s_clause 0x1
	s_load_dwordx8 s[36:43], s[4:5], 0x48
	s_load_dwordx16 s[12:27], s[4:5], 0x8
	s_waitcnt lgkmcnt(0)
	s_load_dwordx2 s[10:11], s[36:37], 0x0
	s_load_dwordx2 s[14:15], s[14:15], 0x0
	s_waitcnt lgkmcnt(0)
	s_and_b32 s0, s11, 0x7fffffff
	v_cmp_eq_f32_e64 s1, s10, 1.0
	s_cmp_eq_u32 s0, 0
	s_mov_b32 s0, 0
	s_cselect_b32 s9, -1, 0
	s_and_b32 s1, s1, s9
	s_andn2_b32 vcc_lo, exec_lo, s1
	s_mov_b32 s1, -1
	s_cbranch_vccnz .LBB233_4
; %bb.1:
	s_cmp_lg_u64 s[12:13], 0
	s_cbranch_scc0 .LBB233_3
; %bb.2:
	v_cmp_neq_f32_e64 s0, s14, 0
	v_cmp_neq_f32_e64 s1, s15, 0
	s_or_b32 s0, s0, s1
.LBB233_3:
	s_mov_b32 s1, s0
.LBB233_4:
	s_and_b32 vcc_lo, exec_lo, s1
	s_cbranch_vccz .LBB233_34
; %bb.5:
	s_load_dword s4, s[4:5], 0x0
	v_cmp_eq_f32_e64 s0, s14, 0
	v_cmp_eq_f32_e64 s1, s15, 0
	v_cmp_lt_i64_e64 s2, s[12:13], 1
	v_mov_b32_e32 v22, 0
	v_mov_b32_e32 v23, 0
	;; [unrolled: 1-line block ×3, first 2 shown]
	s_and_b32 s0, s0, s1
	v_mov_b32_e32 v21, 0
	v_mov_b32_e32 v18, 0
	v_mov_b32_e32 v19, 0
	v_mov_b32_e32 v16, 0
	v_mov_b32_e32 v17, 0
	s_or_b32 s0, s0, s2
	s_lshl_b32 s5, s6, 5
	s_and_b32 vcc_lo, exec_lo, s0
	s_lshl_b32 s6, s7, 5
	s_cbranch_vccnz .LBB233_18
; %bb.6:
	v_lshl_add_u32 v4, v1, 4, v0
	s_mul_i32 s1, s27, s8
	s_mul_hi_u32 s2, s26, s8
	s_mul_i32 s0, s26, s8
	s_add_i32 s1, s2, s1
	v_and_b32_e32 v5, 31, v4
	s_lshl_b64 s[0:1], s[0:1], 3
	s_mul_i32 s2, s21, s8
	s_mul_hi_u32 s3, s20, s8
	s_add_u32 s21, s22, s0
	v_or_b32_e32 v8, s5, v5
	s_addc_u32 s22, s23, s1
	s_add_i32 s1, s3, s2
	s_mul_i32 s0, s20, s8
	v_lshrrev_b32_e32 v10, 3, v4
	v_mul_lo_u32 v9, s19, v8
	v_mad_u64_u32 v[2:3], null, s18, v8, 0
	s_lshl_b64 s[0:1], s[0:1], 3
	v_lshrrev_b32_e32 v7, 5, v4
	s_add_u32 s2, s16, s0
	s_addc_u32 s1, s17, s1
	s_ashr_i32 s0, s5, 31
	v_add_nc_u32_e32 v4, s6, v10
	s_mul_i32 s0, s18, s0
	v_and_b32_e32 v6, 7, v0
	v_add3_u32 v3, v3, s0, v9
	v_lshlrev_b32_e32 v9, 3, v5
	v_ashrrev_i32_e32 v5, 31, v4
	s_waitcnt lgkmcnt(0)
	v_cmp_gt_i32_e64 s0, s4, v8
	v_lshlrev_b32_e32 v11, 3, v6
	v_lshlrev_b64 v[2:3], 3, v[2:3]
	v_cmp_le_i32_e64 s7, s4, v8
	v_lshlrev_b64 v[12:13], 3, v[4:5]
	v_lshl_or_b32 v8, v7, 8, v9
	v_lshl_or_b32 v11, v10, 6, v11
	v_lshlrev_b32_e32 v14, 3, v0
	v_add_co_u32 v9, vcc_lo, s2, v2
	v_add_co_ci_u32_e64 v10, null, s1, v3, vcc_lo
	v_cmp_gt_i32_e32 vcc_lo, s4, v4
	v_add_co_u32 v12, s1, s21, v12
	v_add_nc_u32_e32 v11, 0x800, v11
	v_add_co_ci_u32_e64 v13, null, s22, v13, s1
	v_lshl_add_u32 v15, v1, 6, 0x800
	v_mov_b32_e32 v3, 0
	v_mov_b32_e32 v17, 0
	;; [unrolled: 1-line block ×9, first 2 shown]
	s_mov_b64 s[2:3], 0
	s_xor_b32 s1, vcc_lo, -1
                                        ; implicit-def: $vgpr4_vgpr5
	s_branch .LBB233_8
.LBB233_7:                              ;   in Loop: Header=BB233_8 Depth=1
	s_or_b32 exec_lo, exec_lo, s16
	ds_write_b32 v11, v24 offset:4
	s_waitcnt lgkmcnt(0)
	s_barrier
	buffer_gl0_inv
	ds_read_b128 v[24:27], v15
	ds_read2_b64 v[28:31], v14 offset1:16
	ds_read_b128 v[32:35], v15 offset:1024
	ds_read_b128 v[36:39], v15 offset:16
	ds_read_b128 v[40:43], v15 offset:32
	ds_read_b128 v[44:47], v15 offset:48
	ds_read2_b64 v[48:51], v14 offset0:32 offset1:48
	ds_read_b128 v[52:55], v15 offset:1040
	s_add_u32 s2, s2, 8
	s_addc_u32 s3, s3, 0
	v_cmp_gt_i64_e64 s16, s[12:13], s[2:3]
	s_and_b32 vcc_lo, exec_lo, s16
	s_waitcnt lgkmcnt(6)
	v_mul_f32_e32 v2, v25, v29
	v_mul_f32_e32 v56, v24, v29
	;; [unrolled: 1-line block ×4, first 2 shown]
	s_waitcnt lgkmcnt(5)
	v_mul_f32_e32 v59, v33, v29
	v_mul_f32_e32 v29, v32, v29
	;; [unrolled: 1-line block ×3, first 2 shown]
	v_fma_f32 v2, v24, v28, -v2
	v_fmac_f32_e32 v56, v25, v28
	v_fma_f32 v24, v24, v30, -v57
	v_fmac_f32_e32 v58, v25, v30
	;; [unrolled: 2-line block ×3, first 2 shown]
	v_mul_f32_e32 v31, v32, v31
	v_fma_f32 v28, v32, v30, -v60
	v_add_f32_e32 v2, v22, v2
	v_add_f32_e32 v22, v23, v56
	;; [unrolled: 1-line block ×6, first 2 shown]
	s_waitcnt lgkmcnt(1)
	v_mul_f32_e32 v32, v27, v49
	ds_read2_b64 v[18:21], v14 offset0:64 offset1:80
	v_fmac_f32_e32 v31, v33, v30
	v_add_f32_e32 v16, v16, v28
	v_mul_f32_e32 v28, v26, v49
	v_fma_f32 v30, v26, v48, -v32
	v_mul_f32_e32 v32, v27, v51
	v_add_f32_e32 v17, v17, v31
	v_mul_f32_e32 v31, v26, v51
	v_fmac_f32_e32 v28, v27, v48
	v_add_f32_e32 v2, v2, v30
	v_fma_f32 v26, v26, v50, -v32
	v_mul_f32_e32 v30, v35, v49
	v_fmac_f32_e32 v31, v27, v50
	v_add_f32_e32 v28, v22, v28
	v_mul_f32_e32 v22, v34, v49
	v_add_f32_e32 v26, v23, v26
	v_fma_f32 v23, v34, v48, -v30
	v_mul_f32_e32 v27, v35, v51
	v_add_f32_e32 v30, v24, v31
	v_fmac_f32_e32 v22, v35, v48
	v_mul_f32_e32 v31, v34, v51
	v_add_f32_e32 v32, v25, v23
	v_fma_f32 v23, v34, v50, -v27
	s_waitcnt lgkmcnt(0)
	v_mul_f32_e32 v24, v37, v19
	v_add_f32_e32 v27, v29, v22
	v_fmac_f32_e32 v31, v35, v50
	v_mul_f32_e32 v29, v36, v19
	v_add_f32_e32 v16, v16, v23
	v_fma_f32 v33, v36, v18, -v24
	v_mul_f32_e32 v34, v37, v21
	ds_read2_b64 v[22:25], v14 offset0:96 offset1:112
	v_fmac_f32_e32 v29, v37, v18
	v_add_f32_e32 v31, v17, v31
	v_add_f32_e32 v2, v2, v33
	v_mul_f32_e32 v17, v36, v21
	v_fma_f32 v33, v36, v20, -v34
	v_add_f32_e32 v28, v28, v29
	v_mul_f32_e32 v29, v53, v19
	v_mul_f32_e32 v19, v52, v19
	v_fmac_f32_e32 v17, v37, v20
	v_add_f32_e32 v26, v26, v33
	v_mul_f32_e32 v33, v53, v21
	v_mul_f32_e32 v21, v52, v21
	v_fmac_f32_e32 v19, v53, v18
	v_add_f32_e32 v30, v30, v17
	v_fma_f32 v29, v52, v18, -v29
	v_fma_f32 v17, v52, v20, -v33
	v_fmac_f32_e32 v21, v53, v20
	v_add_f32_e32 v33, v27, v19
	s_waitcnt lgkmcnt(0)
	v_mul_f32_e32 v20, v39, v23
	v_add_f32_e32 v34, v16, v17
	ds_read2_b64 v[16:19], v14 offset0:128 offset1:144
	v_add_f32_e32 v32, v32, v29
	v_mul_f32_e32 v27, v38, v23
	v_mul_f32_e32 v29, v39, v25
	v_fma_f32 v20, v38, v22, -v20
	v_add_f32_e32 v31, v31, v21
	v_mul_f32_e32 v21, v38, v25
	v_fmac_f32_e32 v27, v39, v22
	v_fma_f32 v29, v38, v24, -v29
	v_add_f32_e32 v2, v2, v20
	v_mul_f32_e32 v20, v55, v23
	v_fmac_f32_e32 v21, v39, v24
	v_add_f32_e32 v35, v28, v27
	v_add_f32_e32 v36, v26, v29
	v_mul_f32_e32 v23, v54, v23
	v_fma_f32 v20, v54, v22, -v20
	v_mul_f32_e32 v37, v55, v25
	ds_read_b128 v[26:29], v15 offset:1056
	v_add_f32_e32 v38, v30, v21
	v_fmac_f32_e32 v23, v55, v22
	v_mul_f32_e32 v25, v54, v25
	v_fma_f32 v21, v54, v24, -v37
	v_add_f32_e32 v37, v32, v20
	s_waitcnt lgkmcnt(1)
	v_mul_f32_e32 v20, v41, v17
	v_add_f32_e32 v39, v33, v23
	v_fmac_f32_e32 v25, v55, v24
	v_add_f32_e32 v24, v34, v21
	v_mul_f32_e32 v32, v41, v19
	v_fma_f32 v30, v40, v16, -v20
	ds_read2_b64 v[20:23], v14 offset0:160 offset1:176
	v_mul_f32_e32 v34, v40, v17
	v_add_f32_e32 v25, v31, v25
	v_fma_f32 v48, v40, v18, -v32
	v_mul_f32_e32 v40, v40, v19
	v_add_f32_e32 v2, v2, v30
	v_fmac_f32_e32 v34, v41, v16
	ds_read_b128 v[30:33], v15 offset:1072
	s_waitcnt lgkmcnt(2)
	v_mul_f32_e32 v49, v27, v17
	v_mul_f32_e32 v17, v26, v17
	v_fmac_f32_e32 v40, v41, v18
	v_mul_f32_e32 v41, v27, v19
	v_add_f32_e32 v34, v35, v34
	v_add_f32_e32 v35, v36, v48
	v_fma_f32 v36, v26, v16, -v49
	v_fmac_f32_e32 v17, v27, v16
	v_add_f32_e32 v38, v38, v40
	v_mul_f32_e32 v40, v26, v19
	v_fma_f32 v16, v26, v18, -v41
	v_add_f32_e32 v36, v37, v36
	v_add_f32_e32 v26, v39, v17
	s_waitcnt lgkmcnt(1)
	v_mul_f32_e32 v37, v43, v21
	v_fmac_f32_e32 v40, v27, v18
	v_add_f32_e32 v24, v24, v16
	ds_read2_b64 v[16:19], v14 offset0:192 offset1:208
	v_mul_f32_e32 v27, v42, v21
	v_fma_f32 v37, v42, v20, -v37
	v_mul_f32_e32 v39, v43, v23
	v_add_f32_e32 v40, v25, v40
	v_mul_f32_e32 v25, v42, v23
	v_fmac_f32_e32 v27, v43, v20
	v_add_f32_e32 v2, v2, v37
	v_fma_f32 v37, v42, v22, -v39
	v_fmac_f32_e32 v25, v43, v22
	v_add_f32_e32 v34, v34, v27
	v_mul_f32_e32 v27, v29, v21
	v_mul_f32_e32 v21, v28, v21
	v_add_f32_e32 v35, v35, v37
	v_mul_f32_e32 v37, v29, v23
	v_add_f32_e32 v38, v38, v25
	v_fma_f32 v27, v28, v20, -v27
	v_fmac_f32_e32 v21, v29, v20
	v_mul_f32_e32 v20, v28, v23
	v_fma_f32 v23, v28, v22, -v37
	s_waitcnt lgkmcnt(0)
	v_mul_f32_e32 v25, v45, v17
	v_add_f32_e32 v28, v36, v27
	v_add_f32_e32 v21, v26, v21
	v_fmac_f32_e32 v20, v29, v22
	v_add_f32_e32 v22, v24, v23
	v_fma_f32 v29, v44, v16, -v25
	ds_read2_b64 v[24:27], v14 offset0:224 offset1:240
	v_mul_f32_e32 v23, v44, v17
	v_mul_f32_e32 v37, v31, v17
	;; [unrolled: 1-line block ×4, first 2 shown]
	v_add_f32_e32 v2, v2, v29
	v_fmac_f32_e32 v23, v45, v16
	v_mul_f32_e32 v29, v44, v19
	v_fmac_f32_e32 v17, v31, v16
	v_fma_f32 v36, v44, v18, -v36
	v_add_f32_e32 v20, v40, v20
	v_add_f32_e32 v23, v34, v23
	v_fma_f32 v34, v30, v16, -v37
	v_mul_f32_e32 v16, v31, v19
	v_mul_f32_e32 v19, v30, v19
	v_fmac_f32_e32 v29, v45, v18
	v_add_f32_e32 v17, v21, v17
	v_add_f32_e32 v35, v35, v36
	v_fma_f32 v16, v30, v18, -v16
	v_fmac_f32_e32 v19, v31, v18
	s_waitcnt lgkmcnt(0)
	v_mul_f32_e32 v21, v47, v25
	v_mul_f32_e32 v18, v47, v27
	v_add_f32_e32 v28, v28, v34
	v_mul_f32_e32 v30, v46, v25
	v_add_f32_e32 v16, v22, v16
	v_fma_f32 v21, v46, v24, -v21
	v_fma_f32 v18, v46, v26, -v18
	v_mul_f32_e32 v31, v46, v27
	v_add_f32_e32 v34, v20, v19
	v_mul_f32_e32 v19, v32, v25
	v_add_f32_e32 v22, v2, v21
	v_add_f32_e32 v20, v35, v18
	v_mul_f32_e32 v2, v33, v25
	v_mul_f32_e32 v18, v33, v27
	;; [unrolled: 1-line block ×3, first 2 shown]
	v_add_f32_e32 v29, v38, v29
	v_fmac_f32_e32 v30, v47, v24
	v_fmac_f32_e32 v31, v47, v26
	v_fma_f32 v2, v32, v24, -v2
	v_fmac_f32_e32 v19, v33, v24
	v_fma_f32 v24, v32, v26, -v18
	v_fmac_f32_e32 v25, v33, v26
	v_add_f32_e32 v23, v23, v30
	v_add_f32_e32 v21, v29, v31
	v_add_f32_e32 v18, v28, v2
	v_add_f32_e32 v19, v17, v19
	v_add_f32_e32 v16, v16, v24
	v_add_f32_e32 v17, v34, v25
	s_barrier
	buffer_gl0_inv
	s_cbranch_vccz .LBB233_18
.LBB233_8:                              ; =>This Inner Loop Header: Depth=1
	s_mov_b32 s16, 0
	s_mov_b32 s18, s7
	s_and_saveexec_b32 s17, s0
	s_cbranch_execnz .LBB233_16
; %bb.9:                                ;   in Loop: Header=BB233_8 Depth=1
	s_or_b32 exec_lo, exec_lo, s17
	s_and_saveexec_b32 s17, s18
	s_xor_b32 s17, exec_lo, s17
	s_cbranch_execnz .LBB233_17
.LBB233_10:                             ;   in Loop: Header=BB233_8 Depth=1
	s_or_b32 exec_lo, exec_lo, s17
	v_mov_b32_e32 v24, 0
	s_and_saveexec_b32 s17, s16
	s_cbranch_execz .LBB233_12
.LBB233_11:                             ;   in Loop: Header=BB233_8 Depth=1
	v_lshlrev_b64 v[24:25], 3, v[4:5]
	v_add_co_u32 v24, vcc_lo, v9, v24
	v_add_co_ci_u32_e64 v25, null, v10, v25, vcc_lo
	global_load_dwordx2 v[25:26], v[24:25], off
	s_waitcnt vmcnt(0)
	v_xor_b32_e32 v24, 0x80000000, v26
	ds_write_b32 v8, v25
.LBB233_12:                             ;   in Loop: Header=BB233_8 Depth=1
	s_or_b32 exec_lo, exec_lo, s17
	v_add_nc_u32_e32 v2, s2, v6
	ds_write_b32 v8, v24 offset:4
	v_cmp_le_u64_e32 vcc_lo, s[12:13], v[2:3]
	s_or_b32 s16, vcc_lo, s1
	s_and_saveexec_b32 s17, s16
	s_xor_b32 s16, exec_lo, s17
; %bb.13:                               ;   in Loop: Header=BB233_8 Depth=1
	ds_write_b32 v11, v3
; %bb.14:                               ;   in Loop: Header=BB233_8 Depth=1
	s_or_saveexec_b32 s16, s16
	v_mov_b32_e32 v24, 0
	s_xor_b32 exec_lo, exec_lo, s16
	s_cbranch_execz .LBB233_7
; %bb.15:                               ;   in Loop: Header=BB233_8 Depth=1
	v_mad_u64_u32 v[24:25], null, s24, v2, 0
	v_mad_u64_u32 v[25:26], null, s25, v2, v[25:26]
	v_lshlrev_b64 v[24:25], 3, v[24:25]
	v_add_co_u32 v24, vcc_lo, v12, v24
	v_add_co_ci_u32_e64 v25, null, v13, v25, vcc_lo
	global_load_dwordx2 v[25:26], v[24:25], off
	s_waitcnt vmcnt(0)
	v_xor_b32_e32 v24, 0x80000000, v26
	ds_write_b32 v11, v25
	s_branch .LBB233_7
.LBB233_16:                             ;   in Loop: Header=BB233_8 Depth=1
	v_add_nc_u32_e32 v2, s2, v7
	v_mov_b32_e32 v5, v3
	s_andn2_b32 s18, s7, exec_lo
	s_mov_b32 s16, exec_lo
	v_cmp_le_u64_e32 vcc_lo, s[12:13], v[2:3]
	v_mov_b32_e32 v4, v2
	s_and_b32 s19, vcc_lo, exec_lo
	s_or_b32 s18, s18, s19
	s_or_b32 exec_lo, exec_lo, s17
	s_and_saveexec_b32 s17, s18
	s_xor_b32 s17, exec_lo, s17
	s_cbranch_execz .LBB233_10
.LBB233_17:                             ;   in Loop: Header=BB233_8 Depth=1
	s_andn2_b32 s16, s16, exec_lo
	ds_write_b32 v8, v3
	s_or_b32 exec_lo, exec_lo, s17
	v_mov_b32_e32 v24, 0
	s_and_saveexec_b32 s17, s16
	s_cbranch_execnz .LBB233_11
	s_branch .LBB233_12
.LBB233_18:
	v_add_nc_u32_e32 v9, s6, v1
	s_mul_i32 s1, s43, s8
	s_mul_hi_u32 s2, s42, s8
	s_mul_i32 s0, s42, s8
	s_add_i32 s1, s2, s1
	v_ashrrev_i32_e32 v3, 31, v9
	v_mul_lo_u32 v4, s41, v9
	v_mad_u64_u32 v[1:2], null, s40, v9, 0
	v_add_nc_u32_e32 v0, s5, v0
	v_mul_lo_u32 v3, s40, v3
	v_cmp_neq_f32_e64 s2, s10, 0
	s_lshl_b64 s[6:7], s[0:1], 3
	s_add_u32 s3, s38, s6
	s_addc_u32 s5, s39, s7
	s_xor_b32 s6, s9, -1
	v_cmp_le_i32_e32 vcc_lo, v9, v0
	v_add3_u32 v2, v2, v3, v4
	s_waitcnt lgkmcnt(0)
	v_cmp_gt_i32_e64 s0, s4, v0
	s_or_b32 s2, s2, s6
	v_cndmask_b32_e64 v8, 0, 1, s2
	v_lshlrev_b64 v[2:3], 3, v[1:2]
	v_ashrrev_i32_e32 v1, 31, v0
	s_and_b32 s6, vcc_lo, s0
	v_add_co_u32 v6, s1, s3, v2
	v_add_co_ci_u32_e64 v7, null, s5, v3, s1
	s_and_saveexec_b32 s1, s6
	s_cbranch_execz .LBB233_22
; %bb.19:
	v_lshlrev_b64 v[4:5], 3, v[0:1]
	v_mul_f32_e32 v2, s15, v23
	v_mul_f32_e32 v3, s14, v23
	v_fma_f32 v2, v22, s14, -v2
	v_add_co_u32 v4, vcc_lo, v6, v4
	v_fmac_f32_e32 v3, s15, v22
	v_add_co_ci_u32_e64 v5, null, v7, v5, vcc_lo
	s_andn2_b32 vcc_lo, exec_lo, s2
	s_cbranch_vccnz .LBB233_21
; %bb.20:
	global_load_dwordx2 v[10:11], v[4:5], off
	s_waitcnt vmcnt(0)
	v_mul_f32_e32 v12, s11, v11
	v_mul_f32_e32 v11, s10, v11
	v_fma_f32 v12, v10, s10, -v12
	v_fmac_f32_e32 v11, s11, v10
	v_add_f32_e32 v2, v2, v12
	v_add_f32_e32 v3, v3, v11
.LBB233_21:
	global_store_dwordx2 v[4:5], v[2:3], off
.LBB233_22:
	s_or_b32 exec_lo, exec_lo, s1
	v_add_nc_u32_e32 v2, 16, v0
	v_cmp_le_i32_e32 vcc_lo, v9, v2
	v_cmp_gt_i32_e64 s1, s4, v2
	v_ashrrev_i32_e32 v3, 31, v2
	s_and_b32 s2, vcc_lo, s1
	s_and_saveexec_b32 s4, s2
	s_cbranch_execz .LBB233_26
; %bb.23:
	v_lshlrev_b64 v[10:11], 3, v[2:3]
	v_mul_f32_e32 v4, s15, v21
	v_mul_f32_e32 v5, s14, v21
	v_cmp_ne_u32_e32 vcc_lo, 1, v8
	v_fma_f32 v4, v20, s14, -v4
	v_add_co_u32 v6, s2, v6, v10
	v_fmac_f32_e32 v5, s15, v20
	v_add_co_ci_u32_e64 v7, null, v7, v11, s2
	s_cbranch_vccnz .LBB233_25
; %bb.24:
	global_load_dwordx2 v[10:11], v[6:7], off
	s_waitcnt vmcnt(0)
	v_mul_f32_e32 v12, s11, v11
	v_mul_f32_e32 v11, s10, v11
	v_fma_f32 v12, v10, s10, -v12
	v_fmac_f32_e32 v11, s11, v10
	v_add_f32_e32 v4, v4, v12
	v_add_f32_e32 v5, v5, v11
.LBB233_25:
	global_store_dwordx2 v[6:7], v[4:5], off
.LBB233_26:
	s_or_b32 exec_lo, exec_lo, s4
	v_add_nc_u32_e32 v9, 16, v9
	v_ashrrev_i32_e32 v6, 31, v9
	v_mul_lo_u32 v7, s41, v9
	v_mad_u64_u32 v[4:5], null, s40, v9, 0
	v_cmp_le_i32_e32 vcc_lo, v9, v0
	v_mul_lo_u32 v6, s40, v6
	s_and_b32 s0, vcc_lo, s0
	v_add3_u32 v5, v5, v6, v7
	v_lshlrev_b64 v[4:5], 3, v[4:5]
	v_add_co_u32 v6, s2, s3, v4
	v_add_co_ci_u32_e64 v7, null, s5, v5, s2
	s_and_saveexec_b32 s2, s0
	s_cbranch_execz .LBB233_30
; %bb.27:
	v_lshlrev_b64 v[0:1], 3, v[0:1]
	v_mul_f32_e32 v4, s15, v19
	v_mul_f32_e32 v5, s14, v19
	v_cmp_ne_u32_e32 vcc_lo, 1, v8
	v_fma_f32 v4, v18, s14, -v4
	v_add_co_u32 v0, s0, v6, v0
	v_fmac_f32_e32 v5, s15, v18
	v_add_co_ci_u32_e64 v1, null, v7, v1, s0
	s_cbranch_vccnz .LBB233_29
; %bb.28:
	global_load_dwordx2 v[10:11], v[0:1], off
	s_waitcnt vmcnt(0)
	v_mul_f32_e32 v12, s11, v11
	v_mul_f32_e32 v11, s10, v11
	v_fma_f32 v12, v10, s10, -v12
	v_fmac_f32_e32 v11, s11, v10
	v_add_f32_e32 v4, v4, v12
	v_add_f32_e32 v5, v5, v11
.LBB233_29:
	global_store_dwordx2 v[0:1], v[4:5], off
.LBB233_30:
	s_or_b32 exec_lo, exec_lo, s2
	v_cmp_le_i32_e32 vcc_lo, v9, v2
	s_and_b32 s0, vcc_lo, s1
	s_and_saveexec_b32 s1, s0
	s_cbranch_execz .LBB233_34
; %bb.31:
	v_lshlrev_b64 v[2:3], 3, v[2:3]
	v_mul_f32_e32 v0, s15, v17
	v_mul_f32_e32 v1, s14, v17
	v_cmp_ne_u32_e32 vcc_lo, 1, v8
	v_fma_f32 v0, v16, s14, -v0
	v_add_co_u32 v2, s0, v6, v2
	v_fmac_f32_e32 v1, s15, v16
	v_add_co_ci_u32_e64 v3, null, v7, v3, s0
	s_cbranch_vccnz .LBB233_33
; %bb.32:
	global_load_dwordx2 v[4:5], v[2:3], off
	s_waitcnt vmcnt(0)
	v_mul_f32_e32 v6, s11, v5
	v_mul_f32_e32 v5, s10, v5
	v_fma_f32 v6, v4, s10, -v6
	v_fmac_f32_e32 v5, s11, v4
	v_add_f32_e32 v0, v0, v6
	v_add_f32_e32 v1, v1, v5
.LBB233_33:
	global_store_dwordx2 v[2:3], v[0:1], off
.LBB233_34:
	s_endpgm
	.section	.rodata,"a",@progbits
	.p2align	6, 0x0
	.amdhsa_kernel _ZL29rocblas_internal_gemmt_kernelIlLi16ELi32ELi8ELc67ELc67ELc76ELb1ELb1E19rocblas_complex_numIfEPKS1_S3_PS1_EviT_T9_T10_S5_lS7_S5_lS6_T11_S5_li
		.amdhsa_group_segment_fixed_size 4096
		.amdhsa_private_segment_fixed_size 0
		.amdhsa_kernarg_size 108
		.amdhsa_user_sgpr_count 6
		.amdhsa_user_sgpr_private_segment_buffer 1
		.amdhsa_user_sgpr_dispatch_ptr 0
		.amdhsa_user_sgpr_queue_ptr 0
		.amdhsa_user_sgpr_kernarg_segment_ptr 1
		.amdhsa_user_sgpr_dispatch_id 0
		.amdhsa_user_sgpr_flat_scratch_init 0
		.amdhsa_user_sgpr_private_segment_size 0
		.amdhsa_wavefront_size32 1
		.amdhsa_uses_dynamic_stack 0
		.amdhsa_system_sgpr_private_segment_wavefront_offset 0
		.amdhsa_system_sgpr_workgroup_id_x 1
		.amdhsa_system_sgpr_workgroup_id_y 1
		.amdhsa_system_sgpr_workgroup_id_z 1
		.amdhsa_system_sgpr_workgroup_info 0
		.amdhsa_system_vgpr_workitem_id 1
		.amdhsa_next_free_vgpr 61
		.amdhsa_next_free_sgpr 44
		.amdhsa_reserve_vcc 1
		.amdhsa_reserve_flat_scratch 0
		.amdhsa_float_round_mode_32 0
		.amdhsa_float_round_mode_16_64 0
		.amdhsa_float_denorm_mode_32 3
		.amdhsa_float_denorm_mode_16_64 3
		.amdhsa_dx10_clamp 1
		.amdhsa_ieee_mode 1
		.amdhsa_fp16_overflow 0
		.amdhsa_workgroup_processor_mode 1
		.amdhsa_memory_ordered 1
		.amdhsa_forward_progress 1
		.amdhsa_shared_vgpr_count 0
		.amdhsa_exception_fp_ieee_invalid_op 0
		.amdhsa_exception_fp_denorm_src 0
		.amdhsa_exception_fp_ieee_div_zero 0
		.amdhsa_exception_fp_ieee_overflow 0
		.amdhsa_exception_fp_ieee_underflow 0
		.amdhsa_exception_fp_ieee_inexact 0
		.amdhsa_exception_int_div_zero 0
	.end_amdhsa_kernel
	.section	.text._ZL29rocblas_internal_gemmt_kernelIlLi16ELi32ELi8ELc67ELc67ELc76ELb1ELb1E19rocblas_complex_numIfEPKS1_S3_PS1_EviT_T9_T10_S5_lS7_S5_lS6_T11_S5_li,"axG",@progbits,_ZL29rocblas_internal_gemmt_kernelIlLi16ELi32ELi8ELc67ELc67ELc76ELb1ELb1E19rocblas_complex_numIfEPKS1_S3_PS1_EviT_T9_T10_S5_lS7_S5_lS6_T11_S5_li,comdat
.Lfunc_end233:
	.size	_ZL29rocblas_internal_gemmt_kernelIlLi16ELi32ELi8ELc67ELc67ELc76ELb1ELb1E19rocblas_complex_numIfEPKS1_S3_PS1_EviT_T9_T10_S5_lS7_S5_lS6_T11_S5_li, .Lfunc_end233-_ZL29rocblas_internal_gemmt_kernelIlLi16ELi32ELi8ELc67ELc67ELc76ELb1ELb1E19rocblas_complex_numIfEPKS1_S3_PS1_EviT_T9_T10_S5_lS7_S5_lS6_T11_S5_li
                                        ; -- End function
	.set _ZL29rocblas_internal_gemmt_kernelIlLi16ELi32ELi8ELc67ELc67ELc76ELb1ELb1E19rocblas_complex_numIfEPKS1_S3_PS1_EviT_T9_T10_S5_lS7_S5_lS6_T11_S5_li.num_vgpr, 61
	.set _ZL29rocblas_internal_gemmt_kernelIlLi16ELi32ELi8ELc67ELc67ELc76ELb1ELb1E19rocblas_complex_numIfEPKS1_S3_PS1_EviT_T9_T10_S5_lS7_S5_lS6_T11_S5_li.num_agpr, 0
	.set _ZL29rocblas_internal_gemmt_kernelIlLi16ELi32ELi8ELc67ELc67ELc76ELb1ELb1E19rocblas_complex_numIfEPKS1_S3_PS1_EviT_T9_T10_S5_lS7_S5_lS6_T11_S5_li.numbered_sgpr, 44
	.set _ZL29rocblas_internal_gemmt_kernelIlLi16ELi32ELi8ELc67ELc67ELc76ELb1ELb1E19rocblas_complex_numIfEPKS1_S3_PS1_EviT_T9_T10_S5_lS7_S5_lS6_T11_S5_li.num_named_barrier, 0
	.set _ZL29rocblas_internal_gemmt_kernelIlLi16ELi32ELi8ELc67ELc67ELc76ELb1ELb1E19rocblas_complex_numIfEPKS1_S3_PS1_EviT_T9_T10_S5_lS7_S5_lS6_T11_S5_li.private_seg_size, 0
	.set _ZL29rocblas_internal_gemmt_kernelIlLi16ELi32ELi8ELc67ELc67ELc76ELb1ELb1E19rocblas_complex_numIfEPKS1_S3_PS1_EviT_T9_T10_S5_lS7_S5_lS6_T11_S5_li.uses_vcc, 1
	.set _ZL29rocblas_internal_gemmt_kernelIlLi16ELi32ELi8ELc67ELc67ELc76ELb1ELb1E19rocblas_complex_numIfEPKS1_S3_PS1_EviT_T9_T10_S5_lS7_S5_lS6_T11_S5_li.uses_flat_scratch, 0
	.set _ZL29rocblas_internal_gemmt_kernelIlLi16ELi32ELi8ELc67ELc67ELc76ELb1ELb1E19rocblas_complex_numIfEPKS1_S3_PS1_EviT_T9_T10_S5_lS7_S5_lS6_T11_S5_li.has_dyn_sized_stack, 0
	.set _ZL29rocblas_internal_gemmt_kernelIlLi16ELi32ELi8ELc67ELc67ELc76ELb1ELb1E19rocblas_complex_numIfEPKS1_S3_PS1_EviT_T9_T10_S5_lS7_S5_lS6_T11_S5_li.has_recursion, 0
	.set _ZL29rocblas_internal_gemmt_kernelIlLi16ELi32ELi8ELc67ELc67ELc76ELb1ELb1E19rocblas_complex_numIfEPKS1_S3_PS1_EviT_T9_T10_S5_lS7_S5_lS6_T11_S5_li.has_indirect_call, 0
	.section	.AMDGPU.csdata,"",@progbits
; Kernel info:
; codeLenInByte = 2640
; TotalNumSgprs: 46
; NumVgprs: 61
; ScratchSize: 0
; MemoryBound: 0
; FloatMode: 240
; IeeeMode: 1
; LDSByteSize: 4096 bytes/workgroup (compile time only)
; SGPRBlocks: 0
; VGPRBlocks: 7
; NumSGPRsForWavesPerEU: 46
; NumVGPRsForWavesPerEU: 61
; Occupancy: 16
; WaveLimiterHint : 0
; COMPUTE_PGM_RSRC2:SCRATCH_EN: 0
; COMPUTE_PGM_RSRC2:USER_SGPR: 6
; COMPUTE_PGM_RSRC2:TRAP_HANDLER: 0
; COMPUTE_PGM_RSRC2:TGID_X_EN: 1
; COMPUTE_PGM_RSRC2:TGID_Y_EN: 1
; COMPUTE_PGM_RSRC2:TGID_Z_EN: 1
; COMPUTE_PGM_RSRC2:TIDIG_COMP_CNT: 1
	.section	.text._ZL29rocblas_internal_gemmt_kernelIlLi16ELi32ELi8ELc78ELc78ELc85ELb0ELb0E19rocblas_complex_numIfES1_PKS1_PS1_EviT_T9_T10_S5_lS7_S5_lS6_T11_S5_li,"axG",@progbits,_ZL29rocblas_internal_gemmt_kernelIlLi16ELi32ELi8ELc78ELc78ELc85ELb0ELb0E19rocblas_complex_numIfES1_PKS1_PS1_EviT_T9_T10_S5_lS7_S5_lS6_T11_S5_li,comdat
	.globl	_ZL29rocblas_internal_gemmt_kernelIlLi16ELi32ELi8ELc78ELc78ELc85ELb0ELb0E19rocblas_complex_numIfES1_PKS1_PS1_EviT_T9_T10_S5_lS7_S5_lS6_T11_S5_li ; -- Begin function _ZL29rocblas_internal_gemmt_kernelIlLi16ELi32ELi8ELc78ELc78ELc85ELb0ELb0E19rocblas_complex_numIfES1_PKS1_PS1_EviT_T9_T10_S5_lS7_S5_lS6_T11_S5_li
	.p2align	8
	.type	_ZL29rocblas_internal_gemmt_kernelIlLi16ELi32ELi8ELc78ELc78ELc85ELb0ELb0E19rocblas_complex_numIfES1_PKS1_PS1_EviT_T9_T10_S5_lS7_S5_lS6_T11_S5_li,@function
_ZL29rocblas_internal_gemmt_kernelIlLi16ELi32ELi8ELc78ELc78ELc85ELb0ELb0E19rocblas_complex_numIfES1_PKS1_PS1_EviT_T9_T10_S5_lS7_S5_lS6_T11_S5_li: ; @_ZL29rocblas_internal_gemmt_kernelIlLi16ELi32ELi8ELc78ELc78ELc85ELb0ELb0E19rocblas_complex_numIfES1_PKS1_PS1_EviT_T9_T10_S5_lS7_S5_lS6_T11_S5_li
; %bb.0:
	s_clause 0x1
	s_load_dwordx2 s[2:3], s[4:5], 0x48
	s_load_dwordx4 s[20:23], s[4:5], 0x8
	s_waitcnt lgkmcnt(0)
	s_and_b32 s0, s3, 0x7fffffff
	v_cmp_eq_f32_e64 s1, s2, 1.0
	s_cmp_eq_u32 s0, 0
	s_mov_b32 s0, 0
	s_cselect_b32 s10, -1, 0
	s_and_b32 s1, s1, s10
	s_andn2_b32 vcc_lo, exec_lo, s1
	s_mov_b32 s1, -1
	s_cbranch_vccnz .LBB234_4
; %bb.1:
	s_cmp_lg_u64 s[20:21], 0
	s_cbranch_scc0 .LBB234_3
; %bb.2:
	v_cmp_neq_f32_e64 s0, s22, 0
	v_cmp_neq_f32_e64 s1, s23, 0
	s_or_b32 s0, s0, s1
.LBB234_3:
	s_mov_b32 s1, s0
.LBB234_4:
	s_and_b32 vcc_lo, exec_lo, s1
	s_cbranch_vccz .LBB234_34
; %bb.5:
	s_load_dword s9, s[4:5], 0x0
	v_cmp_eq_f32_e64 s0, s22, 0
	v_cmp_eq_f32_e64 s1, s23, 0
	v_cmp_lt_i64_e64 s12, s[20:21], 1
	v_mov_b32_e32 v22, 0
	v_mov_b32_e32 v23, 0
	;; [unrolled: 1-line block ×3, first 2 shown]
	s_and_b32 s0, s0, s1
	v_mov_b32_e32 v21, 0
	v_mov_b32_e32 v18, 0
	;; [unrolled: 1-line block ×5, first 2 shown]
	s_or_b32 s0, s0, s12
	s_lshl_b32 s11, s6, 5
	s_and_b32 vcc_lo, exec_lo, s0
	s_lshl_b32 s28, s7, 5
	s_cbranch_vccnz .LBB234_18
; %bb.6:
	s_load_dwordx4 s[24:27], s[4:5], 0x38
	v_lshl_add_u32 v3, v1, 4, v0
	s_load_dwordx8 s[12:19], s[4:5], 0x18
	v_and_b32_e32 v6, 7, v0
	v_lshlrev_b32_e32 v14, 3, v0
	v_lshl_add_u32 v15, v1, 6, 0x800
	v_lshrrev_b32_e32 v11, 3, v3
	v_and_b32_e32 v4, 31, v3
	v_lshrrev_b32_e32 v7, 5, v3
	v_lshlrev_b32_e32 v13, 3, v6
	v_mov_b32_e32 v17, 0
	v_add_nc_u32_e32 v12, s28, v11
	v_or_b32_e32 v2, s11, v4
	v_lshlrev_b32_e32 v8, 3, v4
	v_lshl_or_b32 v11, v11, 6, v13
	v_mov_b32_e32 v16, 0
	v_ashrrev_i32_e32 v3, 31, v12
	s_waitcnt lgkmcnt(0)
	v_cmp_gt_i32_e64 s0, s9, v2
	v_lshl_or_b32 v8, v7, 8, v8
	v_add_nc_u32_e32 v11, 0x800, v11
	v_mul_lo_u32 v10, s25, v12
	v_mul_lo_u32 v9, s24, v3
	v_mad_u64_u32 v[4:5], null, s24, v12, 0
	s_mul_i32 s1, s27, s8
	s_mul_hi_u32 s7, s26, s8
	s_mul_i32 s6, s26, s8
	s_add_i32 s7, s7, s1
	v_ashrrev_i32_e32 v3, 31, v2
	s_lshl_b64 s[6:7], s[6:7], 3
	s_mul_i32 s17, s17, s8
	s_mul_hi_u32 s26, s16, s8
	s_add_u32 s1, s18, s6
	v_add3_u32 v5, v5, v9, v10
	s_mul_i32 s16, s16, s8
	s_addc_u32 s18, s19, s7
	s_add_i32 s17, s26, s17
	v_lshlrev_b64 v[9:10], 3, v[2:3]
	s_lshl_b64 s[6:7], s[16:17], 3
	v_mov_b32_e32 v19, 0
	s_add_u32 s6, s12, s6
	v_cmp_le_i32_e64 s12, s9, v2
	v_lshlrev_b64 v[2:3], 3, v[4:5]
	s_addc_u32 s7, s13, s7
	v_add_co_u32 v9, vcc_lo, s6, v9
	v_add_co_ci_u32_e64 v10, null, s7, v10, vcc_lo
	v_cmp_gt_i32_e32 vcc_lo, s9, v12
	v_add_co_u32 v12, s1, s1, v2
	v_add_co_ci_u32_e64 v13, null, s18, v3, s1
	v_mov_b32_e32 v3, 0
	v_mov_b32_e32 v18, 0
	;; [unrolled: 1-line block ×6, first 2 shown]
	s_mov_b64 s[6:7], 0
	s_xor_b32 s1, vcc_lo, -1
                                        ; implicit-def: $vgpr4_vgpr5
	s_branch .LBB234_8
.LBB234_7:                              ;   in Loop: Header=BB234_8 Depth=1
	s_or_b32 exec_lo, exec_lo, s13
	s_waitcnt lgkmcnt(0)
	s_barrier
	buffer_gl0_inv
	ds_read_b128 v[24:27], v15
	ds_read2_b64 v[28:31], v14 offset1:16
	ds_read_b128 v[32:35], v15 offset:1024
	ds_read_b128 v[36:39], v15 offset:16
	ds_read_b128 v[40:43], v15 offset:32
	ds_read_b128 v[44:47], v15 offset:48
	ds_read2_b64 v[48:51], v14 offset0:32 offset1:48
	ds_read_b128 v[52:55], v15 offset:1040
	s_add_u32 s6, s6, 8
	s_addc_u32 s7, s7, 0
	v_cmp_gt_i64_e64 s13, s[20:21], s[6:7]
	s_and_b32 vcc_lo, exec_lo, s13
	s_waitcnt lgkmcnt(6)
	v_mul_f32_e32 v2, v25, v29
	v_mul_f32_e32 v56, v24, v29
	v_mul_f32_e32 v57, v25, v31
	v_mul_f32_e32 v58, v24, v31
	s_waitcnt lgkmcnt(5)
	v_mul_f32_e32 v59, v33, v29
	v_mul_f32_e32 v29, v32, v29
	;; [unrolled: 1-line block ×3, first 2 shown]
	v_fma_f32 v2, v24, v28, -v2
	v_fmac_f32_e32 v56, v25, v28
	v_fma_f32 v24, v24, v30, -v57
	v_fmac_f32_e32 v58, v25, v30
	;; [unrolled: 2-line block ×3, first 2 shown]
	v_mul_f32_e32 v31, v32, v31
	v_fma_f32 v28, v32, v30, -v60
	v_add_f32_e32 v2, v22, v2
	v_add_f32_e32 v22, v23, v56
	v_add_f32_e32 v23, v20, v24
	v_add_f32_e32 v24, v21, v58
	v_add_f32_e32 v25, v18, v25
	v_add_f32_e32 v29, v19, v29
	s_waitcnt lgkmcnt(1)
	v_mul_f32_e32 v32, v27, v49
	ds_read2_b64 v[18:21], v14 offset0:64 offset1:80
	v_fmac_f32_e32 v31, v33, v30
	v_add_f32_e32 v16, v16, v28
	v_mul_f32_e32 v28, v26, v49
	v_fma_f32 v30, v26, v48, -v32
	v_mul_f32_e32 v32, v27, v51
	v_add_f32_e32 v17, v17, v31
	v_mul_f32_e32 v31, v26, v51
	v_fmac_f32_e32 v28, v27, v48
	v_add_f32_e32 v2, v2, v30
	v_fma_f32 v26, v26, v50, -v32
	v_mul_f32_e32 v30, v35, v49
	v_fmac_f32_e32 v31, v27, v50
	v_add_f32_e32 v28, v22, v28
	v_mul_f32_e32 v22, v34, v49
	v_add_f32_e32 v26, v23, v26
	v_fma_f32 v23, v34, v48, -v30
	v_mul_f32_e32 v27, v35, v51
	v_add_f32_e32 v30, v24, v31
	v_fmac_f32_e32 v22, v35, v48
	v_mul_f32_e32 v31, v34, v51
	v_add_f32_e32 v32, v25, v23
	v_fma_f32 v23, v34, v50, -v27
	s_waitcnt lgkmcnt(0)
	v_mul_f32_e32 v24, v37, v19
	v_add_f32_e32 v27, v29, v22
	v_fmac_f32_e32 v31, v35, v50
	v_mul_f32_e32 v29, v36, v19
	v_add_f32_e32 v16, v16, v23
	v_fma_f32 v33, v36, v18, -v24
	v_mul_f32_e32 v34, v37, v21
	ds_read2_b64 v[22:25], v14 offset0:96 offset1:112
	v_fmac_f32_e32 v29, v37, v18
	v_add_f32_e32 v31, v17, v31
	v_add_f32_e32 v2, v2, v33
	v_mul_f32_e32 v17, v36, v21
	v_fma_f32 v33, v36, v20, -v34
	v_add_f32_e32 v28, v28, v29
	v_mul_f32_e32 v29, v53, v19
	v_mul_f32_e32 v19, v52, v19
	v_fmac_f32_e32 v17, v37, v20
	v_add_f32_e32 v26, v26, v33
	v_mul_f32_e32 v33, v53, v21
	v_mul_f32_e32 v21, v52, v21
	v_fmac_f32_e32 v19, v53, v18
	v_add_f32_e32 v30, v30, v17
	v_fma_f32 v29, v52, v18, -v29
	v_fma_f32 v17, v52, v20, -v33
	v_fmac_f32_e32 v21, v53, v20
	v_add_f32_e32 v33, v27, v19
	s_waitcnt lgkmcnt(0)
	v_mul_f32_e32 v20, v39, v23
	v_add_f32_e32 v34, v16, v17
	ds_read2_b64 v[16:19], v14 offset0:128 offset1:144
	v_add_f32_e32 v32, v32, v29
	v_mul_f32_e32 v27, v38, v23
	v_mul_f32_e32 v29, v39, v25
	v_fma_f32 v20, v38, v22, -v20
	v_add_f32_e32 v31, v31, v21
	v_mul_f32_e32 v21, v38, v25
	v_fmac_f32_e32 v27, v39, v22
	v_fma_f32 v29, v38, v24, -v29
	v_add_f32_e32 v2, v2, v20
	v_mul_f32_e32 v20, v55, v23
	v_fmac_f32_e32 v21, v39, v24
	v_add_f32_e32 v35, v28, v27
	v_add_f32_e32 v36, v26, v29
	v_mul_f32_e32 v23, v54, v23
	v_fma_f32 v20, v54, v22, -v20
	v_mul_f32_e32 v37, v55, v25
	ds_read_b128 v[26:29], v15 offset:1056
	v_add_f32_e32 v38, v30, v21
	v_fmac_f32_e32 v23, v55, v22
	v_mul_f32_e32 v25, v54, v25
	v_fma_f32 v21, v54, v24, -v37
	v_add_f32_e32 v37, v32, v20
	s_waitcnt lgkmcnt(1)
	v_mul_f32_e32 v20, v41, v17
	v_add_f32_e32 v39, v33, v23
	v_fmac_f32_e32 v25, v55, v24
	v_add_f32_e32 v24, v34, v21
	v_mul_f32_e32 v32, v41, v19
	v_fma_f32 v30, v40, v16, -v20
	ds_read2_b64 v[20:23], v14 offset0:160 offset1:176
	v_mul_f32_e32 v34, v40, v17
	v_add_f32_e32 v25, v31, v25
	v_fma_f32 v48, v40, v18, -v32
	v_mul_f32_e32 v40, v40, v19
	v_add_f32_e32 v2, v2, v30
	v_fmac_f32_e32 v34, v41, v16
	ds_read_b128 v[30:33], v15 offset:1072
	s_waitcnt lgkmcnt(2)
	v_mul_f32_e32 v49, v27, v17
	v_mul_f32_e32 v17, v26, v17
	v_fmac_f32_e32 v40, v41, v18
	v_mul_f32_e32 v41, v27, v19
	v_add_f32_e32 v34, v35, v34
	v_add_f32_e32 v35, v36, v48
	v_fma_f32 v36, v26, v16, -v49
	v_fmac_f32_e32 v17, v27, v16
	v_add_f32_e32 v38, v38, v40
	v_mul_f32_e32 v40, v26, v19
	v_fma_f32 v16, v26, v18, -v41
	v_add_f32_e32 v36, v37, v36
	v_add_f32_e32 v26, v39, v17
	s_waitcnt lgkmcnt(1)
	v_mul_f32_e32 v37, v43, v21
	v_fmac_f32_e32 v40, v27, v18
	v_add_f32_e32 v24, v24, v16
	ds_read2_b64 v[16:19], v14 offset0:192 offset1:208
	v_mul_f32_e32 v27, v42, v21
	v_fma_f32 v37, v42, v20, -v37
	v_mul_f32_e32 v39, v43, v23
	v_add_f32_e32 v40, v25, v40
	v_mul_f32_e32 v25, v42, v23
	v_fmac_f32_e32 v27, v43, v20
	v_add_f32_e32 v2, v2, v37
	v_fma_f32 v37, v42, v22, -v39
	v_fmac_f32_e32 v25, v43, v22
	v_add_f32_e32 v34, v34, v27
	v_mul_f32_e32 v27, v29, v21
	v_mul_f32_e32 v21, v28, v21
	v_add_f32_e32 v35, v35, v37
	v_mul_f32_e32 v37, v29, v23
	v_add_f32_e32 v38, v38, v25
	v_fma_f32 v27, v28, v20, -v27
	v_fmac_f32_e32 v21, v29, v20
	v_mul_f32_e32 v20, v28, v23
	v_fma_f32 v23, v28, v22, -v37
	s_waitcnt lgkmcnt(0)
	v_mul_f32_e32 v25, v45, v17
	v_add_f32_e32 v28, v36, v27
	v_add_f32_e32 v21, v26, v21
	v_fmac_f32_e32 v20, v29, v22
	v_add_f32_e32 v22, v24, v23
	v_fma_f32 v29, v44, v16, -v25
	ds_read2_b64 v[24:27], v14 offset0:224 offset1:240
	v_mul_f32_e32 v23, v44, v17
	v_mul_f32_e32 v37, v31, v17
	;; [unrolled: 1-line block ×4, first 2 shown]
	v_add_f32_e32 v2, v2, v29
	v_fmac_f32_e32 v23, v45, v16
	v_mul_f32_e32 v29, v44, v19
	v_fmac_f32_e32 v17, v31, v16
	v_fma_f32 v36, v44, v18, -v36
	v_add_f32_e32 v20, v40, v20
	v_add_f32_e32 v23, v34, v23
	v_fma_f32 v34, v30, v16, -v37
	v_mul_f32_e32 v16, v31, v19
	v_mul_f32_e32 v19, v30, v19
	v_fmac_f32_e32 v29, v45, v18
	v_add_f32_e32 v17, v21, v17
	v_add_f32_e32 v35, v35, v36
	v_fma_f32 v16, v30, v18, -v16
	v_fmac_f32_e32 v19, v31, v18
	s_waitcnt lgkmcnt(0)
	v_mul_f32_e32 v21, v47, v25
	v_mul_f32_e32 v18, v47, v27
	v_add_f32_e32 v28, v28, v34
	v_mul_f32_e32 v30, v46, v25
	v_add_f32_e32 v16, v22, v16
	v_fma_f32 v21, v46, v24, -v21
	v_fma_f32 v18, v46, v26, -v18
	v_mul_f32_e32 v31, v46, v27
	v_add_f32_e32 v34, v20, v19
	v_mul_f32_e32 v19, v32, v25
	v_add_f32_e32 v22, v2, v21
	v_add_f32_e32 v20, v35, v18
	v_mul_f32_e32 v2, v33, v25
	v_mul_f32_e32 v18, v33, v27
	;; [unrolled: 1-line block ×3, first 2 shown]
	v_add_f32_e32 v29, v38, v29
	v_fmac_f32_e32 v30, v47, v24
	v_fmac_f32_e32 v31, v47, v26
	v_fma_f32 v2, v32, v24, -v2
	v_fmac_f32_e32 v19, v33, v24
	v_fma_f32 v24, v32, v26, -v18
	v_fmac_f32_e32 v25, v33, v26
	v_add_f32_e32 v23, v23, v30
	v_add_f32_e32 v21, v29, v31
	;; [unrolled: 1-line block ×6, first 2 shown]
	s_barrier
	buffer_gl0_inv
	s_cbranch_vccz .LBB234_18
.LBB234_8:                              ; =>This Inner Loop Header: Depth=1
	s_mov_b32 s17, s12
	s_mov_b32 s13, 0
	s_and_saveexec_b32 s16, s0
	s_cbranch_execnz .LBB234_16
; %bb.9:                                ;   in Loop: Header=BB234_8 Depth=1
	s_or_b32 exec_lo, exec_lo, s16
	s_and_saveexec_b32 s16, s17
	s_xor_b32 s16, exec_lo, s16
	s_cbranch_execnz .LBB234_17
.LBB234_10:                             ;   in Loop: Header=BB234_8 Depth=1
	s_or_b32 exec_lo, exec_lo, s16
	s_and_saveexec_b32 s16, s13
	s_cbranch_execz .LBB234_12
.LBB234_11:                             ;   in Loop: Header=BB234_8 Depth=1
	v_mul_lo_u32 v2, s15, v4
	v_mul_lo_u32 v26, s14, v5
	v_mad_u64_u32 v[24:25], null, s14, v4, 0
	v_add3_u32 v25, v25, v26, v2
	v_lshlrev_b64 v[24:25], 3, v[24:25]
	v_add_co_u32 v24, vcc_lo, v9, v24
	v_add_co_ci_u32_e64 v25, null, v10, v25, vcc_lo
	global_load_dwordx2 v[24:25], v[24:25], off
	s_waitcnt vmcnt(0)
	ds_write_b64 v8, v[24:25]
.LBB234_12:                             ;   in Loop: Header=BB234_8 Depth=1
	s_or_b32 exec_lo, exec_lo, s16
	v_add_nc_u32_e32 v2, s6, v6
	v_cmp_le_u64_e32 vcc_lo, s[20:21], v[2:3]
	s_or_b32 s13, vcc_lo, s1
	s_and_saveexec_b32 s16, s13
	s_xor_b32 s13, exec_lo, s16
; %bb.13:                               ;   in Loop: Header=BB234_8 Depth=1
	v_mov_b32_e32 v2, v3
	ds_write_b64 v11, v[2:3]
; %bb.14:                               ;   in Loop: Header=BB234_8 Depth=1
	s_andn2_saveexec_b32 s13, s13
	s_cbranch_execz .LBB234_7
; %bb.15:                               ;   in Loop: Header=BB234_8 Depth=1
	v_lshlrev_b64 v[24:25], 3, v[2:3]
	v_add_co_u32 v24, vcc_lo, v12, v24
	v_add_co_ci_u32_e64 v25, null, v13, v25, vcc_lo
	global_load_dwordx2 v[24:25], v[24:25], off
	s_waitcnt vmcnt(0)
	ds_write_b64 v11, v[24:25]
	s_branch .LBB234_7
.LBB234_16:                             ;   in Loop: Header=BB234_8 Depth=1
	v_add_nc_u32_e32 v2, s6, v7
	v_mov_b32_e32 v5, v3
	s_andn2_b32 s17, s12, exec_lo
	s_mov_b32 s13, exec_lo
	v_cmp_le_u64_e32 vcc_lo, s[20:21], v[2:3]
	v_mov_b32_e32 v4, v2
	s_and_b32 s18, vcc_lo, exec_lo
	s_or_b32 s17, s17, s18
	s_or_b32 exec_lo, exec_lo, s16
	s_and_saveexec_b32 s16, s17
	s_xor_b32 s16, exec_lo, s16
	s_cbranch_execz .LBB234_10
.LBB234_17:                             ;   in Loop: Header=BB234_8 Depth=1
	v_mov_b32_e32 v2, v3
	s_andn2_b32 s13, s13, exec_lo
	ds_write_b64 v8, v[2:3]
	s_or_b32 exec_lo, exec_lo, s16
	s_and_saveexec_b32 s16, s13
	s_cbranch_execnz .LBB234_11
	s_branch .LBB234_12
.LBB234_18:
	s_clause 0x1
	s_load_dwordx4 s[12:15], s[4:5], 0x50
	s_load_dwordx2 s[4:5], s[4:5], 0x60
	v_add_nc_u32_e32 v9, s28, v1
	v_add_nc_u32_e32 v0, s11, v0
	v_cmp_neq_f32_e64 s6, s2, 0
	v_ashrrev_i32_e32 v1, 31, v9
	s_waitcnt lgkmcnt(0)
	v_cmp_gt_i32_e64 s0, s9, v9
	v_cmp_le_i32_e32 vcc_lo, v0, v9
	v_mul_lo_u32 v3, s14, v1
	v_mul_lo_u32 v4, s15, v9
	v_mad_u64_u32 v[1:2], null, s14, v9, 0
	s_mul_i32 s1, s5, s8
	s_mul_hi_u32 s5, s4, s8
	s_mul_i32 s4, s4, s8
	s_add_i32 s5, s5, s1
	s_lshl_b64 s[4:5], s[4:5], 3
	v_add3_u32 v2, v2, v3, v4
	s_add_u32 s4, s12, s4
	s_addc_u32 s5, s13, s5
	s_xor_b32 s7, s10, -1
	v_lshlrev_b64 v[2:3], 3, v[1:2]
	s_or_b32 s6, s6, s7
	v_ashrrev_i32_e32 v1, 31, v0
	v_cndmask_b32_e64 v8, 0, 1, s6
	s_and_b32 s7, s0, vcc_lo
	v_add_co_u32 v6, s1, s4, v2
	v_add_co_ci_u32_e64 v7, null, s5, v3, s1
	s_and_saveexec_b32 s1, s7
	s_cbranch_execz .LBB234_22
; %bb.19:
	v_lshlrev_b64 v[4:5], 3, v[0:1]
	v_mul_f32_e32 v2, s23, v23
	v_mul_f32_e32 v3, s22, v23
	v_fma_f32 v2, v22, s22, -v2
	v_add_co_u32 v4, vcc_lo, v6, v4
	v_fmac_f32_e32 v3, s23, v22
	v_add_co_ci_u32_e64 v5, null, v7, v5, vcc_lo
	s_andn2_b32 vcc_lo, exec_lo, s6
	s_cbranch_vccnz .LBB234_21
; %bb.20:
	global_load_dwordx2 v[10:11], v[4:5], off
	s_waitcnt vmcnt(0)
	v_mul_f32_e32 v12, s3, v11
	v_mul_f32_e32 v11, s2, v11
	v_fma_f32 v12, v10, s2, -v12
	v_fmac_f32_e32 v11, s3, v10
	v_add_f32_e32 v2, v2, v12
	v_add_f32_e32 v3, v3, v11
.LBB234_21:
	global_store_dwordx2 v[4:5], v[2:3], off
.LBB234_22:
	s_or_b32 exec_lo, exec_lo, s1
	v_add_nc_u32_e32 v2, 16, v0
	v_cmp_le_i32_e32 vcc_lo, v2, v9
	v_ashrrev_i32_e32 v3, 31, v2
	s_and_b32 s0, s0, vcc_lo
	s_and_saveexec_b32 s1, s0
	s_cbranch_execz .LBB234_26
; %bb.23:
	v_lshlrev_b64 v[10:11], 3, v[2:3]
	v_mul_f32_e32 v4, s23, v21
	v_mul_f32_e32 v5, s22, v21
	v_cmp_ne_u32_e32 vcc_lo, 1, v8
	v_fma_f32 v4, v20, s22, -v4
	v_add_co_u32 v6, s0, v6, v10
	v_fmac_f32_e32 v5, s23, v20
	v_add_co_ci_u32_e64 v7, null, v7, v11, s0
	s_cbranch_vccnz .LBB234_25
; %bb.24:
	global_load_dwordx2 v[10:11], v[6:7], off
	s_waitcnt vmcnt(0)
	v_mul_f32_e32 v12, s3, v11
	v_mul_f32_e32 v11, s2, v11
	v_fma_f32 v12, v10, s2, -v12
	v_fmac_f32_e32 v11, s3, v10
	v_add_f32_e32 v4, v4, v12
	v_add_f32_e32 v5, v5, v11
.LBB234_25:
	global_store_dwordx2 v[6:7], v[4:5], off
.LBB234_26:
	s_or_b32 exec_lo, exec_lo, s1
	v_add_nc_u32_e32 v9, 16, v9
	v_ashrrev_i32_e32 v6, 31, v9
	v_mul_lo_u32 v7, s15, v9
	v_mad_u64_u32 v[4:5], null, s14, v9, 0
	v_cmp_gt_i32_e64 s0, s9, v9
	v_mul_lo_u32 v6, s14, v6
	v_cmp_le_i32_e32 vcc_lo, v0, v9
	v_add3_u32 v5, v5, v6, v7
	v_lshlrev_b64 v[4:5], 3, v[4:5]
	v_add_co_u32 v6, s1, s4, v4
	v_add_co_ci_u32_e64 v7, null, s5, v5, s1
	s_and_b32 s1, s0, vcc_lo
	s_and_saveexec_b32 s4, s1
	s_cbranch_execz .LBB234_30
; %bb.27:
	v_lshlrev_b64 v[0:1], 3, v[0:1]
	v_mul_f32_e32 v4, s23, v19
	v_mul_f32_e32 v5, s22, v19
	v_cmp_ne_u32_e32 vcc_lo, 1, v8
	v_fma_f32 v4, v18, s22, -v4
	v_add_co_u32 v0, s1, v6, v0
	v_fmac_f32_e32 v5, s23, v18
	v_add_co_ci_u32_e64 v1, null, v7, v1, s1
	s_cbranch_vccnz .LBB234_29
; %bb.28:
	global_load_dwordx2 v[10:11], v[0:1], off
	s_waitcnt vmcnt(0)
	v_mul_f32_e32 v12, s3, v11
	v_mul_f32_e32 v11, s2, v11
	v_fma_f32 v12, v10, s2, -v12
	v_fmac_f32_e32 v11, s3, v10
	v_add_f32_e32 v4, v4, v12
	v_add_f32_e32 v5, v5, v11
.LBB234_29:
	global_store_dwordx2 v[0:1], v[4:5], off
.LBB234_30:
	s_or_b32 exec_lo, exec_lo, s4
	v_cmp_le_i32_e32 vcc_lo, v2, v9
	s_and_b32 s0, s0, vcc_lo
	s_and_saveexec_b32 s1, s0
	s_cbranch_execz .LBB234_34
; %bb.31:
	v_lshlrev_b64 v[2:3], 3, v[2:3]
	v_mul_f32_e32 v0, s23, v17
	v_mul_f32_e32 v1, s22, v17
	v_cmp_ne_u32_e32 vcc_lo, 1, v8
	v_fma_f32 v0, v16, s22, -v0
	v_add_co_u32 v2, s0, v6, v2
	v_fmac_f32_e32 v1, s23, v16
	v_add_co_ci_u32_e64 v3, null, v7, v3, s0
	s_cbranch_vccnz .LBB234_33
; %bb.32:
	global_load_dwordx2 v[4:5], v[2:3], off
	s_waitcnt vmcnt(0)
	v_mul_f32_e32 v6, s3, v5
	v_mul_f32_e32 v5, s2, v5
	v_fma_f32 v6, v4, s2, -v6
	v_fmac_f32_e32 v5, s3, v4
	v_add_f32_e32 v0, v0, v6
	v_add_f32_e32 v1, v1, v5
.LBB234_33:
	global_store_dwordx2 v[2:3], v[0:1], off
.LBB234_34:
	s_endpgm
	.section	.rodata,"a",@progbits
	.p2align	6, 0x0
	.amdhsa_kernel _ZL29rocblas_internal_gemmt_kernelIlLi16ELi32ELi8ELc78ELc78ELc85ELb0ELb0E19rocblas_complex_numIfES1_PKS1_PS1_EviT_T9_T10_S5_lS7_S5_lS6_T11_S5_li
		.amdhsa_group_segment_fixed_size 4096
		.amdhsa_private_segment_fixed_size 0
		.amdhsa_kernarg_size 108
		.amdhsa_user_sgpr_count 6
		.amdhsa_user_sgpr_private_segment_buffer 1
		.amdhsa_user_sgpr_dispatch_ptr 0
		.amdhsa_user_sgpr_queue_ptr 0
		.amdhsa_user_sgpr_kernarg_segment_ptr 1
		.amdhsa_user_sgpr_dispatch_id 0
		.amdhsa_user_sgpr_flat_scratch_init 0
		.amdhsa_user_sgpr_private_segment_size 0
		.amdhsa_wavefront_size32 1
		.amdhsa_uses_dynamic_stack 0
		.amdhsa_system_sgpr_private_segment_wavefront_offset 0
		.amdhsa_system_sgpr_workgroup_id_x 1
		.amdhsa_system_sgpr_workgroup_id_y 1
		.amdhsa_system_sgpr_workgroup_id_z 1
		.amdhsa_system_sgpr_workgroup_info 0
		.amdhsa_system_vgpr_workitem_id 1
		.amdhsa_next_free_vgpr 61
		.amdhsa_next_free_sgpr 29
		.amdhsa_reserve_vcc 1
		.amdhsa_reserve_flat_scratch 0
		.amdhsa_float_round_mode_32 0
		.amdhsa_float_round_mode_16_64 0
		.amdhsa_float_denorm_mode_32 3
		.amdhsa_float_denorm_mode_16_64 3
		.amdhsa_dx10_clamp 1
		.amdhsa_ieee_mode 1
		.amdhsa_fp16_overflow 0
		.amdhsa_workgroup_processor_mode 1
		.amdhsa_memory_ordered 1
		.amdhsa_forward_progress 1
		.amdhsa_shared_vgpr_count 0
		.amdhsa_exception_fp_ieee_invalid_op 0
		.amdhsa_exception_fp_denorm_src 0
		.amdhsa_exception_fp_ieee_div_zero 0
		.amdhsa_exception_fp_ieee_overflow 0
		.amdhsa_exception_fp_ieee_underflow 0
		.amdhsa_exception_fp_ieee_inexact 0
		.amdhsa_exception_int_div_zero 0
	.end_amdhsa_kernel
	.section	.text._ZL29rocblas_internal_gemmt_kernelIlLi16ELi32ELi8ELc78ELc78ELc85ELb0ELb0E19rocblas_complex_numIfES1_PKS1_PS1_EviT_T9_T10_S5_lS7_S5_lS6_T11_S5_li,"axG",@progbits,_ZL29rocblas_internal_gemmt_kernelIlLi16ELi32ELi8ELc78ELc78ELc85ELb0ELb0E19rocblas_complex_numIfES1_PKS1_PS1_EviT_T9_T10_S5_lS7_S5_lS6_T11_S5_li,comdat
.Lfunc_end234:
	.size	_ZL29rocblas_internal_gemmt_kernelIlLi16ELi32ELi8ELc78ELc78ELc85ELb0ELb0E19rocblas_complex_numIfES1_PKS1_PS1_EviT_T9_T10_S5_lS7_S5_lS6_T11_S5_li, .Lfunc_end234-_ZL29rocblas_internal_gemmt_kernelIlLi16ELi32ELi8ELc78ELc78ELc85ELb0ELb0E19rocblas_complex_numIfES1_PKS1_PS1_EviT_T9_T10_S5_lS7_S5_lS6_T11_S5_li
                                        ; -- End function
	.set _ZL29rocblas_internal_gemmt_kernelIlLi16ELi32ELi8ELc78ELc78ELc85ELb0ELb0E19rocblas_complex_numIfES1_PKS1_PS1_EviT_T9_T10_S5_lS7_S5_lS6_T11_S5_li.num_vgpr, 61
	.set _ZL29rocblas_internal_gemmt_kernelIlLi16ELi32ELi8ELc78ELc78ELc85ELb0ELb0E19rocblas_complex_numIfES1_PKS1_PS1_EviT_T9_T10_S5_lS7_S5_lS6_T11_S5_li.num_agpr, 0
	.set _ZL29rocblas_internal_gemmt_kernelIlLi16ELi32ELi8ELc78ELc78ELc85ELb0ELb0E19rocblas_complex_numIfES1_PKS1_PS1_EviT_T9_T10_S5_lS7_S5_lS6_T11_S5_li.numbered_sgpr, 29
	.set _ZL29rocblas_internal_gemmt_kernelIlLi16ELi32ELi8ELc78ELc78ELc85ELb0ELb0E19rocblas_complex_numIfES1_PKS1_PS1_EviT_T9_T10_S5_lS7_S5_lS6_T11_S5_li.num_named_barrier, 0
	.set _ZL29rocblas_internal_gemmt_kernelIlLi16ELi32ELi8ELc78ELc78ELc85ELb0ELb0E19rocblas_complex_numIfES1_PKS1_PS1_EviT_T9_T10_S5_lS7_S5_lS6_T11_S5_li.private_seg_size, 0
	.set _ZL29rocblas_internal_gemmt_kernelIlLi16ELi32ELi8ELc78ELc78ELc85ELb0ELb0E19rocblas_complex_numIfES1_PKS1_PS1_EviT_T9_T10_S5_lS7_S5_lS6_T11_S5_li.uses_vcc, 1
	.set _ZL29rocblas_internal_gemmt_kernelIlLi16ELi32ELi8ELc78ELc78ELc85ELb0ELb0E19rocblas_complex_numIfES1_PKS1_PS1_EviT_T9_T10_S5_lS7_S5_lS6_T11_S5_li.uses_flat_scratch, 0
	.set _ZL29rocblas_internal_gemmt_kernelIlLi16ELi32ELi8ELc78ELc78ELc85ELb0ELb0E19rocblas_complex_numIfES1_PKS1_PS1_EviT_T9_T10_S5_lS7_S5_lS6_T11_S5_li.has_dyn_sized_stack, 0
	.set _ZL29rocblas_internal_gemmt_kernelIlLi16ELi32ELi8ELc78ELc78ELc85ELb0ELb0E19rocblas_complex_numIfES1_PKS1_PS1_EviT_T9_T10_S5_lS7_S5_lS6_T11_S5_li.has_recursion, 0
	.set _ZL29rocblas_internal_gemmt_kernelIlLi16ELi32ELi8ELc78ELc78ELc85ELb0ELb0E19rocblas_complex_numIfES1_PKS1_PS1_EviT_T9_T10_S5_lS7_S5_lS6_T11_S5_li.has_indirect_call, 0
	.section	.AMDGPU.csdata,"",@progbits
; Kernel info:
; codeLenInByte = 2636
; TotalNumSgprs: 31
; NumVgprs: 61
; ScratchSize: 0
; MemoryBound: 0
; FloatMode: 240
; IeeeMode: 1
; LDSByteSize: 4096 bytes/workgroup (compile time only)
; SGPRBlocks: 0
; VGPRBlocks: 7
; NumSGPRsForWavesPerEU: 31
; NumVGPRsForWavesPerEU: 61
; Occupancy: 16
; WaveLimiterHint : 0
; COMPUTE_PGM_RSRC2:SCRATCH_EN: 0
; COMPUTE_PGM_RSRC2:USER_SGPR: 6
; COMPUTE_PGM_RSRC2:TRAP_HANDLER: 0
; COMPUTE_PGM_RSRC2:TGID_X_EN: 1
; COMPUTE_PGM_RSRC2:TGID_Y_EN: 1
; COMPUTE_PGM_RSRC2:TGID_Z_EN: 1
; COMPUTE_PGM_RSRC2:TIDIG_COMP_CNT: 1
	.section	.text._ZL29rocblas_internal_gemmt_kernelIlLi16ELi32ELi8ELc78ELc84ELc85ELb0ELb0E19rocblas_complex_numIfES1_PKS1_PS1_EviT_T9_T10_S5_lS7_S5_lS6_T11_S5_li,"axG",@progbits,_ZL29rocblas_internal_gemmt_kernelIlLi16ELi32ELi8ELc78ELc84ELc85ELb0ELb0E19rocblas_complex_numIfES1_PKS1_PS1_EviT_T9_T10_S5_lS7_S5_lS6_T11_S5_li,comdat
	.globl	_ZL29rocblas_internal_gemmt_kernelIlLi16ELi32ELi8ELc78ELc84ELc85ELb0ELb0E19rocblas_complex_numIfES1_PKS1_PS1_EviT_T9_T10_S5_lS7_S5_lS6_T11_S5_li ; -- Begin function _ZL29rocblas_internal_gemmt_kernelIlLi16ELi32ELi8ELc78ELc84ELc85ELb0ELb0E19rocblas_complex_numIfES1_PKS1_PS1_EviT_T9_T10_S5_lS7_S5_lS6_T11_S5_li
	.p2align	8
	.type	_ZL29rocblas_internal_gemmt_kernelIlLi16ELi32ELi8ELc78ELc84ELc85ELb0ELb0E19rocblas_complex_numIfES1_PKS1_PS1_EviT_T9_T10_S5_lS7_S5_lS6_T11_S5_li,@function
_ZL29rocblas_internal_gemmt_kernelIlLi16ELi32ELi8ELc78ELc84ELc85ELb0ELb0E19rocblas_complex_numIfES1_PKS1_PS1_EviT_T9_T10_S5_lS7_S5_lS6_T11_S5_li: ; @_ZL29rocblas_internal_gemmt_kernelIlLi16ELi32ELi8ELc78ELc84ELc85ELb0ELb0E19rocblas_complex_numIfES1_PKS1_PS1_EviT_T9_T10_S5_lS7_S5_lS6_T11_S5_li
; %bb.0:
	s_clause 0x1
	s_load_dwordx2 s[2:3], s[4:5], 0x48
	s_load_dwordx4 s[20:23], s[4:5], 0x8
	s_waitcnt lgkmcnt(0)
	s_and_b32 s0, s3, 0x7fffffff
	v_cmp_eq_f32_e64 s1, s2, 1.0
	s_cmp_eq_u32 s0, 0
	s_mov_b32 s0, 0
	s_cselect_b32 s10, -1, 0
	s_and_b32 s1, s1, s10
	s_andn2_b32 vcc_lo, exec_lo, s1
	s_mov_b32 s1, -1
	s_cbranch_vccnz .LBB235_4
; %bb.1:
	s_cmp_lg_u64 s[20:21], 0
	s_cbranch_scc0 .LBB235_3
; %bb.2:
	v_cmp_neq_f32_e64 s0, s22, 0
	v_cmp_neq_f32_e64 s1, s23, 0
	s_or_b32 s0, s0, s1
.LBB235_3:
	s_mov_b32 s1, s0
.LBB235_4:
	s_and_b32 vcc_lo, exec_lo, s1
	s_cbranch_vccz .LBB235_34
; %bb.5:
	s_load_dword s9, s[4:5], 0x0
	v_cmp_eq_f32_e64 s0, s22, 0
	v_cmp_eq_f32_e64 s1, s23, 0
	v_cmp_lt_i64_e64 s12, s[20:21], 1
	v_mov_b32_e32 v22, 0
	v_mov_b32_e32 v23, 0
	;; [unrolled: 1-line block ×3, first 2 shown]
	s_and_b32 s0, s0, s1
	v_mov_b32_e32 v21, 0
	v_mov_b32_e32 v18, 0
	;; [unrolled: 1-line block ×5, first 2 shown]
	s_or_b32 s0, s0, s12
	s_lshl_b32 s11, s6, 5
	s_and_b32 vcc_lo, exec_lo, s0
	s_lshl_b32 s28, s7, 5
	s_cbranch_vccnz .LBB235_18
; %bb.6:
	s_clause 0x1
	s_load_dwordx4 s[24:27], s[4:5], 0x38
	s_load_dwordx8 s[12:19], s[4:5], 0x18
	v_lshl_add_u32 v3, v1, 4, v0
	v_and_b32_e32 v6, 7, v0
	v_lshlrev_b32_e32 v14, 3, v0
	v_lshl_add_u32 v15, v1, 6, 0x800
	v_mov_b32_e32 v17, 0
	v_and_b32_e32 v4, 31, v3
	v_lshrrev_b32_e32 v5, 3, v3
	v_lshlrev_b32_e32 v8, 3, v6
	v_lshrrev_b32_e32 v7, 5, v3
	v_mov_b32_e32 v16, 0
	v_or_b32_e32 v2, s11, v4
	v_lshlrev_b32_e32 v3, 3, v4
	v_add_nc_u32_e32 v4, s28, v5
	v_lshl_or_b32 v11, v5, 6, v8
	v_mov_b32_e32 v19, 0
	s_waitcnt lgkmcnt(0)
	v_cmp_gt_i32_e64 s0, s9, v2
	v_lshl_or_b32 v8, v7, 8, v3
	v_ashrrev_i32_e32 v3, 31, v2
	s_mul_i32 s1, s27, s8
	s_mul_hi_u32 s7, s26, s8
	s_mul_i32 s6, s26, s8
	s_add_i32 s7, s7, s1
	v_ashrrev_i32_e32 v5, 31, v4
	s_lshl_b64 s[6:7], s[6:7], 3
	s_mul_i32 s17, s17, s8
	s_mul_hi_u32 s1, s16, s8
	s_add_u32 s18, s18, s6
	v_cmp_le_i32_e64 s29, s9, v2
	s_mul_i32 s16, s16, s8
	s_addc_u32 s19, s19, s7
	s_add_i32 s17, s1, s17
	v_lshlrev_b64 v[2:3], 3, v[2:3]
	s_lshl_b64 s[6:7], s[16:17], 3
	v_lshlrev_b64 v[12:13], 3, v[4:5]
	s_add_u32 s1, s12, s6
	s_addc_u32 s6, s13, s7
	v_add_nc_u32_e32 v11, 0x800, v11
	v_add_co_u32 v9, vcc_lo, s1, v2
	v_add_co_ci_u32_e64 v10, null, s6, v3, vcc_lo
	v_cmp_gt_i32_e32 vcc_lo, s9, v4
	v_add_co_u32 v12, s1, s18, v12
	v_add_co_ci_u32_e64 v13, null, s19, v13, s1
	v_mov_b32_e32 v3, 0
	v_mov_b32_e32 v18, 0
	;; [unrolled: 1-line block ×6, first 2 shown]
	s_mov_b64 s[6:7], 0
	s_xor_b32 s1, vcc_lo, -1
                                        ; implicit-def: $vgpr4_vgpr5
	s_branch .LBB235_8
.LBB235_7:                              ;   in Loop: Header=BB235_8 Depth=1
	s_or_b32 exec_lo, exec_lo, s12
	s_waitcnt lgkmcnt(0)
	s_barrier
	buffer_gl0_inv
	ds_read_b128 v[24:27], v15
	ds_read2_b64 v[28:31], v14 offset1:16
	ds_read_b128 v[32:35], v15 offset:1024
	ds_read_b128 v[36:39], v15 offset:16
	;; [unrolled: 1-line block ×4, first 2 shown]
	ds_read2_b64 v[48:51], v14 offset0:32 offset1:48
	ds_read_b128 v[52:55], v15 offset:1040
	s_add_u32 s6, s6, 8
	s_addc_u32 s7, s7, 0
	v_cmp_gt_i64_e64 s12, s[20:21], s[6:7]
	s_and_b32 vcc_lo, exec_lo, s12
	s_waitcnt lgkmcnt(6)
	v_mul_f32_e32 v2, v25, v29
	v_mul_f32_e32 v56, v24, v29
	;; [unrolled: 1-line block ×4, first 2 shown]
	s_waitcnt lgkmcnt(5)
	v_mul_f32_e32 v59, v33, v29
	v_mul_f32_e32 v29, v32, v29
	;; [unrolled: 1-line block ×3, first 2 shown]
	v_fma_f32 v2, v24, v28, -v2
	v_fmac_f32_e32 v56, v25, v28
	v_fma_f32 v24, v24, v30, -v57
	v_fmac_f32_e32 v58, v25, v30
	;; [unrolled: 2-line block ×3, first 2 shown]
	v_mul_f32_e32 v31, v32, v31
	v_fma_f32 v28, v32, v30, -v60
	v_add_f32_e32 v2, v22, v2
	v_add_f32_e32 v22, v23, v56
	v_add_f32_e32 v23, v20, v24
	v_add_f32_e32 v24, v21, v58
	v_add_f32_e32 v25, v18, v25
	v_add_f32_e32 v29, v19, v29
	s_waitcnt lgkmcnt(1)
	v_mul_f32_e32 v32, v27, v49
	ds_read2_b64 v[18:21], v14 offset0:64 offset1:80
	v_fmac_f32_e32 v31, v33, v30
	v_add_f32_e32 v16, v16, v28
	v_mul_f32_e32 v28, v26, v49
	v_fma_f32 v30, v26, v48, -v32
	v_mul_f32_e32 v32, v27, v51
	v_add_f32_e32 v17, v17, v31
	v_mul_f32_e32 v31, v26, v51
	v_fmac_f32_e32 v28, v27, v48
	v_add_f32_e32 v2, v2, v30
	v_fma_f32 v26, v26, v50, -v32
	v_mul_f32_e32 v30, v35, v49
	v_fmac_f32_e32 v31, v27, v50
	v_add_f32_e32 v28, v22, v28
	v_mul_f32_e32 v22, v34, v49
	v_add_f32_e32 v26, v23, v26
	v_fma_f32 v23, v34, v48, -v30
	v_mul_f32_e32 v27, v35, v51
	v_add_f32_e32 v30, v24, v31
	v_fmac_f32_e32 v22, v35, v48
	v_mul_f32_e32 v31, v34, v51
	v_add_f32_e32 v32, v25, v23
	v_fma_f32 v23, v34, v50, -v27
	s_waitcnt lgkmcnt(0)
	v_mul_f32_e32 v24, v37, v19
	v_add_f32_e32 v27, v29, v22
	v_fmac_f32_e32 v31, v35, v50
	v_mul_f32_e32 v29, v36, v19
	v_add_f32_e32 v16, v16, v23
	v_fma_f32 v33, v36, v18, -v24
	v_mul_f32_e32 v34, v37, v21
	ds_read2_b64 v[22:25], v14 offset0:96 offset1:112
	v_fmac_f32_e32 v29, v37, v18
	v_add_f32_e32 v31, v17, v31
	v_add_f32_e32 v2, v2, v33
	v_mul_f32_e32 v17, v36, v21
	v_fma_f32 v33, v36, v20, -v34
	v_add_f32_e32 v28, v28, v29
	v_mul_f32_e32 v29, v53, v19
	v_mul_f32_e32 v19, v52, v19
	v_fmac_f32_e32 v17, v37, v20
	v_add_f32_e32 v26, v26, v33
	v_mul_f32_e32 v33, v53, v21
	v_mul_f32_e32 v21, v52, v21
	v_fmac_f32_e32 v19, v53, v18
	v_add_f32_e32 v30, v30, v17
	v_fma_f32 v29, v52, v18, -v29
	v_fma_f32 v17, v52, v20, -v33
	v_fmac_f32_e32 v21, v53, v20
	v_add_f32_e32 v33, v27, v19
	s_waitcnt lgkmcnt(0)
	v_mul_f32_e32 v20, v39, v23
	v_add_f32_e32 v34, v16, v17
	ds_read2_b64 v[16:19], v14 offset0:128 offset1:144
	v_add_f32_e32 v32, v32, v29
	v_mul_f32_e32 v27, v38, v23
	v_mul_f32_e32 v29, v39, v25
	v_fma_f32 v20, v38, v22, -v20
	v_add_f32_e32 v31, v31, v21
	v_mul_f32_e32 v21, v38, v25
	v_fmac_f32_e32 v27, v39, v22
	v_fma_f32 v29, v38, v24, -v29
	v_add_f32_e32 v2, v2, v20
	v_mul_f32_e32 v20, v55, v23
	v_fmac_f32_e32 v21, v39, v24
	v_add_f32_e32 v35, v28, v27
	v_add_f32_e32 v36, v26, v29
	v_mul_f32_e32 v23, v54, v23
	v_fma_f32 v20, v54, v22, -v20
	v_mul_f32_e32 v37, v55, v25
	ds_read_b128 v[26:29], v15 offset:1056
	v_add_f32_e32 v38, v30, v21
	v_fmac_f32_e32 v23, v55, v22
	v_mul_f32_e32 v25, v54, v25
	v_fma_f32 v21, v54, v24, -v37
	v_add_f32_e32 v37, v32, v20
	s_waitcnt lgkmcnt(1)
	v_mul_f32_e32 v20, v41, v17
	v_add_f32_e32 v39, v33, v23
	v_fmac_f32_e32 v25, v55, v24
	v_add_f32_e32 v24, v34, v21
	v_mul_f32_e32 v32, v41, v19
	v_fma_f32 v30, v40, v16, -v20
	ds_read2_b64 v[20:23], v14 offset0:160 offset1:176
	v_mul_f32_e32 v34, v40, v17
	v_add_f32_e32 v25, v31, v25
	v_fma_f32 v48, v40, v18, -v32
	v_mul_f32_e32 v40, v40, v19
	v_add_f32_e32 v2, v2, v30
	v_fmac_f32_e32 v34, v41, v16
	ds_read_b128 v[30:33], v15 offset:1072
	s_waitcnt lgkmcnt(2)
	v_mul_f32_e32 v49, v27, v17
	v_mul_f32_e32 v17, v26, v17
	v_fmac_f32_e32 v40, v41, v18
	v_mul_f32_e32 v41, v27, v19
	v_add_f32_e32 v34, v35, v34
	v_add_f32_e32 v35, v36, v48
	v_fma_f32 v36, v26, v16, -v49
	v_fmac_f32_e32 v17, v27, v16
	v_add_f32_e32 v38, v38, v40
	v_mul_f32_e32 v40, v26, v19
	v_fma_f32 v16, v26, v18, -v41
	v_add_f32_e32 v36, v37, v36
	v_add_f32_e32 v26, v39, v17
	s_waitcnt lgkmcnt(1)
	v_mul_f32_e32 v37, v43, v21
	v_fmac_f32_e32 v40, v27, v18
	v_add_f32_e32 v24, v24, v16
	ds_read2_b64 v[16:19], v14 offset0:192 offset1:208
	v_mul_f32_e32 v27, v42, v21
	v_fma_f32 v37, v42, v20, -v37
	v_mul_f32_e32 v39, v43, v23
	v_add_f32_e32 v40, v25, v40
	v_mul_f32_e32 v25, v42, v23
	v_fmac_f32_e32 v27, v43, v20
	v_add_f32_e32 v2, v2, v37
	v_fma_f32 v37, v42, v22, -v39
	v_fmac_f32_e32 v25, v43, v22
	v_add_f32_e32 v34, v34, v27
	v_mul_f32_e32 v27, v29, v21
	v_mul_f32_e32 v21, v28, v21
	v_add_f32_e32 v35, v35, v37
	v_mul_f32_e32 v37, v29, v23
	v_add_f32_e32 v38, v38, v25
	v_fma_f32 v27, v28, v20, -v27
	v_fmac_f32_e32 v21, v29, v20
	v_mul_f32_e32 v20, v28, v23
	v_fma_f32 v23, v28, v22, -v37
	s_waitcnt lgkmcnt(0)
	v_mul_f32_e32 v25, v45, v17
	v_add_f32_e32 v28, v36, v27
	v_add_f32_e32 v21, v26, v21
	v_fmac_f32_e32 v20, v29, v22
	v_add_f32_e32 v22, v24, v23
	v_fma_f32 v29, v44, v16, -v25
	ds_read2_b64 v[24:27], v14 offset0:224 offset1:240
	v_mul_f32_e32 v23, v44, v17
	v_mul_f32_e32 v37, v31, v17
	;; [unrolled: 1-line block ×4, first 2 shown]
	v_add_f32_e32 v2, v2, v29
	v_fmac_f32_e32 v23, v45, v16
	v_mul_f32_e32 v29, v44, v19
	v_fmac_f32_e32 v17, v31, v16
	v_fma_f32 v36, v44, v18, -v36
	v_add_f32_e32 v20, v40, v20
	v_add_f32_e32 v23, v34, v23
	v_fma_f32 v34, v30, v16, -v37
	v_mul_f32_e32 v16, v31, v19
	v_mul_f32_e32 v19, v30, v19
	v_fmac_f32_e32 v29, v45, v18
	v_add_f32_e32 v17, v21, v17
	v_add_f32_e32 v35, v35, v36
	v_fma_f32 v16, v30, v18, -v16
	v_fmac_f32_e32 v19, v31, v18
	s_waitcnt lgkmcnt(0)
	v_mul_f32_e32 v21, v47, v25
	v_mul_f32_e32 v18, v47, v27
	v_add_f32_e32 v28, v28, v34
	v_mul_f32_e32 v30, v46, v25
	v_add_f32_e32 v16, v22, v16
	v_fma_f32 v21, v46, v24, -v21
	v_fma_f32 v18, v46, v26, -v18
	v_mul_f32_e32 v31, v46, v27
	v_add_f32_e32 v34, v20, v19
	v_mul_f32_e32 v19, v32, v25
	v_add_f32_e32 v22, v2, v21
	v_add_f32_e32 v20, v35, v18
	v_mul_f32_e32 v2, v33, v25
	v_mul_f32_e32 v18, v33, v27
	;; [unrolled: 1-line block ×3, first 2 shown]
	v_add_f32_e32 v29, v38, v29
	v_fmac_f32_e32 v30, v47, v24
	v_fmac_f32_e32 v31, v47, v26
	v_fma_f32 v2, v32, v24, -v2
	v_fmac_f32_e32 v19, v33, v24
	v_fma_f32 v24, v32, v26, -v18
	v_fmac_f32_e32 v25, v33, v26
	v_add_f32_e32 v23, v23, v30
	v_add_f32_e32 v21, v29, v31
	;; [unrolled: 1-line block ×6, first 2 shown]
	s_barrier
	buffer_gl0_inv
	s_cbranch_vccz .LBB235_18
.LBB235_8:                              ; =>This Inner Loop Header: Depth=1
	s_mov_b32 s16, s29
	s_mov_b32 s12, 0
	s_and_saveexec_b32 s13, s0
	s_cbranch_execnz .LBB235_16
; %bb.9:                                ;   in Loop: Header=BB235_8 Depth=1
	s_or_b32 exec_lo, exec_lo, s13
	s_and_saveexec_b32 s13, s16
	s_xor_b32 s13, exec_lo, s13
	s_cbranch_execnz .LBB235_17
.LBB235_10:                             ;   in Loop: Header=BB235_8 Depth=1
	s_or_b32 exec_lo, exec_lo, s13
	s_and_saveexec_b32 s13, s12
	s_cbranch_execz .LBB235_12
.LBB235_11:                             ;   in Loop: Header=BB235_8 Depth=1
	v_mul_lo_u32 v2, s15, v4
	v_mul_lo_u32 v26, s14, v5
	v_mad_u64_u32 v[24:25], null, s14, v4, 0
	v_add3_u32 v25, v25, v26, v2
	v_lshlrev_b64 v[24:25], 3, v[24:25]
	v_add_co_u32 v24, vcc_lo, v9, v24
	v_add_co_ci_u32_e64 v25, null, v10, v25, vcc_lo
	global_load_dwordx2 v[24:25], v[24:25], off
	s_waitcnt vmcnt(0)
	ds_write_b64 v8, v[24:25]
.LBB235_12:                             ;   in Loop: Header=BB235_8 Depth=1
	s_or_b32 exec_lo, exec_lo, s13
	v_add_nc_u32_e32 v2, s6, v6
	v_cmp_le_u64_e32 vcc_lo, s[20:21], v[2:3]
	s_or_b32 s12, vcc_lo, s1
	s_and_saveexec_b32 s13, s12
	s_xor_b32 s12, exec_lo, s13
; %bb.13:                               ;   in Loop: Header=BB235_8 Depth=1
	v_mov_b32_e32 v2, v3
	ds_write_b64 v11, v[2:3]
; %bb.14:                               ;   in Loop: Header=BB235_8 Depth=1
	s_andn2_saveexec_b32 s12, s12
	s_cbranch_execz .LBB235_7
; %bb.15:                               ;   in Loop: Header=BB235_8 Depth=1
	v_mad_u64_u32 v[24:25], null, s24, v2, 0
	v_mad_u64_u32 v[25:26], null, s25, v2, v[25:26]
	v_lshlrev_b64 v[24:25], 3, v[24:25]
	v_add_co_u32 v24, vcc_lo, v12, v24
	v_add_co_ci_u32_e64 v25, null, v13, v25, vcc_lo
	global_load_dwordx2 v[24:25], v[24:25], off
	s_waitcnt vmcnt(0)
	ds_write_b64 v11, v[24:25]
	s_branch .LBB235_7
.LBB235_16:                             ;   in Loop: Header=BB235_8 Depth=1
	v_add_nc_u32_e32 v2, s6, v7
	v_mov_b32_e32 v5, v3
	s_andn2_b32 s16, s29, exec_lo
	s_mov_b32 s12, exec_lo
	v_cmp_le_u64_e32 vcc_lo, s[20:21], v[2:3]
	v_mov_b32_e32 v4, v2
	s_and_b32 s17, vcc_lo, exec_lo
	s_or_b32 s16, s16, s17
	s_or_b32 exec_lo, exec_lo, s13
	s_and_saveexec_b32 s13, s16
	s_xor_b32 s13, exec_lo, s13
	s_cbranch_execz .LBB235_10
.LBB235_17:                             ;   in Loop: Header=BB235_8 Depth=1
	v_mov_b32_e32 v2, v3
	s_andn2_b32 s12, s12, exec_lo
	ds_write_b64 v8, v[2:3]
	s_or_b32 exec_lo, exec_lo, s13
	s_and_saveexec_b32 s13, s12
	s_cbranch_execnz .LBB235_11
	s_branch .LBB235_12
.LBB235_18:
	s_clause 0x1
	s_load_dwordx4 s[12:15], s[4:5], 0x50
	s_load_dwordx2 s[4:5], s[4:5], 0x60
	v_add_nc_u32_e32 v9, s28, v1
	v_add_nc_u32_e32 v0, s11, v0
	v_cmp_neq_f32_e64 s6, s2, 0
	v_ashrrev_i32_e32 v1, 31, v9
	s_waitcnt lgkmcnt(0)
	v_cmp_gt_i32_e64 s0, s9, v9
	v_cmp_le_i32_e32 vcc_lo, v0, v9
	v_mul_lo_u32 v3, s14, v1
	v_mul_lo_u32 v4, s15, v9
	v_mad_u64_u32 v[1:2], null, s14, v9, 0
	s_mul_i32 s1, s5, s8
	s_mul_hi_u32 s5, s4, s8
	s_mul_i32 s4, s4, s8
	s_add_i32 s5, s5, s1
	s_lshl_b64 s[4:5], s[4:5], 3
	v_add3_u32 v2, v2, v3, v4
	s_add_u32 s4, s12, s4
	s_addc_u32 s5, s13, s5
	s_xor_b32 s7, s10, -1
	v_lshlrev_b64 v[2:3], 3, v[1:2]
	s_or_b32 s6, s6, s7
	v_ashrrev_i32_e32 v1, 31, v0
	v_cndmask_b32_e64 v8, 0, 1, s6
	s_and_b32 s7, s0, vcc_lo
	v_add_co_u32 v6, s1, s4, v2
	v_add_co_ci_u32_e64 v7, null, s5, v3, s1
	s_and_saveexec_b32 s1, s7
	s_cbranch_execz .LBB235_22
; %bb.19:
	v_lshlrev_b64 v[4:5], 3, v[0:1]
	v_mul_f32_e32 v2, s23, v23
	v_mul_f32_e32 v3, s22, v23
	v_fma_f32 v2, v22, s22, -v2
	v_add_co_u32 v4, vcc_lo, v6, v4
	v_fmac_f32_e32 v3, s23, v22
	v_add_co_ci_u32_e64 v5, null, v7, v5, vcc_lo
	s_andn2_b32 vcc_lo, exec_lo, s6
	s_cbranch_vccnz .LBB235_21
; %bb.20:
	global_load_dwordx2 v[10:11], v[4:5], off
	s_waitcnt vmcnt(0)
	v_mul_f32_e32 v12, s3, v11
	v_mul_f32_e32 v11, s2, v11
	v_fma_f32 v12, v10, s2, -v12
	v_fmac_f32_e32 v11, s3, v10
	v_add_f32_e32 v2, v2, v12
	v_add_f32_e32 v3, v3, v11
.LBB235_21:
	global_store_dwordx2 v[4:5], v[2:3], off
.LBB235_22:
	s_or_b32 exec_lo, exec_lo, s1
	v_add_nc_u32_e32 v2, 16, v0
	v_cmp_le_i32_e32 vcc_lo, v2, v9
	v_ashrrev_i32_e32 v3, 31, v2
	s_and_b32 s0, s0, vcc_lo
	s_and_saveexec_b32 s1, s0
	s_cbranch_execz .LBB235_26
; %bb.23:
	v_lshlrev_b64 v[10:11], 3, v[2:3]
	v_mul_f32_e32 v4, s23, v21
	v_mul_f32_e32 v5, s22, v21
	v_cmp_ne_u32_e32 vcc_lo, 1, v8
	v_fma_f32 v4, v20, s22, -v4
	v_add_co_u32 v6, s0, v6, v10
	v_fmac_f32_e32 v5, s23, v20
	v_add_co_ci_u32_e64 v7, null, v7, v11, s0
	s_cbranch_vccnz .LBB235_25
; %bb.24:
	global_load_dwordx2 v[10:11], v[6:7], off
	s_waitcnt vmcnt(0)
	v_mul_f32_e32 v12, s3, v11
	v_mul_f32_e32 v11, s2, v11
	v_fma_f32 v12, v10, s2, -v12
	v_fmac_f32_e32 v11, s3, v10
	v_add_f32_e32 v4, v4, v12
	v_add_f32_e32 v5, v5, v11
.LBB235_25:
	global_store_dwordx2 v[6:7], v[4:5], off
.LBB235_26:
	s_or_b32 exec_lo, exec_lo, s1
	v_add_nc_u32_e32 v9, 16, v9
	v_ashrrev_i32_e32 v6, 31, v9
	v_mul_lo_u32 v7, s15, v9
	v_mad_u64_u32 v[4:5], null, s14, v9, 0
	v_cmp_gt_i32_e64 s0, s9, v9
	v_mul_lo_u32 v6, s14, v6
	v_cmp_le_i32_e32 vcc_lo, v0, v9
	v_add3_u32 v5, v5, v6, v7
	v_lshlrev_b64 v[4:5], 3, v[4:5]
	v_add_co_u32 v6, s1, s4, v4
	v_add_co_ci_u32_e64 v7, null, s5, v5, s1
	s_and_b32 s1, s0, vcc_lo
	s_and_saveexec_b32 s4, s1
	s_cbranch_execz .LBB235_30
; %bb.27:
	v_lshlrev_b64 v[0:1], 3, v[0:1]
	v_mul_f32_e32 v4, s23, v19
	v_mul_f32_e32 v5, s22, v19
	v_cmp_ne_u32_e32 vcc_lo, 1, v8
	v_fma_f32 v4, v18, s22, -v4
	v_add_co_u32 v0, s1, v6, v0
	v_fmac_f32_e32 v5, s23, v18
	v_add_co_ci_u32_e64 v1, null, v7, v1, s1
	s_cbranch_vccnz .LBB235_29
; %bb.28:
	global_load_dwordx2 v[10:11], v[0:1], off
	s_waitcnt vmcnt(0)
	v_mul_f32_e32 v12, s3, v11
	v_mul_f32_e32 v11, s2, v11
	v_fma_f32 v12, v10, s2, -v12
	v_fmac_f32_e32 v11, s3, v10
	v_add_f32_e32 v4, v4, v12
	v_add_f32_e32 v5, v5, v11
.LBB235_29:
	global_store_dwordx2 v[0:1], v[4:5], off
.LBB235_30:
	s_or_b32 exec_lo, exec_lo, s4
	v_cmp_le_i32_e32 vcc_lo, v2, v9
	s_and_b32 s0, s0, vcc_lo
	s_and_saveexec_b32 s1, s0
	s_cbranch_execz .LBB235_34
; %bb.31:
	v_lshlrev_b64 v[2:3], 3, v[2:3]
	v_mul_f32_e32 v0, s23, v17
	v_mul_f32_e32 v1, s22, v17
	v_cmp_ne_u32_e32 vcc_lo, 1, v8
	v_fma_f32 v0, v16, s22, -v0
	v_add_co_u32 v2, s0, v6, v2
	v_fmac_f32_e32 v1, s23, v16
	v_add_co_ci_u32_e64 v3, null, v7, v3, s0
	s_cbranch_vccnz .LBB235_33
; %bb.32:
	global_load_dwordx2 v[4:5], v[2:3], off
	s_waitcnt vmcnt(0)
	v_mul_f32_e32 v6, s3, v5
	v_mul_f32_e32 v5, s2, v5
	v_fma_f32 v6, v4, s2, -v6
	v_fmac_f32_e32 v5, s3, v4
	v_add_f32_e32 v0, v0, v6
	v_add_f32_e32 v1, v1, v5
.LBB235_33:
	global_store_dwordx2 v[2:3], v[0:1], off
.LBB235_34:
	s_endpgm
	.section	.rodata,"a",@progbits
	.p2align	6, 0x0
	.amdhsa_kernel _ZL29rocblas_internal_gemmt_kernelIlLi16ELi32ELi8ELc78ELc84ELc85ELb0ELb0E19rocblas_complex_numIfES1_PKS1_PS1_EviT_T9_T10_S5_lS7_S5_lS6_T11_S5_li
		.amdhsa_group_segment_fixed_size 4096
		.amdhsa_private_segment_fixed_size 0
		.amdhsa_kernarg_size 108
		.amdhsa_user_sgpr_count 6
		.amdhsa_user_sgpr_private_segment_buffer 1
		.amdhsa_user_sgpr_dispatch_ptr 0
		.amdhsa_user_sgpr_queue_ptr 0
		.amdhsa_user_sgpr_kernarg_segment_ptr 1
		.amdhsa_user_sgpr_dispatch_id 0
		.amdhsa_user_sgpr_flat_scratch_init 0
		.amdhsa_user_sgpr_private_segment_size 0
		.amdhsa_wavefront_size32 1
		.amdhsa_uses_dynamic_stack 0
		.amdhsa_system_sgpr_private_segment_wavefront_offset 0
		.amdhsa_system_sgpr_workgroup_id_x 1
		.amdhsa_system_sgpr_workgroup_id_y 1
		.amdhsa_system_sgpr_workgroup_id_z 1
		.amdhsa_system_sgpr_workgroup_info 0
		.amdhsa_system_vgpr_workitem_id 1
		.amdhsa_next_free_vgpr 61
		.amdhsa_next_free_sgpr 30
		.amdhsa_reserve_vcc 1
		.amdhsa_reserve_flat_scratch 0
		.amdhsa_float_round_mode_32 0
		.amdhsa_float_round_mode_16_64 0
		.amdhsa_float_denorm_mode_32 3
		.amdhsa_float_denorm_mode_16_64 3
		.amdhsa_dx10_clamp 1
		.amdhsa_ieee_mode 1
		.amdhsa_fp16_overflow 0
		.amdhsa_workgroup_processor_mode 1
		.amdhsa_memory_ordered 1
		.amdhsa_forward_progress 1
		.amdhsa_shared_vgpr_count 0
		.amdhsa_exception_fp_ieee_invalid_op 0
		.amdhsa_exception_fp_denorm_src 0
		.amdhsa_exception_fp_ieee_div_zero 0
		.amdhsa_exception_fp_ieee_overflow 0
		.amdhsa_exception_fp_ieee_underflow 0
		.amdhsa_exception_fp_ieee_inexact 0
		.amdhsa_exception_int_div_zero 0
	.end_amdhsa_kernel
	.section	.text._ZL29rocblas_internal_gemmt_kernelIlLi16ELi32ELi8ELc78ELc84ELc85ELb0ELb0E19rocblas_complex_numIfES1_PKS1_PS1_EviT_T9_T10_S5_lS7_S5_lS6_T11_S5_li,"axG",@progbits,_ZL29rocblas_internal_gemmt_kernelIlLi16ELi32ELi8ELc78ELc84ELc85ELb0ELb0E19rocblas_complex_numIfES1_PKS1_PS1_EviT_T9_T10_S5_lS7_S5_lS6_T11_S5_li,comdat
.Lfunc_end235:
	.size	_ZL29rocblas_internal_gemmt_kernelIlLi16ELi32ELi8ELc78ELc84ELc85ELb0ELb0E19rocblas_complex_numIfES1_PKS1_PS1_EviT_T9_T10_S5_lS7_S5_lS6_T11_S5_li, .Lfunc_end235-_ZL29rocblas_internal_gemmt_kernelIlLi16ELi32ELi8ELc78ELc84ELc85ELb0ELb0E19rocblas_complex_numIfES1_PKS1_PS1_EviT_T9_T10_S5_lS7_S5_lS6_T11_S5_li
                                        ; -- End function
	.set _ZL29rocblas_internal_gemmt_kernelIlLi16ELi32ELi8ELc78ELc84ELc85ELb0ELb0E19rocblas_complex_numIfES1_PKS1_PS1_EviT_T9_T10_S5_lS7_S5_lS6_T11_S5_li.num_vgpr, 61
	.set _ZL29rocblas_internal_gemmt_kernelIlLi16ELi32ELi8ELc78ELc84ELc85ELb0ELb0E19rocblas_complex_numIfES1_PKS1_PS1_EviT_T9_T10_S5_lS7_S5_lS6_T11_S5_li.num_agpr, 0
	.set _ZL29rocblas_internal_gemmt_kernelIlLi16ELi32ELi8ELc78ELc84ELc85ELb0ELb0E19rocblas_complex_numIfES1_PKS1_PS1_EviT_T9_T10_S5_lS7_S5_lS6_T11_S5_li.numbered_sgpr, 30
	.set _ZL29rocblas_internal_gemmt_kernelIlLi16ELi32ELi8ELc78ELc84ELc85ELb0ELb0E19rocblas_complex_numIfES1_PKS1_PS1_EviT_T9_T10_S5_lS7_S5_lS6_T11_S5_li.num_named_barrier, 0
	.set _ZL29rocblas_internal_gemmt_kernelIlLi16ELi32ELi8ELc78ELc84ELc85ELb0ELb0E19rocblas_complex_numIfES1_PKS1_PS1_EviT_T9_T10_S5_lS7_S5_lS6_T11_S5_li.private_seg_size, 0
	.set _ZL29rocblas_internal_gemmt_kernelIlLi16ELi32ELi8ELc78ELc84ELc85ELb0ELb0E19rocblas_complex_numIfES1_PKS1_PS1_EviT_T9_T10_S5_lS7_S5_lS6_T11_S5_li.uses_vcc, 1
	.set _ZL29rocblas_internal_gemmt_kernelIlLi16ELi32ELi8ELc78ELc84ELc85ELb0ELb0E19rocblas_complex_numIfES1_PKS1_PS1_EviT_T9_T10_S5_lS7_S5_lS6_T11_S5_li.uses_flat_scratch, 0
	.set _ZL29rocblas_internal_gemmt_kernelIlLi16ELi32ELi8ELc78ELc84ELc85ELb0ELb0E19rocblas_complex_numIfES1_PKS1_PS1_EviT_T9_T10_S5_lS7_S5_lS6_T11_S5_li.has_dyn_sized_stack, 0
	.set _ZL29rocblas_internal_gemmt_kernelIlLi16ELi32ELi8ELc78ELc84ELc85ELb0ELb0E19rocblas_complex_numIfES1_PKS1_PS1_EviT_T9_T10_S5_lS7_S5_lS6_T11_S5_li.has_recursion, 0
	.set _ZL29rocblas_internal_gemmt_kernelIlLi16ELi32ELi8ELc78ELc84ELc85ELb0ELb0E19rocblas_complex_numIfES1_PKS1_PS1_EviT_T9_T10_S5_lS7_S5_lS6_T11_S5_li.has_indirect_call, 0
	.section	.AMDGPU.csdata,"",@progbits
; Kernel info:
; codeLenInByte = 2624
; TotalNumSgprs: 32
; NumVgprs: 61
; ScratchSize: 0
; MemoryBound: 0
; FloatMode: 240
; IeeeMode: 1
; LDSByteSize: 4096 bytes/workgroup (compile time only)
; SGPRBlocks: 0
; VGPRBlocks: 7
; NumSGPRsForWavesPerEU: 32
; NumVGPRsForWavesPerEU: 61
; Occupancy: 16
; WaveLimiterHint : 0
; COMPUTE_PGM_RSRC2:SCRATCH_EN: 0
; COMPUTE_PGM_RSRC2:USER_SGPR: 6
; COMPUTE_PGM_RSRC2:TRAP_HANDLER: 0
; COMPUTE_PGM_RSRC2:TGID_X_EN: 1
; COMPUTE_PGM_RSRC2:TGID_Y_EN: 1
; COMPUTE_PGM_RSRC2:TGID_Z_EN: 1
; COMPUTE_PGM_RSRC2:TIDIG_COMP_CNT: 1
	.section	.text._ZL29rocblas_internal_gemmt_kernelIlLi16ELi32ELi8ELc78ELc67ELc85ELb0ELb1E19rocblas_complex_numIfES1_PKS1_PS1_EviT_T9_T10_S5_lS7_S5_lS6_T11_S5_li,"axG",@progbits,_ZL29rocblas_internal_gemmt_kernelIlLi16ELi32ELi8ELc78ELc67ELc85ELb0ELb1E19rocblas_complex_numIfES1_PKS1_PS1_EviT_T9_T10_S5_lS7_S5_lS6_T11_S5_li,comdat
	.globl	_ZL29rocblas_internal_gemmt_kernelIlLi16ELi32ELi8ELc78ELc67ELc85ELb0ELb1E19rocblas_complex_numIfES1_PKS1_PS1_EviT_T9_T10_S5_lS7_S5_lS6_T11_S5_li ; -- Begin function _ZL29rocblas_internal_gemmt_kernelIlLi16ELi32ELi8ELc78ELc67ELc85ELb0ELb1E19rocblas_complex_numIfES1_PKS1_PS1_EviT_T9_T10_S5_lS7_S5_lS6_T11_S5_li
	.p2align	8
	.type	_ZL29rocblas_internal_gemmt_kernelIlLi16ELi32ELi8ELc78ELc67ELc85ELb0ELb1E19rocblas_complex_numIfES1_PKS1_PS1_EviT_T9_T10_S5_lS7_S5_lS6_T11_S5_li,@function
_ZL29rocblas_internal_gemmt_kernelIlLi16ELi32ELi8ELc78ELc67ELc85ELb0ELb1E19rocblas_complex_numIfES1_PKS1_PS1_EviT_T9_T10_S5_lS7_S5_lS6_T11_S5_li: ; @_ZL29rocblas_internal_gemmt_kernelIlLi16ELi32ELi8ELc78ELc67ELc85ELb0ELb1E19rocblas_complex_numIfES1_PKS1_PS1_EviT_T9_T10_S5_lS7_S5_lS6_T11_S5_li
; %bb.0:
	s_clause 0x1
	s_load_dwordx2 s[2:3], s[4:5], 0x48
	s_load_dwordx4 s[20:23], s[4:5], 0x8
	s_waitcnt lgkmcnt(0)
	s_and_b32 s0, s3, 0x7fffffff
	v_cmp_eq_f32_e64 s1, s2, 1.0
	s_cmp_eq_u32 s0, 0
	s_mov_b32 s0, 0
	s_cselect_b32 s10, -1, 0
	s_and_b32 s1, s1, s10
	s_andn2_b32 vcc_lo, exec_lo, s1
	s_mov_b32 s1, -1
	s_cbranch_vccnz .LBB236_4
; %bb.1:
	s_cmp_lg_u64 s[20:21], 0
	s_cbranch_scc0 .LBB236_3
; %bb.2:
	v_cmp_neq_f32_e64 s0, s22, 0
	v_cmp_neq_f32_e64 s1, s23, 0
	s_or_b32 s0, s0, s1
.LBB236_3:
	s_mov_b32 s1, s0
.LBB236_4:
	s_and_b32 vcc_lo, exec_lo, s1
	s_cbranch_vccz .LBB236_34
; %bb.5:
	s_load_dword s9, s[4:5], 0x0
	v_cmp_eq_f32_e64 s0, s22, 0
	v_cmp_eq_f32_e64 s1, s23, 0
	v_cmp_lt_i64_e64 s12, s[20:21], 1
	v_mov_b32_e32 v22, 0
	v_mov_b32_e32 v23, 0
	;; [unrolled: 1-line block ×3, first 2 shown]
	s_and_b32 s0, s0, s1
	v_mov_b32_e32 v21, 0
	v_mov_b32_e32 v18, 0
	;; [unrolled: 1-line block ×5, first 2 shown]
	s_or_b32 s0, s0, s12
	s_lshl_b32 s11, s6, 5
	s_and_b32 vcc_lo, exec_lo, s0
	s_lshl_b32 s28, s7, 5
	s_cbranch_vccnz .LBB236_18
; %bb.6:
	s_clause 0x1
	s_load_dwordx4 s[24:27], s[4:5], 0x38
	s_load_dwordx8 s[12:19], s[4:5], 0x18
	v_lshl_add_u32 v3, v1, 4, v0
	v_and_b32_e32 v6, 7, v0
	v_lshlrev_b32_e32 v14, 3, v0
	v_lshl_add_u32 v15, v1, 6, 0x800
	v_mov_b32_e32 v17, 0
	v_and_b32_e32 v4, 31, v3
	v_lshrrev_b32_e32 v5, 3, v3
	v_lshlrev_b32_e32 v8, 3, v6
	v_lshrrev_b32_e32 v7, 5, v3
	v_mov_b32_e32 v16, 0
	v_or_b32_e32 v2, s11, v4
	v_lshlrev_b32_e32 v3, 3, v4
	v_add_nc_u32_e32 v4, s28, v5
	v_lshl_or_b32 v11, v5, 6, v8
	v_mov_b32_e32 v19, 0
	s_waitcnt lgkmcnt(0)
	v_cmp_gt_i32_e64 s0, s9, v2
	v_lshl_or_b32 v8, v7, 8, v3
	v_ashrrev_i32_e32 v3, 31, v2
	s_mul_i32 s1, s27, s8
	s_mul_hi_u32 s7, s26, s8
	s_mul_i32 s6, s26, s8
	s_add_i32 s7, s7, s1
	v_ashrrev_i32_e32 v5, 31, v4
	s_lshl_b64 s[6:7], s[6:7], 3
	s_mul_i32 s17, s17, s8
	s_mul_hi_u32 s1, s16, s8
	s_add_u32 s18, s18, s6
	v_cmp_le_i32_e64 s29, s9, v2
	s_mul_i32 s16, s16, s8
	s_addc_u32 s19, s19, s7
	s_add_i32 s17, s1, s17
	v_lshlrev_b64 v[2:3], 3, v[2:3]
	s_lshl_b64 s[6:7], s[16:17], 3
	v_lshlrev_b64 v[12:13], 3, v[4:5]
	s_add_u32 s1, s12, s6
	s_addc_u32 s6, s13, s7
	v_add_nc_u32_e32 v11, 0x800, v11
	v_add_co_u32 v9, vcc_lo, s1, v2
	v_add_co_ci_u32_e64 v10, null, s6, v3, vcc_lo
	v_cmp_gt_i32_e32 vcc_lo, s9, v4
	v_add_co_u32 v12, s1, s18, v12
	v_add_co_ci_u32_e64 v13, null, s19, v13, s1
	v_mov_b32_e32 v3, 0
	v_mov_b32_e32 v18, 0
	v_mov_b32_e32 v21, 0
	v_mov_b32_e32 v20, 0
	v_mov_b32_e32 v23, 0
	v_mov_b32_e32 v22, 0
	s_mov_b64 s[6:7], 0
	s_xor_b32 s1, vcc_lo, -1
                                        ; implicit-def: $vgpr4_vgpr5
	s_branch .LBB236_8
.LBB236_7:                              ;   in Loop: Header=BB236_8 Depth=1
	s_or_b32 exec_lo, exec_lo, s12
	ds_write_b32 v11, v24 offset:4
	s_waitcnt lgkmcnt(0)
	s_barrier
	buffer_gl0_inv
	ds_read_b128 v[24:27], v15
	ds_read2_b64 v[28:31], v14 offset1:16
	ds_read_b128 v[32:35], v15 offset:1024
	ds_read_b128 v[36:39], v15 offset:16
	;; [unrolled: 1-line block ×4, first 2 shown]
	ds_read2_b64 v[48:51], v14 offset0:32 offset1:48
	ds_read_b128 v[52:55], v15 offset:1040
	s_add_u32 s6, s6, 8
	s_addc_u32 s7, s7, 0
	v_cmp_gt_i64_e64 s12, s[20:21], s[6:7]
	s_and_b32 vcc_lo, exec_lo, s12
	s_waitcnt lgkmcnt(6)
	v_mul_f32_e32 v2, v25, v29
	v_mul_f32_e32 v56, v24, v29
	;; [unrolled: 1-line block ×4, first 2 shown]
	s_waitcnt lgkmcnt(5)
	v_mul_f32_e32 v59, v33, v29
	v_mul_f32_e32 v29, v32, v29
	;; [unrolled: 1-line block ×3, first 2 shown]
	v_fma_f32 v2, v24, v28, -v2
	v_fmac_f32_e32 v56, v25, v28
	v_fma_f32 v24, v24, v30, -v57
	v_fmac_f32_e32 v58, v25, v30
	;; [unrolled: 2-line block ×3, first 2 shown]
	v_mul_f32_e32 v31, v32, v31
	v_fma_f32 v28, v32, v30, -v60
	v_add_f32_e32 v2, v22, v2
	v_add_f32_e32 v22, v23, v56
	;; [unrolled: 1-line block ×6, first 2 shown]
	s_waitcnt lgkmcnt(1)
	v_mul_f32_e32 v32, v27, v49
	ds_read2_b64 v[18:21], v14 offset0:64 offset1:80
	v_fmac_f32_e32 v31, v33, v30
	v_add_f32_e32 v16, v16, v28
	v_mul_f32_e32 v28, v26, v49
	v_fma_f32 v30, v26, v48, -v32
	v_mul_f32_e32 v32, v27, v51
	v_add_f32_e32 v17, v17, v31
	v_mul_f32_e32 v31, v26, v51
	v_fmac_f32_e32 v28, v27, v48
	v_add_f32_e32 v2, v2, v30
	v_fma_f32 v26, v26, v50, -v32
	v_mul_f32_e32 v30, v35, v49
	v_fmac_f32_e32 v31, v27, v50
	v_add_f32_e32 v28, v22, v28
	v_mul_f32_e32 v22, v34, v49
	v_add_f32_e32 v26, v23, v26
	v_fma_f32 v23, v34, v48, -v30
	v_mul_f32_e32 v27, v35, v51
	v_add_f32_e32 v30, v24, v31
	v_fmac_f32_e32 v22, v35, v48
	v_mul_f32_e32 v31, v34, v51
	v_add_f32_e32 v32, v25, v23
	v_fma_f32 v23, v34, v50, -v27
	s_waitcnt lgkmcnt(0)
	v_mul_f32_e32 v24, v37, v19
	v_add_f32_e32 v27, v29, v22
	v_fmac_f32_e32 v31, v35, v50
	v_mul_f32_e32 v29, v36, v19
	v_add_f32_e32 v16, v16, v23
	v_fma_f32 v33, v36, v18, -v24
	v_mul_f32_e32 v34, v37, v21
	ds_read2_b64 v[22:25], v14 offset0:96 offset1:112
	v_fmac_f32_e32 v29, v37, v18
	v_add_f32_e32 v31, v17, v31
	v_add_f32_e32 v2, v2, v33
	v_mul_f32_e32 v17, v36, v21
	v_fma_f32 v33, v36, v20, -v34
	v_add_f32_e32 v28, v28, v29
	v_mul_f32_e32 v29, v53, v19
	v_mul_f32_e32 v19, v52, v19
	v_fmac_f32_e32 v17, v37, v20
	v_add_f32_e32 v26, v26, v33
	v_mul_f32_e32 v33, v53, v21
	v_mul_f32_e32 v21, v52, v21
	v_fmac_f32_e32 v19, v53, v18
	v_add_f32_e32 v30, v30, v17
	v_fma_f32 v29, v52, v18, -v29
	v_fma_f32 v17, v52, v20, -v33
	v_fmac_f32_e32 v21, v53, v20
	v_add_f32_e32 v33, v27, v19
	s_waitcnt lgkmcnt(0)
	v_mul_f32_e32 v20, v39, v23
	v_add_f32_e32 v34, v16, v17
	ds_read2_b64 v[16:19], v14 offset0:128 offset1:144
	v_add_f32_e32 v32, v32, v29
	v_mul_f32_e32 v27, v38, v23
	v_mul_f32_e32 v29, v39, v25
	v_fma_f32 v20, v38, v22, -v20
	v_add_f32_e32 v31, v31, v21
	v_mul_f32_e32 v21, v38, v25
	v_fmac_f32_e32 v27, v39, v22
	v_fma_f32 v29, v38, v24, -v29
	v_add_f32_e32 v2, v2, v20
	v_mul_f32_e32 v20, v55, v23
	v_fmac_f32_e32 v21, v39, v24
	v_add_f32_e32 v35, v28, v27
	v_add_f32_e32 v36, v26, v29
	v_mul_f32_e32 v23, v54, v23
	v_fma_f32 v20, v54, v22, -v20
	v_mul_f32_e32 v37, v55, v25
	ds_read_b128 v[26:29], v15 offset:1056
	v_add_f32_e32 v38, v30, v21
	v_fmac_f32_e32 v23, v55, v22
	v_mul_f32_e32 v25, v54, v25
	v_fma_f32 v21, v54, v24, -v37
	v_add_f32_e32 v37, v32, v20
	s_waitcnt lgkmcnt(1)
	v_mul_f32_e32 v20, v41, v17
	v_add_f32_e32 v39, v33, v23
	v_fmac_f32_e32 v25, v55, v24
	v_add_f32_e32 v24, v34, v21
	v_mul_f32_e32 v32, v41, v19
	v_fma_f32 v30, v40, v16, -v20
	ds_read2_b64 v[20:23], v14 offset0:160 offset1:176
	v_mul_f32_e32 v34, v40, v17
	v_add_f32_e32 v25, v31, v25
	v_fma_f32 v48, v40, v18, -v32
	v_mul_f32_e32 v40, v40, v19
	v_add_f32_e32 v2, v2, v30
	v_fmac_f32_e32 v34, v41, v16
	ds_read_b128 v[30:33], v15 offset:1072
	s_waitcnt lgkmcnt(2)
	v_mul_f32_e32 v49, v27, v17
	v_mul_f32_e32 v17, v26, v17
	v_fmac_f32_e32 v40, v41, v18
	v_mul_f32_e32 v41, v27, v19
	v_add_f32_e32 v34, v35, v34
	v_add_f32_e32 v35, v36, v48
	v_fma_f32 v36, v26, v16, -v49
	v_fmac_f32_e32 v17, v27, v16
	v_add_f32_e32 v38, v38, v40
	v_mul_f32_e32 v40, v26, v19
	v_fma_f32 v16, v26, v18, -v41
	v_add_f32_e32 v36, v37, v36
	v_add_f32_e32 v26, v39, v17
	s_waitcnt lgkmcnt(1)
	v_mul_f32_e32 v37, v43, v21
	v_fmac_f32_e32 v40, v27, v18
	v_add_f32_e32 v24, v24, v16
	ds_read2_b64 v[16:19], v14 offset0:192 offset1:208
	v_mul_f32_e32 v27, v42, v21
	v_fma_f32 v37, v42, v20, -v37
	v_mul_f32_e32 v39, v43, v23
	v_add_f32_e32 v40, v25, v40
	v_mul_f32_e32 v25, v42, v23
	v_fmac_f32_e32 v27, v43, v20
	v_add_f32_e32 v2, v2, v37
	v_fma_f32 v37, v42, v22, -v39
	v_fmac_f32_e32 v25, v43, v22
	v_add_f32_e32 v34, v34, v27
	v_mul_f32_e32 v27, v29, v21
	v_mul_f32_e32 v21, v28, v21
	v_add_f32_e32 v35, v35, v37
	v_mul_f32_e32 v37, v29, v23
	v_add_f32_e32 v38, v38, v25
	v_fma_f32 v27, v28, v20, -v27
	v_fmac_f32_e32 v21, v29, v20
	v_mul_f32_e32 v20, v28, v23
	v_fma_f32 v23, v28, v22, -v37
	s_waitcnt lgkmcnt(0)
	v_mul_f32_e32 v25, v45, v17
	v_add_f32_e32 v28, v36, v27
	v_add_f32_e32 v21, v26, v21
	v_fmac_f32_e32 v20, v29, v22
	v_add_f32_e32 v22, v24, v23
	v_fma_f32 v29, v44, v16, -v25
	ds_read2_b64 v[24:27], v14 offset0:224 offset1:240
	v_mul_f32_e32 v23, v44, v17
	v_mul_f32_e32 v37, v31, v17
	;; [unrolled: 1-line block ×4, first 2 shown]
	v_add_f32_e32 v2, v2, v29
	v_fmac_f32_e32 v23, v45, v16
	v_mul_f32_e32 v29, v44, v19
	v_fmac_f32_e32 v17, v31, v16
	v_fma_f32 v36, v44, v18, -v36
	v_add_f32_e32 v20, v40, v20
	v_add_f32_e32 v23, v34, v23
	v_fma_f32 v34, v30, v16, -v37
	v_mul_f32_e32 v16, v31, v19
	v_mul_f32_e32 v19, v30, v19
	v_fmac_f32_e32 v29, v45, v18
	v_add_f32_e32 v17, v21, v17
	v_add_f32_e32 v35, v35, v36
	v_fma_f32 v16, v30, v18, -v16
	v_fmac_f32_e32 v19, v31, v18
	s_waitcnt lgkmcnt(0)
	v_mul_f32_e32 v21, v47, v25
	v_mul_f32_e32 v18, v47, v27
	v_add_f32_e32 v28, v28, v34
	v_mul_f32_e32 v30, v46, v25
	v_add_f32_e32 v16, v22, v16
	v_fma_f32 v21, v46, v24, -v21
	v_fma_f32 v18, v46, v26, -v18
	v_mul_f32_e32 v31, v46, v27
	v_add_f32_e32 v34, v20, v19
	v_mul_f32_e32 v19, v32, v25
	v_add_f32_e32 v22, v2, v21
	v_add_f32_e32 v20, v35, v18
	v_mul_f32_e32 v2, v33, v25
	v_mul_f32_e32 v18, v33, v27
	;; [unrolled: 1-line block ×3, first 2 shown]
	v_add_f32_e32 v29, v38, v29
	v_fmac_f32_e32 v30, v47, v24
	v_fmac_f32_e32 v31, v47, v26
	v_fma_f32 v2, v32, v24, -v2
	v_fmac_f32_e32 v19, v33, v24
	v_fma_f32 v24, v32, v26, -v18
	v_fmac_f32_e32 v25, v33, v26
	v_add_f32_e32 v23, v23, v30
	v_add_f32_e32 v21, v29, v31
	;; [unrolled: 1-line block ×6, first 2 shown]
	s_barrier
	buffer_gl0_inv
	s_cbranch_vccz .LBB236_18
.LBB236_8:                              ; =>This Inner Loop Header: Depth=1
	s_mov_b32 s16, s29
	s_mov_b32 s12, 0
	s_and_saveexec_b32 s13, s0
	s_cbranch_execnz .LBB236_16
; %bb.9:                                ;   in Loop: Header=BB236_8 Depth=1
	s_or_b32 exec_lo, exec_lo, s13
	s_and_saveexec_b32 s13, s16
	s_xor_b32 s13, exec_lo, s13
	s_cbranch_execnz .LBB236_17
.LBB236_10:                             ;   in Loop: Header=BB236_8 Depth=1
	s_or_b32 exec_lo, exec_lo, s13
	s_and_saveexec_b32 s13, s12
	s_cbranch_execz .LBB236_12
.LBB236_11:                             ;   in Loop: Header=BB236_8 Depth=1
	v_mul_lo_u32 v2, s15, v4
	v_mul_lo_u32 v26, s14, v5
	v_mad_u64_u32 v[24:25], null, s14, v4, 0
	v_add3_u32 v25, v25, v26, v2
	v_lshlrev_b64 v[24:25], 3, v[24:25]
	v_add_co_u32 v24, vcc_lo, v9, v24
	v_add_co_ci_u32_e64 v25, null, v10, v25, vcc_lo
	global_load_dwordx2 v[24:25], v[24:25], off
	s_waitcnt vmcnt(0)
	ds_write_b64 v8, v[24:25]
.LBB236_12:                             ;   in Loop: Header=BB236_8 Depth=1
	s_or_b32 exec_lo, exec_lo, s13
	v_add_nc_u32_e32 v2, s6, v6
	v_cmp_le_u64_e32 vcc_lo, s[20:21], v[2:3]
	s_or_b32 s12, vcc_lo, s1
	s_and_saveexec_b32 s13, s12
	s_xor_b32 s12, exec_lo, s13
; %bb.13:                               ;   in Loop: Header=BB236_8 Depth=1
	ds_write_b32 v11, v3
; %bb.14:                               ;   in Loop: Header=BB236_8 Depth=1
	s_or_saveexec_b32 s12, s12
	v_mov_b32_e32 v24, 0
	s_xor_b32 exec_lo, exec_lo, s12
	s_cbranch_execz .LBB236_7
; %bb.15:                               ;   in Loop: Header=BB236_8 Depth=1
	v_mad_u64_u32 v[24:25], null, s24, v2, 0
	v_mad_u64_u32 v[25:26], null, s25, v2, v[25:26]
	v_lshlrev_b64 v[24:25], 3, v[24:25]
	v_add_co_u32 v24, vcc_lo, v12, v24
	v_add_co_ci_u32_e64 v25, null, v13, v25, vcc_lo
	global_load_dwordx2 v[25:26], v[24:25], off
	s_waitcnt vmcnt(0)
	v_xor_b32_e32 v24, 0x80000000, v26
	ds_write_b32 v11, v25
	s_branch .LBB236_7
.LBB236_16:                             ;   in Loop: Header=BB236_8 Depth=1
	v_add_nc_u32_e32 v2, s6, v7
	v_mov_b32_e32 v5, v3
	s_andn2_b32 s16, s29, exec_lo
	s_mov_b32 s12, exec_lo
	v_cmp_le_u64_e32 vcc_lo, s[20:21], v[2:3]
	v_mov_b32_e32 v4, v2
	s_and_b32 s17, vcc_lo, exec_lo
	s_or_b32 s16, s16, s17
	s_or_b32 exec_lo, exec_lo, s13
	s_and_saveexec_b32 s13, s16
	s_xor_b32 s13, exec_lo, s13
	s_cbranch_execz .LBB236_10
.LBB236_17:                             ;   in Loop: Header=BB236_8 Depth=1
	v_mov_b32_e32 v2, v3
	s_andn2_b32 s12, s12, exec_lo
	ds_write_b64 v8, v[2:3]
	s_or_b32 exec_lo, exec_lo, s13
	s_and_saveexec_b32 s13, s12
	s_cbranch_execnz .LBB236_11
	s_branch .LBB236_12
.LBB236_18:
	s_clause 0x1
	s_load_dwordx4 s[12:15], s[4:5], 0x50
	s_load_dwordx2 s[4:5], s[4:5], 0x60
	v_add_nc_u32_e32 v9, s28, v1
	v_add_nc_u32_e32 v0, s11, v0
	v_cmp_neq_f32_e64 s6, s2, 0
	v_ashrrev_i32_e32 v1, 31, v9
	s_waitcnt lgkmcnt(0)
	v_cmp_gt_i32_e64 s0, s9, v9
	v_cmp_le_i32_e32 vcc_lo, v0, v9
	v_mul_lo_u32 v3, s14, v1
	v_mul_lo_u32 v4, s15, v9
	v_mad_u64_u32 v[1:2], null, s14, v9, 0
	s_mul_i32 s1, s5, s8
	s_mul_hi_u32 s5, s4, s8
	s_mul_i32 s4, s4, s8
	s_add_i32 s5, s5, s1
	s_lshl_b64 s[4:5], s[4:5], 3
	v_add3_u32 v2, v2, v3, v4
	s_add_u32 s4, s12, s4
	s_addc_u32 s5, s13, s5
	s_xor_b32 s7, s10, -1
	v_lshlrev_b64 v[2:3], 3, v[1:2]
	s_or_b32 s6, s6, s7
	v_ashrrev_i32_e32 v1, 31, v0
	v_cndmask_b32_e64 v8, 0, 1, s6
	s_and_b32 s7, s0, vcc_lo
	v_add_co_u32 v6, s1, s4, v2
	v_add_co_ci_u32_e64 v7, null, s5, v3, s1
	s_and_saveexec_b32 s1, s7
	s_cbranch_execz .LBB236_22
; %bb.19:
	v_lshlrev_b64 v[4:5], 3, v[0:1]
	v_mul_f32_e32 v2, s23, v23
	v_mul_f32_e32 v3, s22, v23
	v_fma_f32 v2, v22, s22, -v2
	v_add_co_u32 v4, vcc_lo, v6, v4
	v_fmac_f32_e32 v3, s23, v22
	v_add_co_ci_u32_e64 v5, null, v7, v5, vcc_lo
	s_andn2_b32 vcc_lo, exec_lo, s6
	s_cbranch_vccnz .LBB236_21
; %bb.20:
	global_load_dwordx2 v[10:11], v[4:5], off
	s_waitcnt vmcnt(0)
	v_mul_f32_e32 v12, s3, v11
	v_mul_f32_e32 v11, s2, v11
	v_fma_f32 v12, v10, s2, -v12
	v_fmac_f32_e32 v11, s3, v10
	v_add_f32_e32 v2, v2, v12
	v_add_f32_e32 v3, v3, v11
.LBB236_21:
	global_store_dwordx2 v[4:5], v[2:3], off
.LBB236_22:
	s_or_b32 exec_lo, exec_lo, s1
	v_add_nc_u32_e32 v2, 16, v0
	v_cmp_le_i32_e32 vcc_lo, v2, v9
	v_ashrrev_i32_e32 v3, 31, v2
	s_and_b32 s0, s0, vcc_lo
	s_and_saveexec_b32 s1, s0
	s_cbranch_execz .LBB236_26
; %bb.23:
	v_lshlrev_b64 v[10:11], 3, v[2:3]
	v_mul_f32_e32 v4, s23, v21
	v_mul_f32_e32 v5, s22, v21
	v_cmp_ne_u32_e32 vcc_lo, 1, v8
	v_fma_f32 v4, v20, s22, -v4
	v_add_co_u32 v6, s0, v6, v10
	v_fmac_f32_e32 v5, s23, v20
	v_add_co_ci_u32_e64 v7, null, v7, v11, s0
	s_cbranch_vccnz .LBB236_25
; %bb.24:
	global_load_dwordx2 v[10:11], v[6:7], off
	s_waitcnt vmcnt(0)
	v_mul_f32_e32 v12, s3, v11
	v_mul_f32_e32 v11, s2, v11
	v_fma_f32 v12, v10, s2, -v12
	v_fmac_f32_e32 v11, s3, v10
	v_add_f32_e32 v4, v4, v12
	v_add_f32_e32 v5, v5, v11
.LBB236_25:
	global_store_dwordx2 v[6:7], v[4:5], off
.LBB236_26:
	s_or_b32 exec_lo, exec_lo, s1
	v_add_nc_u32_e32 v9, 16, v9
	v_ashrrev_i32_e32 v6, 31, v9
	v_mul_lo_u32 v7, s15, v9
	v_mad_u64_u32 v[4:5], null, s14, v9, 0
	v_cmp_gt_i32_e64 s0, s9, v9
	v_mul_lo_u32 v6, s14, v6
	v_cmp_le_i32_e32 vcc_lo, v0, v9
	v_add3_u32 v5, v5, v6, v7
	v_lshlrev_b64 v[4:5], 3, v[4:5]
	v_add_co_u32 v6, s1, s4, v4
	v_add_co_ci_u32_e64 v7, null, s5, v5, s1
	s_and_b32 s1, s0, vcc_lo
	s_and_saveexec_b32 s4, s1
	s_cbranch_execz .LBB236_30
; %bb.27:
	v_lshlrev_b64 v[0:1], 3, v[0:1]
	v_mul_f32_e32 v4, s23, v19
	v_mul_f32_e32 v5, s22, v19
	v_cmp_ne_u32_e32 vcc_lo, 1, v8
	v_fma_f32 v4, v18, s22, -v4
	v_add_co_u32 v0, s1, v6, v0
	v_fmac_f32_e32 v5, s23, v18
	v_add_co_ci_u32_e64 v1, null, v7, v1, s1
	s_cbranch_vccnz .LBB236_29
; %bb.28:
	global_load_dwordx2 v[10:11], v[0:1], off
	s_waitcnt vmcnt(0)
	v_mul_f32_e32 v12, s3, v11
	v_mul_f32_e32 v11, s2, v11
	v_fma_f32 v12, v10, s2, -v12
	v_fmac_f32_e32 v11, s3, v10
	v_add_f32_e32 v4, v4, v12
	v_add_f32_e32 v5, v5, v11
.LBB236_29:
	global_store_dwordx2 v[0:1], v[4:5], off
.LBB236_30:
	s_or_b32 exec_lo, exec_lo, s4
	v_cmp_le_i32_e32 vcc_lo, v2, v9
	s_and_b32 s0, s0, vcc_lo
	s_and_saveexec_b32 s1, s0
	s_cbranch_execz .LBB236_34
; %bb.31:
	v_lshlrev_b64 v[2:3], 3, v[2:3]
	v_mul_f32_e32 v0, s23, v17
	v_mul_f32_e32 v1, s22, v17
	v_cmp_ne_u32_e32 vcc_lo, 1, v8
	v_fma_f32 v0, v16, s22, -v0
	v_add_co_u32 v2, s0, v6, v2
	v_fmac_f32_e32 v1, s23, v16
	v_add_co_ci_u32_e64 v3, null, v7, v3, s0
	s_cbranch_vccnz .LBB236_33
; %bb.32:
	global_load_dwordx2 v[4:5], v[2:3], off
	s_waitcnt vmcnt(0)
	v_mul_f32_e32 v6, s3, v5
	v_mul_f32_e32 v5, s2, v5
	v_fma_f32 v6, v4, s2, -v6
	v_fmac_f32_e32 v5, s3, v4
	v_add_f32_e32 v0, v0, v6
	v_add_f32_e32 v1, v1, v5
.LBB236_33:
	global_store_dwordx2 v[2:3], v[0:1], off
.LBB236_34:
	s_endpgm
	.section	.rodata,"a",@progbits
	.p2align	6, 0x0
	.amdhsa_kernel _ZL29rocblas_internal_gemmt_kernelIlLi16ELi32ELi8ELc78ELc67ELc85ELb0ELb1E19rocblas_complex_numIfES1_PKS1_PS1_EviT_T9_T10_S5_lS7_S5_lS6_T11_S5_li
		.amdhsa_group_segment_fixed_size 4096
		.amdhsa_private_segment_fixed_size 0
		.amdhsa_kernarg_size 108
		.amdhsa_user_sgpr_count 6
		.amdhsa_user_sgpr_private_segment_buffer 1
		.amdhsa_user_sgpr_dispatch_ptr 0
		.amdhsa_user_sgpr_queue_ptr 0
		.amdhsa_user_sgpr_kernarg_segment_ptr 1
		.amdhsa_user_sgpr_dispatch_id 0
		.amdhsa_user_sgpr_flat_scratch_init 0
		.amdhsa_user_sgpr_private_segment_size 0
		.amdhsa_wavefront_size32 1
		.amdhsa_uses_dynamic_stack 0
		.amdhsa_system_sgpr_private_segment_wavefront_offset 0
		.amdhsa_system_sgpr_workgroup_id_x 1
		.amdhsa_system_sgpr_workgroup_id_y 1
		.amdhsa_system_sgpr_workgroup_id_z 1
		.amdhsa_system_sgpr_workgroup_info 0
		.amdhsa_system_vgpr_workitem_id 1
		.amdhsa_next_free_vgpr 61
		.amdhsa_next_free_sgpr 30
		.amdhsa_reserve_vcc 1
		.amdhsa_reserve_flat_scratch 0
		.amdhsa_float_round_mode_32 0
		.amdhsa_float_round_mode_16_64 0
		.amdhsa_float_denorm_mode_32 3
		.amdhsa_float_denorm_mode_16_64 3
		.amdhsa_dx10_clamp 1
		.amdhsa_ieee_mode 1
		.amdhsa_fp16_overflow 0
		.amdhsa_workgroup_processor_mode 1
		.amdhsa_memory_ordered 1
		.amdhsa_forward_progress 1
		.amdhsa_shared_vgpr_count 0
		.amdhsa_exception_fp_ieee_invalid_op 0
		.amdhsa_exception_fp_denorm_src 0
		.amdhsa_exception_fp_ieee_div_zero 0
		.amdhsa_exception_fp_ieee_overflow 0
		.amdhsa_exception_fp_ieee_underflow 0
		.amdhsa_exception_fp_ieee_inexact 0
		.amdhsa_exception_int_div_zero 0
	.end_amdhsa_kernel
	.section	.text._ZL29rocblas_internal_gemmt_kernelIlLi16ELi32ELi8ELc78ELc67ELc85ELb0ELb1E19rocblas_complex_numIfES1_PKS1_PS1_EviT_T9_T10_S5_lS7_S5_lS6_T11_S5_li,"axG",@progbits,_ZL29rocblas_internal_gemmt_kernelIlLi16ELi32ELi8ELc78ELc67ELc85ELb0ELb1E19rocblas_complex_numIfES1_PKS1_PS1_EviT_T9_T10_S5_lS7_S5_lS6_T11_S5_li,comdat
.Lfunc_end236:
	.size	_ZL29rocblas_internal_gemmt_kernelIlLi16ELi32ELi8ELc78ELc67ELc85ELb0ELb1E19rocblas_complex_numIfES1_PKS1_PS1_EviT_T9_T10_S5_lS7_S5_lS6_T11_S5_li, .Lfunc_end236-_ZL29rocblas_internal_gemmt_kernelIlLi16ELi32ELi8ELc78ELc67ELc85ELb0ELb1E19rocblas_complex_numIfES1_PKS1_PS1_EviT_T9_T10_S5_lS7_S5_lS6_T11_S5_li
                                        ; -- End function
	.set _ZL29rocblas_internal_gemmt_kernelIlLi16ELi32ELi8ELc78ELc67ELc85ELb0ELb1E19rocblas_complex_numIfES1_PKS1_PS1_EviT_T9_T10_S5_lS7_S5_lS6_T11_S5_li.num_vgpr, 61
	.set _ZL29rocblas_internal_gemmt_kernelIlLi16ELi32ELi8ELc78ELc67ELc85ELb0ELb1E19rocblas_complex_numIfES1_PKS1_PS1_EviT_T9_T10_S5_lS7_S5_lS6_T11_S5_li.num_agpr, 0
	.set _ZL29rocblas_internal_gemmt_kernelIlLi16ELi32ELi8ELc78ELc67ELc85ELb0ELb1E19rocblas_complex_numIfES1_PKS1_PS1_EviT_T9_T10_S5_lS7_S5_lS6_T11_S5_li.numbered_sgpr, 30
	.set _ZL29rocblas_internal_gemmt_kernelIlLi16ELi32ELi8ELc78ELc67ELc85ELb0ELb1E19rocblas_complex_numIfES1_PKS1_PS1_EviT_T9_T10_S5_lS7_S5_lS6_T11_S5_li.num_named_barrier, 0
	.set _ZL29rocblas_internal_gemmt_kernelIlLi16ELi32ELi8ELc78ELc67ELc85ELb0ELb1E19rocblas_complex_numIfES1_PKS1_PS1_EviT_T9_T10_S5_lS7_S5_lS6_T11_S5_li.private_seg_size, 0
	.set _ZL29rocblas_internal_gemmt_kernelIlLi16ELi32ELi8ELc78ELc67ELc85ELb0ELb1E19rocblas_complex_numIfES1_PKS1_PS1_EviT_T9_T10_S5_lS7_S5_lS6_T11_S5_li.uses_vcc, 1
	.set _ZL29rocblas_internal_gemmt_kernelIlLi16ELi32ELi8ELc78ELc67ELc85ELb0ELb1E19rocblas_complex_numIfES1_PKS1_PS1_EviT_T9_T10_S5_lS7_S5_lS6_T11_S5_li.uses_flat_scratch, 0
	.set _ZL29rocblas_internal_gemmt_kernelIlLi16ELi32ELi8ELc78ELc67ELc85ELb0ELb1E19rocblas_complex_numIfES1_PKS1_PS1_EviT_T9_T10_S5_lS7_S5_lS6_T11_S5_li.has_dyn_sized_stack, 0
	.set _ZL29rocblas_internal_gemmt_kernelIlLi16ELi32ELi8ELc78ELc67ELc85ELb0ELb1E19rocblas_complex_numIfES1_PKS1_PS1_EviT_T9_T10_S5_lS7_S5_lS6_T11_S5_li.has_recursion, 0
	.set _ZL29rocblas_internal_gemmt_kernelIlLi16ELi32ELi8ELc78ELc67ELc85ELb0ELb1E19rocblas_complex_numIfES1_PKS1_PS1_EviT_T9_T10_S5_lS7_S5_lS6_T11_S5_li.has_indirect_call, 0
	.section	.AMDGPU.csdata,"",@progbits
; Kernel info:
; codeLenInByte = 2644
; TotalNumSgprs: 32
; NumVgprs: 61
; ScratchSize: 0
; MemoryBound: 0
; FloatMode: 240
; IeeeMode: 1
; LDSByteSize: 4096 bytes/workgroup (compile time only)
; SGPRBlocks: 0
; VGPRBlocks: 7
; NumSGPRsForWavesPerEU: 32
; NumVGPRsForWavesPerEU: 61
; Occupancy: 16
; WaveLimiterHint : 0
; COMPUTE_PGM_RSRC2:SCRATCH_EN: 0
; COMPUTE_PGM_RSRC2:USER_SGPR: 6
; COMPUTE_PGM_RSRC2:TRAP_HANDLER: 0
; COMPUTE_PGM_RSRC2:TGID_X_EN: 1
; COMPUTE_PGM_RSRC2:TGID_Y_EN: 1
; COMPUTE_PGM_RSRC2:TGID_Z_EN: 1
; COMPUTE_PGM_RSRC2:TIDIG_COMP_CNT: 1
	.section	.text._ZL29rocblas_internal_gemmt_kernelIlLi16ELi32ELi8ELc84ELc78ELc85ELb0ELb0E19rocblas_complex_numIfES1_PKS1_PS1_EviT_T9_T10_S5_lS7_S5_lS6_T11_S5_li,"axG",@progbits,_ZL29rocblas_internal_gemmt_kernelIlLi16ELi32ELi8ELc84ELc78ELc85ELb0ELb0E19rocblas_complex_numIfES1_PKS1_PS1_EviT_T9_T10_S5_lS7_S5_lS6_T11_S5_li,comdat
	.globl	_ZL29rocblas_internal_gemmt_kernelIlLi16ELi32ELi8ELc84ELc78ELc85ELb0ELb0E19rocblas_complex_numIfES1_PKS1_PS1_EviT_T9_T10_S5_lS7_S5_lS6_T11_S5_li ; -- Begin function _ZL29rocblas_internal_gemmt_kernelIlLi16ELi32ELi8ELc84ELc78ELc85ELb0ELb0E19rocblas_complex_numIfES1_PKS1_PS1_EviT_T9_T10_S5_lS7_S5_lS6_T11_S5_li
	.p2align	8
	.type	_ZL29rocblas_internal_gemmt_kernelIlLi16ELi32ELi8ELc84ELc78ELc85ELb0ELb0E19rocblas_complex_numIfES1_PKS1_PS1_EviT_T9_T10_S5_lS7_S5_lS6_T11_S5_li,@function
_ZL29rocblas_internal_gemmt_kernelIlLi16ELi32ELi8ELc84ELc78ELc85ELb0ELb0E19rocblas_complex_numIfES1_PKS1_PS1_EviT_T9_T10_S5_lS7_S5_lS6_T11_S5_li: ; @_ZL29rocblas_internal_gemmt_kernelIlLi16ELi32ELi8ELc84ELc78ELc85ELb0ELb0E19rocblas_complex_numIfES1_PKS1_PS1_EviT_T9_T10_S5_lS7_S5_lS6_T11_S5_li
; %bb.0:
	s_clause 0x1
	s_load_dwordx2 s[10:11], s[4:5], 0x48
	s_load_dwordx4 s[20:23], s[4:5], 0x8
	s_waitcnt lgkmcnt(0)
	s_and_b32 s0, s11, 0x7fffffff
	v_cmp_eq_f32_e64 s1, s10, 1.0
	s_cmp_eq_u32 s0, 0
	s_mov_b32 s0, 0
	s_cselect_b32 s24, -1, 0
	s_and_b32 s1, s1, s24
	s_andn2_b32 vcc_lo, exec_lo, s1
	s_mov_b32 s1, -1
	s_cbranch_vccnz .LBB237_4
; %bb.1:
	s_cmp_lg_u64 s[20:21], 0
	s_cbranch_scc0 .LBB237_3
; %bb.2:
	v_cmp_neq_f32_e64 s0, s22, 0
	v_cmp_neq_f32_e64 s1, s23, 0
	s_or_b32 s0, s0, s1
.LBB237_3:
	s_mov_b32 s1, s0
.LBB237_4:
	s_and_b32 vcc_lo, exec_lo, s1
	s_cbranch_vccz .LBB237_34
; %bb.5:
	s_load_dword s9, s[4:5], 0x0
	v_cmp_eq_f32_e64 s0, s22, 0
	v_cmp_eq_f32_e64 s1, s23, 0
	v_cmp_lt_i64_e64 s2, s[20:21], 1
	v_mov_b32_e32 v22, 0
	v_mov_b32_e32 v23, 0
	;; [unrolled: 1-line block ×3, first 2 shown]
	s_and_b32 s0, s0, s1
	v_mov_b32_e32 v21, 0
	v_mov_b32_e32 v18, 0
	;; [unrolled: 1-line block ×5, first 2 shown]
	s_or_b32 s0, s0, s2
	s_lshl_b32 s6, s6, 5
	s_and_b32 vcc_lo, exec_lo, s0
	s_lshl_b32 s7, s7, 5
	s_cbranch_vccnz .LBB237_18
; %bb.6:
	s_clause 0x1
	s_load_dwordx4 s[0:3], s[4:5], 0x38
	s_load_dwordx8 s[12:19], s[4:5], 0x18
	v_lshl_add_u32 v7, v1, 4, v0
	v_and_b32_e32 v6, 7, v0
	v_mov_b32_e32 v17, 0
	v_mov_b32_e32 v16, 0
	;; [unrolled: 1-line block ×3, first 2 shown]
	v_lshrrev_b32_e32 v8, 3, v7
	v_and_b32_e32 v9, 31, v7
	v_lshlrev_b32_e32 v15, 3, v6
	v_lshrrev_b32_e32 v7, 5, v7
	v_mov_b32_e32 v18, 0
	v_add_nc_u32_e32 v10, s7, v8
	v_or_b32_e32 v11, s6, v9
	v_lshlrev_b32_e32 v9, 3, v9
	v_mov_b32_e32 v21, 0
	v_mov_b32_e32 v20, 0
	v_ashrrev_i32_e32 v4, 31, v10
	s_waitcnt lgkmcnt(0)
	v_cmp_gt_i32_e32 vcc_lo, s9, v10
	v_mov_b32_e32 v23, 0
	s_mul_i32 s3, s3, s8
	s_mul_hi_u32 s25, s2, s8
	s_mul_i32 s2, s2, s8
	s_add_i32 s3, s25, s3
	s_mul_i32 s17, s17, s8
	s_lshl_b64 s[2:3], s[2:3], 3
	s_mul_hi_u32 s26, s16, s8
	v_mul_lo_u32 v12, s15, v11
	s_add_u32 s15, s18, s2
	s_mul_i32 s16, s16, s8
	s_addc_u32 s18, s19, s3
	s_add_i32 s17, s26, s17
	v_mad_u64_u32 v[2:3], null, s14, v11, 0
	s_lshl_b64 s[2:3], s[16:17], 3
	v_mul_lo_u32 v13, s0, v4
	v_mul_lo_u32 v14, s1, v10
	v_mad_u64_u32 v[4:5], null, s0, v10, 0
	s_add_u32 s1, s12, s2
	s_addc_u32 s2, s13, s3
	s_ashr_i32 s0, s6, 31
	v_cmp_le_i32_e64 s12, s9, v11
	s_mul_i32 s0, s14, s0
	v_mov_b32_e32 v22, 0
	v_add3_u32 v3, v3, s0, v12
	v_add3_u32 v5, v5, v13, v14
	v_lshl_or_b32 v12, v8, 6, v15
	v_lshl_or_b32 v8, v7, 8, v9
	v_cmp_gt_i32_e64 s0, s9, v11
	v_lshlrev_b64 v[2:3], 3, v[2:3]
	v_lshlrev_b64 v[4:5], 3, v[4:5]
	v_add_nc_u32_e32 v11, 0x800, v12
	v_lshlrev_b32_e32 v14, 3, v0
	v_lshl_add_u32 v15, v1, 6, 0x800
	v_add_co_u32 v9, s1, s1, v2
	v_add_co_ci_u32_e64 v10, null, s2, v3, s1
	v_add_co_u32 v12, s1, s15, v4
	v_add_co_ci_u32_e64 v13, null, s18, v5, s1
	v_mov_b32_e32 v3, 0
	s_mov_b64 s[2:3], 0
	s_xor_b32 s1, vcc_lo, -1
                                        ; implicit-def: $vgpr4_vgpr5
	s_branch .LBB237_8
.LBB237_7:                              ;   in Loop: Header=BB237_8 Depth=1
	s_or_b32 exec_lo, exec_lo, s13
	s_waitcnt lgkmcnt(0)
	s_barrier
	buffer_gl0_inv
	ds_read_b128 v[24:27], v15
	ds_read2_b64 v[28:31], v14 offset1:16
	ds_read_b128 v[32:35], v15 offset:1024
	ds_read_b128 v[36:39], v15 offset:16
	;; [unrolled: 1-line block ×4, first 2 shown]
	ds_read2_b64 v[48:51], v14 offset0:32 offset1:48
	ds_read_b128 v[52:55], v15 offset:1040
	s_add_u32 s2, s2, 8
	s_addc_u32 s3, s3, 0
	v_cmp_gt_i64_e64 s13, s[20:21], s[2:3]
	s_and_b32 vcc_lo, exec_lo, s13
	s_waitcnt lgkmcnt(6)
	v_mul_f32_e32 v2, v25, v29
	v_mul_f32_e32 v56, v24, v29
	;; [unrolled: 1-line block ×4, first 2 shown]
	s_waitcnt lgkmcnt(5)
	v_mul_f32_e32 v59, v33, v29
	v_mul_f32_e32 v29, v32, v29
	;; [unrolled: 1-line block ×3, first 2 shown]
	v_fma_f32 v2, v24, v28, -v2
	v_fmac_f32_e32 v56, v25, v28
	v_fma_f32 v24, v24, v30, -v57
	v_fmac_f32_e32 v58, v25, v30
	;; [unrolled: 2-line block ×3, first 2 shown]
	v_mul_f32_e32 v31, v32, v31
	v_fma_f32 v28, v32, v30, -v60
	v_add_f32_e32 v2, v22, v2
	v_add_f32_e32 v22, v23, v56
	;; [unrolled: 1-line block ×6, first 2 shown]
	s_waitcnt lgkmcnt(1)
	v_mul_f32_e32 v32, v27, v49
	ds_read2_b64 v[18:21], v14 offset0:64 offset1:80
	v_fmac_f32_e32 v31, v33, v30
	v_add_f32_e32 v16, v16, v28
	v_mul_f32_e32 v28, v26, v49
	v_fma_f32 v30, v26, v48, -v32
	v_mul_f32_e32 v32, v27, v51
	v_add_f32_e32 v17, v17, v31
	v_mul_f32_e32 v31, v26, v51
	v_fmac_f32_e32 v28, v27, v48
	v_add_f32_e32 v2, v2, v30
	v_fma_f32 v26, v26, v50, -v32
	v_mul_f32_e32 v30, v35, v49
	v_fmac_f32_e32 v31, v27, v50
	v_add_f32_e32 v28, v22, v28
	v_mul_f32_e32 v22, v34, v49
	v_add_f32_e32 v26, v23, v26
	v_fma_f32 v23, v34, v48, -v30
	v_mul_f32_e32 v27, v35, v51
	v_add_f32_e32 v30, v24, v31
	v_fmac_f32_e32 v22, v35, v48
	v_mul_f32_e32 v31, v34, v51
	v_add_f32_e32 v32, v25, v23
	v_fma_f32 v23, v34, v50, -v27
	s_waitcnt lgkmcnt(0)
	v_mul_f32_e32 v24, v37, v19
	v_add_f32_e32 v27, v29, v22
	v_fmac_f32_e32 v31, v35, v50
	v_mul_f32_e32 v29, v36, v19
	v_add_f32_e32 v16, v16, v23
	v_fma_f32 v33, v36, v18, -v24
	v_mul_f32_e32 v34, v37, v21
	ds_read2_b64 v[22:25], v14 offset0:96 offset1:112
	v_fmac_f32_e32 v29, v37, v18
	v_add_f32_e32 v31, v17, v31
	v_add_f32_e32 v2, v2, v33
	v_mul_f32_e32 v17, v36, v21
	v_fma_f32 v33, v36, v20, -v34
	v_add_f32_e32 v28, v28, v29
	v_mul_f32_e32 v29, v53, v19
	v_mul_f32_e32 v19, v52, v19
	v_fmac_f32_e32 v17, v37, v20
	v_add_f32_e32 v26, v26, v33
	v_mul_f32_e32 v33, v53, v21
	v_mul_f32_e32 v21, v52, v21
	v_fmac_f32_e32 v19, v53, v18
	v_add_f32_e32 v30, v30, v17
	v_fma_f32 v29, v52, v18, -v29
	v_fma_f32 v17, v52, v20, -v33
	v_fmac_f32_e32 v21, v53, v20
	v_add_f32_e32 v33, v27, v19
	s_waitcnt lgkmcnt(0)
	v_mul_f32_e32 v20, v39, v23
	v_add_f32_e32 v34, v16, v17
	ds_read2_b64 v[16:19], v14 offset0:128 offset1:144
	v_add_f32_e32 v32, v32, v29
	v_mul_f32_e32 v27, v38, v23
	v_mul_f32_e32 v29, v39, v25
	v_fma_f32 v20, v38, v22, -v20
	v_add_f32_e32 v31, v31, v21
	v_mul_f32_e32 v21, v38, v25
	v_fmac_f32_e32 v27, v39, v22
	v_fma_f32 v29, v38, v24, -v29
	v_add_f32_e32 v2, v2, v20
	v_mul_f32_e32 v20, v55, v23
	v_fmac_f32_e32 v21, v39, v24
	v_add_f32_e32 v35, v28, v27
	v_add_f32_e32 v36, v26, v29
	v_mul_f32_e32 v23, v54, v23
	v_fma_f32 v20, v54, v22, -v20
	v_mul_f32_e32 v37, v55, v25
	ds_read_b128 v[26:29], v15 offset:1056
	v_add_f32_e32 v38, v30, v21
	v_fmac_f32_e32 v23, v55, v22
	v_mul_f32_e32 v25, v54, v25
	v_fma_f32 v21, v54, v24, -v37
	v_add_f32_e32 v37, v32, v20
	s_waitcnt lgkmcnt(1)
	v_mul_f32_e32 v20, v41, v17
	v_add_f32_e32 v39, v33, v23
	v_fmac_f32_e32 v25, v55, v24
	v_add_f32_e32 v24, v34, v21
	v_mul_f32_e32 v32, v41, v19
	v_fma_f32 v30, v40, v16, -v20
	ds_read2_b64 v[20:23], v14 offset0:160 offset1:176
	v_mul_f32_e32 v34, v40, v17
	v_add_f32_e32 v25, v31, v25
	v_fma_f32 v48, v40, v18, -v32
	v_mul_f32_e32 v40, v40, v19
	v_add_f32_e32 v2, v2, v30
	v_fmac_f32_e32 v34, v41, v16
	ds_read_b128 v[30:33], v15 offset:1072
	s_waitcnt lgkmcnt(2)
	v_mul_f32_e32 v49, v27, v17
	v_mul_f32_e32 v17, v26, v17
	v_fmac_f32_e32 v40, v41, v18
	v_mul_f32_e32 v41, v27, v19
	v_add_f32_e32 v34, v35, v34
	v_add_f32_e32 v35, v36, v48
	v_fma_f32 v36, v26, v16, -v49
	v_fmac_f32_e32 v17, v27, v16
	v_add_f32_e32 v38, v38, v40
	v_mul_f32_e32 v40, v26, v19
	v_fma_f32 v16, v26, v18, -v41
	v_add_f32_e32 v36, v37, v36
	v_add_f32_e32 v26, v39, v17
	s_waitcnt lgkmcnt(1)
	v_mul_f32_e32 v37, v43, v21
	v_fmac_f32_e32 v40, v27, v18
	v_add_f32_e32 v24, v24, v16
	ds_read2_b64 v[16:19], v14 offset0:192 offset1:208
	v_mul_f32_e32 v27, v42, v21
	v_fma_f32 v37, v42, v20, -v37
	v_mul_f32_e32 v39, v43, v23
	v_add_f32_e32 v40, v25, v40
	v_mul_f32_e32 v25, v42, v23
	v_fmac_f32_e32 v27, v43, v20
	v_add_f32_e32 v2, v2, v37
	v_fma_f32 v37, v42, v22, -v39
	v_fmac_f32_e32 v25, v43, v22
	v_add_f32_e32 v34, v34, v27
	v_mul_f32_e32 v27, v29, v21
	v_mul_f32_e32 v21, v28, v21
	v_add_f32_e32 v35, v35, v37
	v_mul_f32_e32 v37, v29, v23
	v_add_f32_e32 v38, v38, v25
	v_fma_f32 v27, v28, v20, -v27
	v_fmac_f32_e32 v21, v29, v20
	v_mul_f32_e32 v20, v28, v23
	v_fma_f32 v23, v28, v22, -v37
	s_waitcnt lgkmcnt(0)
	v_mul_f32_e32 v25, v45, v17
	v_add_f32_e32 v28, v36, v27
	v_add_f32_e32 v21, v26, v21
	v_fmac_f32_e32 v20, v29, v22
	v_add_f32_e32 v22, v24, v23
	v_fma_f32 v29, v44, v16, -v25
	ds_read2_b64 v[24:27], v14 offset0:224 offset1:240
	v_mul_f32_e32 v23, v44, v17
	v_mul_f32_e32 v37, v31, v17
	;; [unrolled: 1-line block ×4, first 2 shown]
	v_add_f32_e32 v2, v2, v29
	v_fmac_f32_e32 v23, v45, v16
	v_mul_f32_e32 v29, v44, v19
	v_fmac_f32_e32 v17, v31, v16
	v_fma_f32 v36, v44, v18, -v36
	v_add_f32_e32 v20, v40, v20
	v_add_f32_e32 v23, v34, v23
	v_fma_f32 v34, v30, v16, -v37
	v_mul_f32_e32 v16, v31, v19
	v_mul_f32_e32 v19, v30, v19
	v_fmac_f32_e32 v29, v45, v18
	v_add_f32_e32 v17, v21, v17
	v_add_f32_e32 v35, v35, v36
	v_fma_f32 v16, v30, v18, -v16
	v_fmac_f32_e32 v19, v31, v18
	s_waitcnt lgkmcnt(0)
	v_mul_f32_e32 v21, v47, v25
	v_mul_f32_e32 v18, v47, v27
	v_add_f32_e32 v28, v28, v34
	v_mul_f32_e32 v30, v46, v25
	v_add_f32_e32 v16, v22, v16
	v_fma_f32 v21, v46, v24, -v21
	v_fma_f32 v18, v46, v26, -v18
	v_mul_f32_e32 v31, v46, v27
	v_add_f32_e32 v34, v20, v19
	v_mul_f32_e32 v19, v32, v25
	v_add_f32_e32 v22, v2, v21
	v_add_f32_e32 v20, v35, v18
	v_mul_f32_e32 v2, v33, v25
	v_mul_f32_e32 v18, v33, v27
	;; [unrolled: 1-line block ×3, first 2 shown]
	v_add_f32_e32 v29, v38, v29
	v_fmac_f32_e32 v30, v47, v24
	v_fmac_f32_e32 v31, v47, v26
	v_fma_f32 v2, v32, v24, -v2
	v_fmac_f32_e32 v19, v33, v24
	v_fma_f32 v24, v32, v26, -v18
	v_fmac_f32_e32 v25, v33, v26
	v_add_f32_e32 v23, v23, v30
	v_add_f32_e32 v21, v29, v31
	;; [unrolled: 1-line block ×6, first 2 shown]
	s_barrier
	buffer_gl0_inv
	s_cbranch_vccz .LBB237_18
.LBB237_8:                              ; =>This Inner Loop Header: Depth=1
	s_mov_b32 s15, s12
	s_mov_b32 s13, 0
	s_and_saveexec_b32 s14, s0
	s_cbranch_execnz .LBB237_16
; %bb.9:                                ;   in Loop: Header=BB237_8 Depth=1
	s_or_b32 exec_lo, exec_lo, s14
	s_and_saveexec_b32 s14, s15
	s_xor_b32 s14, exec_lo, s14
	s_cbranch_execnz .LBB237_17
.LBB237_10:                             ;   in Loop: Header=BB237_8 Depth=1
	s_or_b32 exec_lo, exec_lo, s14
	s_and_saveexec_b32 s14, s13
	s_cbranch_execz .LBB237_12
.LBB237_11:                             ;   in Loop: Header=BB237_8 Depth=1
	v_lshlrev_b64 v[24:25], 3, v[4:5]
	v_add_co_u32 v24, vcc_lo, v9, v24
	v_add_co_ci_u32_e64 v25, null, v10, v25, vcc_lo
	global_load_dwordx2 v[24:25], v[24:25], off
	s_waitcnt vmcnt(0)
	ds_write_b64 v8, v[24:25]
.LBB237_12:                             ;   in Loop: Header=BB237_8 Depth=1
	s_or_b32 exec_lo, exec_lo, s14
	v_add_nc_u32_e32 v2, s2, v6
	v_cmp_le_u64_e32 vcc_lo, s[20:21], v[2:3]
	s_or_b32 s13, vcc_lo, s1
	s_and_saveexec_b32 s14, s13
	s_xor_b32 s13, exec_lo, s14
; %bb.13:                               ;   in Loop: Header=BB237_8 Depth=1
	v_mov_b32_e32 v2, v3
	ds_write_b64 v11, v[2:3]
; %bb.14:                               ;   in Loop: Header=BB237_8 Depth=1
	s_andn2_saveexec_b32 s13, s13
	s_cbranch_execz .LBB237_7
; %bb.15:                               ;   in Loop: Header=BB237_8 Depth=1
	v_lshlrev_b64 v[24:25], 3, v[2:3]
	v_add_co_u32 v24, vcc_lo, v12, v24
	v_add_co_ci_u32_e64 v25, null, v13, v25, vcc_lo
	global_load_dwordx2 v[24:25], v[24:25], off
	s_waitcnt vmcnt(0)
	ds_write_b64 v11, v[24:25]
	s_branch .LBB237_7
.LBB237_16:                             ;   in Loop: Header=BB237_8 Depth=1
	v_add_nc_u32_e32 v2, s2, v7
	v_mov_b32_e32 v5, v3
	s_andn2_b32 s15, s12, exec_lo
	s_mov_b32 s13, exec_lo
	v_cmp_le_u64_e32 vcc_lo, s[20:21], v[2:3]
	v_mov_b32_e32 v4, v2
	s_and_b32 s16, vcc_lo, exec_lo
	s_or_b32 s15, s15, s16
	s_or_b32 exec_lo, exec_lo, s14
	s_and_saveexec_b32 s14, s15
	s_xor_b32 s14, exec_lo, s14
	s_cbranch_execz .LBB237_10
.LBB237_17:                             ;   in Loop: Header=BB237_8 Depth=1
	v_mov_b32_e32 v2, v3
	s_andn2_b32 s13, s13, exec_lo
	ds_write_b64 v8, v[2:3]
	s_or_b32 exec_lo, exec_lo, s14
	s_and_saveexec_b32 s14, s13
	s_cbranch_execnz .LBB237_11
	s_branch .LBB237_12
.LBB237_18:
	s_clause 0x1
	s_load_dwordx4 s[12:15], s[4:5], 0x50
	s_load_dwordx2 s[2:3], s[4:5], 0x60
	v_add_nc_u32_e32 v9, s7, v1
	v_add_nc_u32_e32 v0, s6, v0
	v_cmp_neq_f32_e64 s4, s10, 0
	v_ashrrev_i32_e32 v1, 31, v9
	s_waitcnt lgkmcnt(0)
	v_cmp_gt_i32_e64 s0, s9, v9
	v_cmp_le_i32_e32 vcc_lo, v0, v9
	v_mul_lo_u32 v3, s14, v1
	v_mul_lo_u32 v4, s15, v9
	v_mad_u64_u32 v[1:2], null, s14, v9, 0
	s_mul_i32 s1, s3, s8
	s_mul_hi_u32 s3, s2, s8
	s_mul_i32 s2, s2, s8
	s_add_i32 s3, s3, s1
	s_lshl_b64 s[2:3], s[2:3], 3
	v_add3_u32 v2, v2, v3, v4
	s_add_u32 s2, s12, s2
	s_addc_u32 s3, s13, s3
	s_xor_b32 s5, s24, -1
	v_lshlrev_b64 v[2:3], 3, v[1:2]
	s_or_b32 s4, s4, s5
	v_ashrrev_i32_e32 v1, 31, v0
	v_cndmask_b32_e64 v8, 0, 1, s4
	s_and_b32 s5, s0, vcc_lo
	v_add_co_u32 v6, s1, s2, v2
	v_add_co_ci_u32_e64 v7, null, s3, v3, s1
	s_and_saveexec_b32 s1, s5
	s_cbranch_execz .LBB237_22
; %bb.19:
	v_lshlrev_b64 v[4:5], 3, v[0:1]
	v_mul_f32_e32 v2, s23, v23
	v_mul_f32_e32 v3, s22, v23
	v_fma_f32 v2, v22, s22, -v2
	v_add_co_u32 v4, vcc_lo, v6, v4
	v_fmac_f32_e32 v3, s23, v22
	v_add_co_ci_u32_e64 v5, null, v7, v5, vcc_lo
	s_andn2_b32 vcc_lo, exec_lo, s4
	s_cbranch_vccnz .LBB237_21
; %bb.20:
	global_load_dwordx2 v[10:11], v[4:5], off
	s_waitcnt vmcnt(0)
	v_mul_f32_e32 v12, s11, v11
	v_mul_f32_e32 v11, s10, v11
	v_fma_f32 v12, v10, s10, -v12
	v_fmac_f32_e32 v11, s11, v10
	v_add_f32_e32 v2, v2, v12
	v_add_f32_e32 v3, v3, v11
.LBB237_21:
	global_store_dwordx2 v[4:5], v[2:3], off
.LBB237_22:
	s_or_b32 exec_lo, exec_lo, s1
	v_add_nc_u32_e32 v2, 16, v0
	v_cmp_le_i32_e32 vcc_lo, v2, v9
	v_ashrrev_i32_e32 v3, 31, v2
	s_and_b32 s0, s0, vcc_lo
	s_and_saveexec_b32 s1, s0
	s_cbranch_execz .LBB237_26
; %bb.23:
	v_lshlrev_b64 v[10:11], 3, v[2:3]
	v_mul_f32_e32 v4, s23, v21
	v_mul_f32_e32 v5, s22, v21
	v_cmp_ne_u32_e32 vcc_lo, 1, v8
	v_fma_f32 v4, v20, s22, -v4
	v_add_co_u32 v6, s0, v6, v10
	v_fmac_f32_e32 v5, s23, v20
	v_add_co_ci_u32_e64 v7, null, v7, v11, s0
	s_cbranch_vccnz .LBB237_25
; %bb.24:
	global_load_dwordx2 v[10:11], v[6:7], off
	s_waitcnt vmcnt(0)
	v_mul_f32_e32 v12, s11, v11
	v_mul_f32_e32 v11, s10, v11
	v_fma_f32 v12, v10, s10, -v12
	v_fmac_f32_e32 v11, s11, v10
	v_add_f32_e32 v4, v4, v12
	v_add_f32_e32 v5, v5, v11
.LBB237_25:
	global_store_dwordx2 v[6:7], v[4:5], off
.LBB237_26:
	s_or_b32 exec_lo, exec_lo, s1
	v_add_nc_u32_e32 v9, 16, v9
	v_ashrrev_i32_e32 v6, 31, v9
	v_mul_lo_u32 v7, s15, v9
	v_mad_u64_u32 v[4:5], null, s14, v9, 0
	v_cmp_gt_i32_e64 s0, s9, v9
	v_mul_lo_u32 v6, s14, v6
	v_cmp_le_i32_e32 vcc_lo, v0, v9
	v_add3_u32 v5, v5, v6, v7
	v_lshlrev_b64 v[4:5], 3, v[4:5]
	v_add_co_u32 v6, s1, s2, v4
	v_add_co_ci_u32_e64 v7, null, s3, v5, s1
	s_and_b32 s1, s0, vcc_lo
	s_and_saveexec_b32 s2, s1
	s_cbranch_execz .LBB237_30
; %bb.27:
	v_lshlrev_b64 v[0:1], 3, v[0:1]
	v_mul_f32_e32 v4, s23, v19
	v_mul_f32_e32 v5, s22, v19
	v_cmp_ne_u32_e32 vcc_lo, 1, v8
	v_fma_f32 v4, v18, s22, -v4
	v_add_co_u32 v0, s1, v6, v0
	v_fmac_f32_e32 v5, s23, v18
	v_add_co_ci_u32_e64 v1, null, v7, v1, s1
	s_cbranch_vccnz .LBB237_29
; %bb.28:
	global_load_dwordx2 v[10:11], v[0:1], off
	s_waitcnt vmcnt(0)
	v_mul_f32_e32 v12, s11, v11
	v_mul_f32_e32 v11, s10, v11
	v_fma_f32 v12, v10, s10, -v12
	v_fmac_f32_e32 v11, s11, v10
	v_add_f32_e32 v4, v4, v12
	v_add_f32_e32 v5, v5, v11
.LBB237_29:
	global_store_dwordx2 v[0:1], v[4:5], off
.LBB237_30:
	s_or_b32 exec_lo, exec_lo, s2
	v_cmp_le_i32_e32 vcc_lo, v2, v9
	s_and_b32 s0, s0, vcc_lo
	s_and_saveexec_b32 s1, s0
	s_cbranch_execz .LBB237_34
; %bb.31:
	v_lshlrev_b64 v[2:3], 3, v[2:3]
	v_mul_f32_e32 v0, s23, v17
	v_mul_f32_e32 v1, s22, v17
	v_cmp_ne_u32_e32 vcc_lo, 1, v8
	v_fma_f32 v0, v16, s22, -v0
	v_add_co_u32 v2, s0, v6, v2
	v_fmac_f32_e32 v1, s23, v16
	v_add_co_ci_u32_e64 v3, null, v7, v3, s0
	s_cbranch_vccnz .LBB237_33
; %bb.32:
	global_load_dwordx2 v[4:5], v[2:3], off
	s_waitcnt vmcnt(0)
	v_mul_f32_e32 v6, s11, v5
	v_mul_f32_e32 v5, s10, v5
	v_fma_f32 v6, v4, s10, -v6
	v_fmac_f32_e32 v5, s11, v4
	v_add_f32_e32 v0, v0, v6
	v_add_f32_e32 v1, v1, v5
.LBB237_33:
	global_store_dwordx2 v[2:3], v[0:1], off
.LBB237_34:
	s_endpgm
	.section	.rodata,"a",@progbits
	.p2align	6, 0x0
	.amdhsa_kernel _ZL29rocblas_internal_gemmt_kernelIlLi16ELi32ELi8ELc84ELc78ELc85ELb0ELb0E19rocblas_complex_numIfES1_PKS1_PS1_EviT_T9_T10_S5_lS7_S5_lS6_T11_S5_li
		.amdhsa_group_segment_fixed_size 4096
		.amdhsa_private_segment_fixed_size 0
		.amdhsa_kernarg_size 108
		.amdhsa_user_sgpr_count 6
		.amdhsa_user_sgpr_private_segment_buffer 1
		.amdhsa_user_sgpr_dispatch_ptr 0
		.amdhsa_user_sgpr_queue_ptr 0
		.amdhsa_user_sgpr_kernarg_segment_ptr 1
		.amdhsa_user_sgpr_dispatch_id 0
		.amdhsa_user_sgpr_flat_scratch_init 0
		.amdhsa_user_sgpr_private_segment_size 0
		.amdhsa_wavefront_size32 1
		.amdhsa_uses_dynamic_stack 0
		.amdhsa_system_sgpr_private_segment_wavefront_offset 0
		.amdhsa_system_sgpr_workgroup_id_x 1
		.amdhsa_system_sgpr_workgroup_id_y 1
		.amdhsa_system_sgpr_workgroup_id_z 1
		.amdhsa_system_sgpr_workgroup_info 0
		.amdhsa_system_vgpr_workitem_id 1
		.amdhsa_next_free_vgpr 61
		.amdhsa_next_free_sgpr 27
		.amdhsa_reserve_vcc 1
		.amdhsa_reserve_flat_scratch 0
		.amdhsa_float_round_mode_32 0
		.amdhsa_float_round_mode_16_64 0
		.amdhsa_float_denorm_mode_32 3
		.amdhsa_float_denorm_mode_16_64 3
		.amdhsa_dx10_clamp 1
		.amdhsa_ieee_mode 1
		.amdhsa_fp16_overflow 0
		.amdhsa_workgroup_processor_mode 1
		.amdhsa_memory_ordered 1
		.amdhsa_forward_progress 1
		.amdhsa_shared_vgpr_count 0
		.amdhsa_exception_fp_ieee_invalid_op 0
		.amdhsa_exception_fp_denorm_src 0
		.amdhsa_exception_fp_ieee_div_zero 0
		.amdhsa_exception_fp_ieee_overflow 0
		.amdhsa_exception_fp_ieee_underflow 0
		.amdhsa_exception_fp_ieee_inexact 0
		.amdhsa_exception_int_div_zero 0
	.end_amdhsa_kernel
	.section	.text._ZL29rocblas_internal_gemmt_kernelIlLi16ELi32ELi8ELc84ELc78ELc85ELb0ELb0E19rocblas_complex_numIfES1_PKS1_PS1_EviT_T9_T10_S5_lS7_S5_lS6_T11_S5_li,"axG",@progbits,_ZL29rocblas_internal_gemmt_kernelIlLi16ELi32ELi8ELc84ELc78ELc85ELb0ELb0E19rocblas_complex_numIfES1_PKS1_PS1_EviT_T9_T10_S5_lS7_S5_lS6_T11_S5_li,comdat
.Lfunc_end237:
	.size	_ZL29rocblas_internal_gemmt_kernelIlLi16ELi32ELi8ELc84ELc78ELc85ELb0ELb0E19rocblas_complex_numIfES1_PKS1_PS1_EviT_T9_T10_S5_lS7_S5_lS6_T11_S5_li, .Lfunc_end237-_ZL29rocblas_internal_gemmt_kernelIlLi16ELi32ELi8ELc84ELc78ELc85ELb0ELb0E19rocblas_complex_numIfES1_PKS1_PS1_EviT_T9_T10_S5_lS7_S5_lS6_T11_S5_li
                                        ; -- End function
	.set _ZL29rocblas_internal_gemmt_kernelIlLi16ELi32ELi8ELc84ELc78ELc85ELb0ELb0E19rocblas_complex_numIfES1_PKS1_PS1_EviT_T9_T10_S5_lS7_S5_lS6_T11_S5_li.num_vgpr, 61
	.set _ZL29rocblas_internal_gemmt_kernelIlLi16ELi32ELi8ELc84ELc78ELc85ELb0ELb0E19rocblas_complex_numIfES1_PKS1_PS1_EviT_T9_T10_S5_lS7_S5_lS6_T11_S5_li.num_agpr, 0
	.set _ZL29rocblas_internal_gemmt_kernelIlLi16ELi32ELi8ELc84ELc78ELc85ELb0ELb0E19rocblas_complex_numIfES1_PKS1_PS1_EviT_T9_T10_S5_lS7_S5_lS6_T11_S5_li.numbered_sgpr, 27
	.set _ZL29rocblas_internal_gemmt_kernelIlLi16ELi32ELi8ELc84ELc78ELc85ELb0ELb0E19rocblas_complex_numIfES1_PKS1_PS1_EviT_T9_T10_S5_lS7_S5_lS6_T11_S5_li.num_named_barrier, 0
	.set _ZL29rocblas_internal_gemmt_kernelIlLi16ELi32ELi8ELc84ELc78ELc85ELb0ELb0E19rocblas_complex_numIfES1_PKS1_PS1_EviT_T9_T10_S5_lS7_S5_lS6_T11_S5_li.private_seg_size, 0
	.set _ZL29rocblas_internal_gemmt_kernelIlLi16ELi32ELi8ELc84ELc78ELc85ELb0ELb0E19rocblas_complex_numIfES1_PKS1_PS1_EviT_T9_T10_S5_lS7_S5_lS6_T11_S5_li.uses_vcc, 1
	.set _ZL29rocblas_internal_gemmt_kernelIlLi16ELi32ELi8ELc84ELc78ELc85ELb0ELb0E19rocblas_complex_numIfES1_PKS1_PS1_EviT_T9_T10_S5_lS7_S5_lS6_T11_S5_li.uses_flat_scratch, 0
	.set _ZL29rocblas_internal_gemmt_kernelIlLi16ELi32ELi8ELc84ELc78ELc85ELb0ELb0E19rocblas_complex_numIfES1_PKS1_PS1_EviT_T9_T10_S5_lS7_S5_lS6_T11_S5_li.has_dyn_sized_stack, 0
	.set _ZL29rocblas_internal_gemmt_kernelIlLi16ELi32ELi8ELc84ELc78ELc85ELb0ELb0E19rocblas_complex_numIfES1_PKS1_PS1_EviT_T9_T10_S5_lS7_S5_lS6_T11_S5_li.has_recursion, 0
	.set _ZL29rocblas_internal_gemmt_kernelIlLi16ELi32ELi8ELc84ELc78ELc85ELb0ELb0E19rocblas_complex_numIfES1_PKS1_PS1_EviT_T9_T10_S5_lS7_S5_lS6_T11_S5_li.has_indirect_call, 0
	.section	.AMDGPU.csdata,"",@progbits
; Kernel info:
; codeLenInByte = 2636
; TotalNumSgprs: 29
; NumVgprs: 61
; ScratchSize: 0
; MemoryBound: 0
; FloatMode: 240
; IeeeMode: 1
; LDSByteSize: 4096 bytes/workgroup (compile time only)
; SGPRBlocks: 0
; VGPRBlocks: 7
; NumSGPRsForWavesPerEU: 29
; NumVGPRsForWavesPerEU: 61
; Occupancy: 16
; WaveLimiterHint : 0
; COMPUTE_PGM_RSRC2:SCRATCH_EN: 0
; COMPUTE_PGM_RSRC2:USER_SGPR: 6
; COMPUTE_PGM_RSRC2:TRAP_HANDLER: 0
; COMPUTE_PGM_RSRC2:TGID_X_EN: 1
; COMPUTE_PGM_RSRC2:TGID_Y_EN: 1
; COMPUTE_PGM_RSRC2:TGID_Z_EN: 1
; COMPUTE_PGM_RSRC2:TIDIG_COMP_CNT: 1
	.section	.text._ZL29rocblas_internal_gemmt_kernelIlLi16ELi32ELi8ELc84ELc84ELc85ELb0ELb0E19rocblas_complex_numIfES1_PKS1_PS1_EviT_T9_T10_S5_lS7_S5_lS6_T11_S5_li,"axG",@progbits,_ZL29rocblas_internal_gemmt_kernelIlLi16ELi32ELi8ELc84ELc84ELc85ELb0ELb0E19rocblas_complex_numIfES1_PKS1_PS1_EviT_T9_T10_S5_lS7_S5_lS6_T11_S5_li,comdat
	.globl	_ZL29rocblas_internal_gemmt_kernelIlLi16ELi32ELi8ELc84ELc84ELc85ELb0ELb0E19rocblas_complex_numIfES1_PKS1_PS1_EviT_T9_T10_S5_lS7_S5_lS6_T11_S5_li ; -- Begin function _ZL29rocblas_internal_gemmt_kernelIlLi16ELi32ELi8ELc84ELc84ELc85ELb0ELb0E19rocblas_complex_numIfES1_PKS1_PS1_EviT_T9_T10_S5_lS7_S5_lS6_T11_S5_li
	.p2align	8
	.type	_ZL29rocblas_internal_gemmt_kernelIlLi16ELi32ELi8ELc84ELc84ELc85ELb0ELb0E19rocblas_complex_numIfES1_PKS1_PS1_EviT_T9_T10_S5_lS7_S5_lS6_T11_S5_li,@function
_ZL29rocblas_internal_gemmt_kernelIlLi16ELi32ELi8ELc84ELc84ELc85ELb0ELb0E19rocblas_complex_numIfES1_PKS1_PS1_EviT_T9_T10_S5_lS7_S5_lS6_T11_S5_li: ; @_ZL29rocblas_internal_gemmt_kernelIlLi16ELi32ELi8ELc84ELc84ELc85ELb0ELb0E19rocblas_complex_numIfES1_PKS1_PS1_EviT_T9_T10_S5_lS7_S5_lS6_T11_S5_li
; %bb.0:
	s_clause 0x1
	s_load_dwordx2 s[2:3], s[4:5], 0x48
	s_load_dwordx4 s[20:23], s[4:5], 0x8
	s_waitcnt lgkmcnt(0)
	s_and_b32 s0, s3, 0x7fffffff
	v_cmp_eq_f32_e64 s1, s2, 1.0
	s_cmp_eq_u32 s0, 0
	s_mov_b32 s0, 0
	s_cselect_b32 s10, -1, 0
	s_and_b32 s1, s1, s10
	s_andn2_b32 vcc_lo, exec_lo, s1
	s_mov_b32 s1, -1
	s_cbranch_vccnz .LBB238_4
; %bb.1:
	s_cmp_lg_u64 s[20:21], 0
	s_cbranch_scc0 .LBB238_3
; %bb.2:
	v_cmp_neq_f32_e64 s0, s22, 0
	v_cmp_neq_f32_e64 s1, s23, 0
	s_or_b32 s0, s0, s1
.LBB238_3:
	s_mov_b32 s1, s0
.LBB238_4:
	s_and_b32 vcc_lo, exec_lo, s1
	s_cbranch_vccz .LBB238_34
; %bb.5:
	s_load_dword s9, s[4:5], 0x0
	v_cmp_eq_f32_e64 s0, s22, 0
	v_cmp_eq_f32_e64 s1, s23, 0
	v_cmp_lt_i64_e64 s12, s[20:21], 1
	v_mov_b32_e32 v22, 0
	v_mov_b32_e32 v23, 0
	;; [unrolled: 1-line block ×3, first 2 shown]
	s_and_b32 s0, s0, s1
	v_mov_b32_e32 v21, 0
	v_mov_b32_e32 v18, 0
	;; [unrolled: 1-line block ×5, first 2 shown]
	s_or_b32 s0, s0, s12
	s_lshl_b32 s11, s6, 5
	s_and_b32 vcc_lo, exec_lo, s0
	s_lshl_b32 s28, s7, 5
	s_cbranch_vccnz .LBB238_18
; %bb.6:
	s_clause 0x1
	s_load_dwordx4 s[24:27], s[4:5], 0x38
	s_load_dwordx8 s[12:19], s[4:5], 0x18
	v_lshl_add_u32 v2, v1, 4, v0
	v_and_b32_e32 v6, 7, v0
	v_lshlrev_b32_e32 v14, 3, v0
	v_lshl_add_u32 v15, v1, 6, 0x800
	v_mov_b32_e32 v17, 0
	v_and_b32_e32 v4, 31, v2
	v_lshrrev_b32_e32 v3, 3, v2
	v_lshlrev_b32_e32 v5, 3, v6
	v_lshrrev_b32_e32 v7, 5, v2
	v_mov_b32_e32 v16, 0
	v_or_b32_e32 v8, s11, v4
	v_lshlrev_b32_e32 v9, 3, v4
	v_lshl_or_b32 v12, v3, 6, v5
	v_add_nc_u32_e32 v2, s28, v3
	v_mov_b32_e32 v19, 0
	v_mov_b32_e32 v18, 0
	;; [unrolled: 1-line block ×4, first 2 shown]
	s_waitcnt lgkmcnt(0)
	s_mul_i32 s1, s27, s8
	s_mul_hi_u32 s6, s26, s8
	s_mul_i32 s0, s26, s8
	s_add_i32 s1, s6, s1
	s_mul_i32 s7, s17, s8
	s_lshl_b64 s[0:1], s[0:1], 3
	s_mul_hi_u32 s17, s16, s8
	v_mul_lo_u32 v10, s15, v8
	s_add_u32 s15, s18, s0
	s_mul_i32 s6, s16, s8
	s_addc_u32 s16, s19, s1
	s_add_i32 s7, s17, s7
	v_mad_u64_u32 v[4:5], null, s14, v8, 0
	s_lshl_b64 s[0:1], s[6:7], 3
	v_ashrrev_i32_e32 v3, 31, v2
	s_add_u32 s6, s12, s0
	s_addc_u32 s7, s13, s1
	s_ashr_i32 s1, s11, 31
	v_cmp_gt_i32_e32 vcc_lo, s9, v2
	s_mul_i32 s1, s14, s1
	v_cmp_gt_i32_e64 s0, s9, v8
	v_add3_u32 v5, v5, s1, v10
	v_lshlrev_b64 v[10:11], 3, v[2:3]
	v_cmp_le_i32_e64 s12, s9, v8
	v_lshl_or_b32 v8, v7, 8, v9
	v_add_nc_u32_e32 v9, 0x800, v12
	v_lshlrev_b64 v[2:3], 3, v[4:5]
	v_mov_b32_e32 v23, 0
	v_add_co_u32 v10, s1, s15, v10
	v_add_co_ci_u32_e64 v11, null, s16, v11, s1
	v_add_co_u32 v12, s1, s6, v2
	v_add_co_ci_u32_e64 v13, null, s7, v3, s1
	v_mov_b32_e32 v3, 0
	v_mov_b32_e32 v22, 0
	s_mov_b64 s[6:7], 0
	s_xor_b32 s1, vcc_lo, -1
                                        ; implicit-def: $vgpr4_vgpr5
	s_branch .LBB238_8
.LBB238_7:                              ;   in Loop: Header=BB238_8 Depth=1
	s_or_b32 exec_lo, exec_lo, s13
	s_waitcnt lgkmcnt(0)
	s_barrier
	buffer_gl0_inv
	ds_read_b128 v[24:27], v15
	ds_read2_b64 v[28:31], v14 offset1:16
	ds_read_b128 v[32:35], v15 offset:1024
	ds_read_b128 v[36:39], v15 offset:16
	;; [unrolled: 1-line block ×4, first 2 shown]
	ds_read2_b64 v[48:51], v14 offset0:32 offset1:48
	ds_read_b128 v[52:55], v15 offset:1040
	s_add_u32 s6, s6, 8
	s_addc_u32 s7, s7, 0
	v_cmp_gt_i64_e64 s13, s[20:21], s[6:7]
	s_and_b32 vcc_lo, exec_lo, s13
	s_waitcnt lgkmcnt(6)
	v_mul_f32_e32 v2, v25, v29
	v_mul_f32_e32 v56, v24, v29
	;; [unrolled: 1-line block ×4, first 2 shown]
	s_waitcnt lgkmcnt(5)
	v_mul_f32_e32 v59, v33, v29
	v_mul_f32_e32 v29, v32, v29
	;; [unrolled: 1-line block ×3, first 2 shown]
	v_fma_f32 v2, v24, v28, -v2
	v_fmac_f32_e32 v56, v25, v28
	v_fma_f32 v24, v24, v30, -v57
	v_fmac_f32_e32 v58, v25, v30
	;; [unrolled: 2-line block ×3, first 2 shown]
	v_mul_f32_e32 v31, v32, v31
	v_fma_f32 v28, v32, v30, -v60
	v_add_f32_e32 v2, v22, v2
	v_add_f32_e32 v22, v23, v56
	;; [unrolled: 1-line block ×6, first 2 shown]
	s_waitcnt lgkmcnt(1)
	v_mul_f32_e32 v32, v27, v49
	ds_read2_b64 v[18:21], v14 offset0:64 offset1:80
	v_fmac_f32_e32 v31, v33, v30
	v_add_f32_e32 v16, v16, v28
	v_mul_f32_e32 v28, v26, v49
	v_fma_f32 v30, v26, v48, -v32
	v_mul_f32_e32 v32, v27, v51
	v_add_f32_e32 v17, v17, v31
	v_mul_f32_e32 v31, v26, v51
	v_fmac_f32_e32 v28, v27, v48
	v_add_f32_e32 v2, v2, v30
	v_fma_f32 v26, v26, v50, -v32
	v_mul_f32_e32 v30, v35, v49
	v_fmac_f32_e32 v31, v27, v50
	v_add_f32_e32 v28, v22, v28
	v_mul_f32_e32 v22, v34, v49
	v_add_f32_e32 v26, v23, v26
	v_fma_f32 v23, v34, v48, -v30
	v_mul_f32_e32 v27, v35, v51
	v_add_f32_e32 v30, v24, v31
	v_fmac_f32_e32 v22, v35, v48
	v_mul_f32_e32 v31, v34, v51
	v_add_f32_e32 v32, v25, v23
	v_fma_f32 v23, v34, v50, -v27
	s_waitcnt lgkmcnt(0)
	v_mul_f32_e32 v24, v37, v19
	v_add_f32_e32 v27, v29, v22
	v_fmac_f32_e32 v31, v35, v50
	v_mul_f32_e32 v29, v36, v19
	v_add_f32_e32 v16, v16, v23
	v_fma_f32 v33, v36, v18, -v24
	v_mul_f32_e32 v34, v37, v21
	ds_read2_b64 v[22:25], v14 offset0:96 offset1:112
	v_fmac_f32_e32 v29, v37, v18
	v_add_f32_e32 v31, v17, v31
	v_add_f32_e32 v2, v2, v33
	v_mul_f32_e32 v17, v36, v21
	v_fma_f32 v33, v36, v20, -v34
	v_add_f32_e32 v28, v28, v29
	v_mul_f32_e32 v29, v53, v19
	v_mul_f32_e32 v19, v52, v19
	v_fmac_f32_e32 v17, v37, v20
	v_add_f32_e32 v26, v26, v33
	v_mul_f32_e32 v33, v53, v21
	v_mul_f32_e32 v21, v52, v21
	v_fmac_f32_e32 v19, v53, v18
	v_add_f32_e32 v30, v30, v17
	v_fma_f32 v29, v52, v18, -v29
	v_fma_f32 v17, v52, v20, -v33
	v_fmac_f32_e32 v21, v53, v20
	v_add_f32_e32 v33, v27, v19
	s_waitcnt lgkmcnt(0)
	v_mul_f32_e32 v20, v39, v23
	v_add_f32_e32 v34, v16, v17
	ds_read2_b64 v[16:19], v14 offset0:128 offset1:144
	v_add_f32_e32 v32, v32, v29
	v_mul_f32_e32 v27, v38, v23
	v_mul_f32_e32 v29, v39, v25
	v_fma_f32 v20, v38, v22, -v20
	v_add_f32_e32 v31, v31, v21
	v_mul_f32_e32 v21, v38, v25
	v_fmac_f32_e32 v27, v39, v22
	v_fma_f32 v29, v38, v24, -v29
	v_add_f32_e32 v2, v2, v20
	v_mul_f32_e32 v20, v55, v23
	v_fmac_f32_e32 v21, v39, v24
	v_add_f32_e32 v35, v28, v27
	v_add_f32_e32 v36, v26, v29
	v_mul_f32_e32 v23, v54, v23
	v_fma_f32 v20, v54, v22, -v20
	v_mul_f32_e32 v37, v55, v25
	ds_read_b128 v[26:29], v15 offset:1056
	v_add_f32_e32 v38, v30, v21
	v_fmac_f32_e32 v23, v55, v22
	v_mul_f32_e32 v25, v54, v25
	v_fma_f32 v21, v54, v24, -v37
	v_add_f32_e32 v37, v32, v20
	s_waitcnt lgkmcnt(1)
	v_mul_f32_e32 v20, v41, v17
	v_add_f32_e32 v39, v33, v23
	v_fmac_f32_e32 v25, v55, v24
	v_add_f32_e32 v24, v34, v21
	v_mul_f32_e32 v32, v41, v19
	v_fma_f32 v30, v40, v16, -v20
	ds_read2_b64 v[20:23], v14 offset0:160 offset1:176
	v_mul_f32_e32 v34, v40, v17
	v_add_f32_e32 v25, v31, v25
	v_fma_f32 v48, v40, v18, -v32
	v_mul_f32_e32 v40, v40, v19
	v_add_f32_e32 v2, v2, v30
	v_fmac_f32_e32 v34, v41, v16
	ds_read_b128 v[30:33], v15 offset:1072
	s_waitcnt lgkmcnt(2)
	v_mul_f32_e32 v49, v27, v17
	v_mul_f32_e32 v17, v26, v17
	v_fmac_f32_e32 v40, v41, v18
	v_mul_f32_e32 v41, v27, v19
	v_add_f32_e32 v34, v35, v34
	v_add_f32_e32 v35, v36, v48
	v_fma_f32 v36, v26, v16, -v49
	v_fmac_f32_e32 v17, v27, v16
	v_add_f32_e32 v38, v38, v40
	v_mul_f32_e32 v40, v26, v19
	v_fma_f32 v16, v26, v18, -v41
	v_add_f32_e32 v36, v37, v36
	v_add_f32_e32 v26, v39, v17
	s_waitcnt lgkmcnt(1)
	v_mul_f32_e32 v37, v43, v21
	v_fmac_f32_e32 v40, v27, v18
	v_add_f32_e32 v24, v24, v16
	ds_read2_b64 v[16:19], v14 offset0:192 offset1:208
	v_mul_f32_e32 v27, v42, v21
	v_fma_f32 v37, v42, v20, -v37
	v_mul_f32_e32 v39, v43, v23
	v_add_f32_e32 v40, v25, v40
	v_mul_f32_e32 v25, v42, v23
	v_fmac_f32_e32 v27, v43, v20
	v_add_f32_e32 v2, v2, v37
	v_fma_f32 v37, v42, v22, -v39
	v_fmac_f32_e32 v25, v43, v22
	v_add_f32_e32 v34, v34, v27
	v_mul_f32_e32 v27, v29, v21
	v_mul_f32_e32 v21, v28, v21
	v_add_f32_e32 v35, v35, v37
	v_mul_f32_e32 v37, v29, v23
	v_add_f32_e32 v38, v38, v25
	v_fma_f32 v27, v28, v20, -v27
	v_fmac_f32_e32 v21, v29, v20
	v_mul_f32_e32 v20, v28, v23
	v_fma_f32 v23, v28, v22, -v37
	s_waitcnt lgkmcnt(0)
	v_mul_f32_e32 v25, v45, v17
	v_add_f32_e32 v28, v36, v27
	v_add_f32_e32 v21, v26, v21
	v_fmac_f32_e32 v20, v29, v22
	v_add_f32_e32 v22, v24, v23
	v_fma_f32 v29, v44, v16, -v25
	ds_read2_b64 v[24:27], v14 offset0:224 offset1:240
	v_mul_f32_e32 v23, v44, v17
	v_mul_f32_e32 v37, v31, v17
	v_mul_f32_e32 v17, v30, v17
	v_mul_f32_e32 v36, v45, v19
	v_add_f32_e32 v2, v2, v29
	v_fmac_f32_e32 v23, v45, v16
	v_mul_f32_e32 v29, v44, v19
	v_fmac_f32_e32 v17, v31, v16
	v_fma_f32 v36, v44, v18, -v36
	v_add_f32_e32 v20, v40, v20
	v_add_f32_e32 v23, v34, v23
	v_fma_f32 v34, v30, v16, -v37
	v_mul_f32_e32 v16, v31, v19
	v_mul_f32_e32 v19, v30, v19
	v_fmac_f32_e32 v29, v45, v18
	v_add_f32_e32 v17, v21, v17
	v_add_f32_e32 v35, v35, v36
	v_fma_f32 v16, v30, v18, -v16
	v_fmac_f32_e32 v19, v31, v18
	s_waitcnt lgkmcnt(0)
	v_mul_f32_e32 v21, v47, v25
	v_mul_f32_e32 v18, v47, v27
	v_add_f32_e32 v28, v28, v34
	v_mul_f32_e32 v30, v46, v25
	v_add_f32_e32 v16, v22, v16
	v_fma_f32 v21, v46, v24, -v21
	v_fma_f32 v18, v46, v26, -v18
	v_mul_f32_e32 v31, v46, v27
	v_add_f32_e32 v34, v20, v19
	v_mul_f32_e32 v19, v32, v25
	v_add_f32_e32 v22, v2, v21
	v_add_f32_e32 v20, v35, v18
	v_mul_f32_e32 v2, v33, v25
	v_mul_f32_e32 v18, v33, v27
	;; [unrolled: 1-line block ×3, first 2 shown]
	v_add_f32_e32 v29, v38, v29
	v_fmac_f32_e32 v30, v47, v24
	v_fmac_f32_e32 v31, v47, v26
	v_fma_f32 v2, v32, v24, -v2
	v_fmac_f32_e32 v19, v33, v24
	v_fma_f32 v24, v32, v26, -v18
	v_fmac_f32_e32 v25, v33, v26
	v_add_f32_e32 v23, v23, v30
	v_add_f32_e32 v21, v29, v31
	;; [unrolled: 1-line block ×6, first 2 shown]
	s_barrier
	buffer_gl0_inv
	s_cbranch_vccz .LBB238_18
.LBB238_8:                              ; =>This Inner Loop Header: Depth=1
	s_mov_b32 s15, s12
	s_mov_b32 s13, 0
	s_and_saveexec_b32 s14, s0
	s_cbranch_execnz .LBB238_16
; %bb.9:                                ;   in Loop: Header=BB238_8 Depth=1
	s_or_b32 exec_lo, exec_lo, s14
	s_and_saveexec_b32 s14, s15
	s_xor_b32 s14, exec_lo, s14
	s_cbranch_execnz .LBB238_17
.LBB238_10:                             ;   in Loop: Header=BB238_8 Depth=1
	s_or_b32 exec_lo, exec_lo, s14
	s_and_saveexec_b32 s14, s13
	s_cbranch_execz .LBB238_12
.LBB238_11:                             ;   in Loop: Header=BB238_8 Depth=1
	v_lshlrev_b64 v[24:25], 3, v[4:5]
	v_add_co_u32 v24, vcc_lo, v12, v24
	v_add_co_ci_u32_e64 v25, null, v13, v25, vcc_lo
	global_load_dwordx2 v[24:25], v[24:25], off
	s_waitcnt vmcnt(0)
	ds_write_b64 v8, v[24:25]
.LBB238_12:                             ;   in Loop: Header=BB238_8 Depth=1
	s_or_b32 exec_lo, exec_lo, s14
	v_add_nc_u32_e32 v2, s6, v6
	v_cmp_le_u64_e32 vcc_lo, s[20:21], v[2:3]
	s_or_b32 s13, vcc_lo, s1
	s_and_saveexec_b32 s14, s13
	s_xor_b32 s13, exec_lo, s14
; %bb.13:                               ;   in Loop: Header=BB238_8 Depth=1
	v_mov_b32_e32 v2, v3
	ds_write_b64 v9, v[2:3]
; %bb.14:                               ;   in Loop: Header=BB238_8 Depth=1
	s_andn2_saveexec_b32 s13, s13
	s_cbranch_execz .LBB238_7
; %bb.15:                               ;   in Loop: Header=BB238_8 Depth=1
	v_mad_u64_u32 v[24:25], null, s24, v2, 0
	v_mad_u64_u32 v[25:26], null, s25, v2, v[25:26]
	v_lshlrev_b64 v[24:25], 3, v[24:25]
	v_add_co_u32 v24, vcc_lo, v10, v24
	v_add_co_ci_u32_e64 v25, null, v11, v25, vcc_lo
	global_load_dwordx2 v[24:25], v[24:25], off
	s_waitcnt vmcnt(0)
	ds_write_b64 v9, v[24:25]
	s_branch .LBB238_7
.LBB238_16:                             ;   in Loop: Header=BB238_8 Depth=1
	v_add_nc_u32_e32 v2, s6, v7
	v_mov_b32_e32 v5, v3
	s_andn2_b32 s15, s12, exec_lo
	s_mov_b32 s13, exec_lo
	v_cmp_le_u64_e32 vcc_lo, s[20:21], v[2:3]
	v_mov_b32_e32 v4, v2
	s_and_b32 s16, vcc_lo, exec_lo
	s_or_b32 s15, s15, s16
	s_or_b32 exec_lo, exec_lo, s14
	s_and_saveexec_b32 s14, s15
	s_xor_b32 s14, exec_lo, s14
	s_cbranch_execz .LBB238_10
.LBB238_17:                             ;   in Loop: Header=BB238_8 Depth=1
	v_mov_b32_e32 v2, v3
	s_andn2_b32 s13, s13, exec_lo
	ds_write_b64 v8, v[2:3]
	s_or_b32 exec_lo, exec_lo, s14
	s_and_saveexec_b32 s14, s13
	s_cbranch_execnz .LBB238_11
	s_branch .LBB238_12
.LBB238_18:
	s_clause 0x1
	s_load_dwordx4 s[12:15], s[4:5], 0x50
	s_load_dwordx2 s[4:5], s[4:5], 0x60
	v_add_nc_u32_e32 v9, s28, v1
	v_add_nc_u32_e32 v0, s11, v0
	v_cmp_neq_f32_e64 s6, s2, 0
	v_ashrrev_i32_e32 v1, 31, v9
	s_waitcnt lgkmcnt(0)
	v_cmp_gt_i32_e64 s0, s9, v9
	v_cmp_le_i32_e32 vcc_lo, v0, v9
	v_mul_lo_u32 v3, s14, v1
	v_mul_lo_u32 v4, s15, v9
	v_mad_u64_u32 v[1:2], null, s14, v9, 0
	s_mul_i32 s1, s5, s8
	s_mul_hi_u32 s5, s4, s8
	s_mul_i32 s4, s4, s8
	s_add_i32 s5, s5, s1
	s_lshl_b64 s[4:5], s[4:5], 3
	v_add3_u32 v2, v2, v3, v4
	s_add_u32 s4, s12, s4
	s_addc_u32 s5, s13, s5
	s_xor_b32 s7, s10, -1
	v_lshlrev_b64 v[2:3], 3, v[1:2]
	s_or_b32 s6, s6, s7
	v_ashrrev_i32_e32 v1, 31, v0
	v_cndmask_b32_e64 v8, 0, 1, s6
	s_and_b32 s7, s0, vcc_lo
	v_add_co_u32 v6, s1, s4, v2
	v_add_co_ci_u32_e64 v7, null, s5, v3, s1
	s_and_saveexec_b32 s1, s7
	s_cbranch_execz .LBB238_22
; %bb.19:
	v_lshlrev_b64 v[4:5], 3, v[0:1]
	v_mul_f32_e32 v2, s23, v23
	v_mul_f32_e32 v3, s22, v23
	v_fma_f32 v2, v22, s22, -v2
	v_add_co_u32 v4, vcc_lo, v6, v4
	v_fmac_f32_e32 v3, s23, v22
	v_add_co_ci_u32_e64 v5, null, v7, v5, vcc_lo
	s_andn2_b32 vcc_lo, exec_lo, s6
	s_cbranch_vccnz .LBB238_21
; %bb.20:
	global_load_dwordx2 v[10:11], v[4:5], off
	s_waitcnt vmcnt(0)
	v_mul_f32_e32 v12, s3, v11
	v_mul_f32_e32 v11, s2, v11
	v_fma_f32 v12, v10, s2, -v12
	v_fmac_f32_e32 v11, s3, v10
	v_add_f32_e32 v2, v2, v12
	v_add_f32_e32 v3, v3, v11
.LBB238_21:
	global_store_dwordx2 v[4:5], v[2:3], off
.LBB238_22:
	s_or_b32 exec_lo, exec_lo, s1
	v_add_nc_u32_e32 v2, 16, v0
	v_cmp_le_i32_e32 vcc_lo, v2, v9
	v_ashrrev_i32_e32 v3, 31, v2
	s_and_b32 s0, s0, vcc_lo
	s_and_saveexec_b32 s1, s0
	s_cbranch_execz .LBB238_26
; %bb.23:
	v_lshlrev_b64 v[10:11], 3, v[2:3]
	v_mul_f32_e32 v4, s23, v21
	v_mul_f32_e32 v5, s22, v21
	v_cmp_ne_u32_e32 vcc_lo, 1, v8
	v_fma_f32 v4, v20, s22, -v4
	v_add_co_u32 v6, s0, v6, v10
	v_fmac_f32_e32 v5, s23, v20
	v_add_co_ci_u32_e64 v7, null, v7, v11, s0
	s_cbranch_vccnz .LBB238_25
; %bb.24:
	global_load_dwordx2 v[10:11], v[6:7], off
	s_waitcnt vmcnt(0)
	v_mul_f32_e32 v12, s3, v11
	v_mul_f32_e32 v11, s2, v11
	v_fma_f32 v12, v10, s2, -v12
	v_fmac_f32_e32 v11, s3, v10
	v_add_f32_e32 v4, v4, v12
	v_add_f32_e32 v5, v5, v11
.LBB238_25:
	global_store_dwordx2 v[6:7], v[4:5], off
.LBB238_26:
	s_or_b32 exec_lo, exec_lo, s1
	v_add_nc_u32_e32 v9, 16, v9
	v_ashrrev_i32_e32 v6, 31, v9
	v_mul_lo_u32 v7, s15, v9
	v_mad_u64_u32 v[4:5], null, s14, v9, 0
	v_cmp_gt_i32_e64 s0, s9, v9
	v_mul_lo_u32 v6, s14, v6
	v_cmp_le_i32_e32 vcc_lo, v0, v9
	v_add3_u32 v5, v5, v6, v7
	v_lshlrev_b64 v[4:5], 3, v[4:5]
	v_add_co_u32 v6, s1, s4, v4
	v_add_co_ci_u32_e64 v7, null, s5, v5, s1
	s_and_b32 s1, s0, vcc_lo
	s_and_saveexec_b32 s4, s1
	s_cbranch_execz .LBB238_30
; %bb.27:
	v_lshlrev_b64 v[0:1], 3, v[0:1]
	v_mul_f32_e32 v4, s23, v19
	v_mul_f32_e32 v5, s22, v19
	v_cmp_ne_u32_e32 vcc_lo, 1, v8
	v_fma_f32 v4, v18, s22, -v4
	v_add_co_u32 v0, s1, v6, v0
	v_fmac_f32_e32 v5, s23, v18
	v_add_co_ci_u32_e64 v1, null, v7, v1, s1
	s_cbranch_vccnz .LBB238_29
; %bb.28:
	global_load_dwordx2 v[10:11], v[0:1], off
	s_waitcnt vmcnt(0)
	v_mul_f32_e32 v12, s3, v11
	v_mul_f32_e32 v11, s2, v11
	v_fma_f32 v12, v10, s2, -v12
	v_fmac_f32_e32 v11, s3, v10
	v_add_f32_e32 v4, v4, v12
	v_add_f32_e32 v5, v5, v11
.LBB238_29:
	global_store_dwordx2 v[0:1], v[4:5], off
.LBB238_30:
	s_or_b32 exec_lo, exec_lo, s4
	v_cmp_le_i32_e32 vcc_lo, v2, v9
	s_and_b32 s0, s0, vcc_lo
	s_and_saveexec_b32 s1, s0
	s_cbranch_execz .LBB238_34
; %bb.31:
	v_lshlrev_b64 v[2:3], 3, v[2:3]
	v_mul_f32_e32 v0, s23, v17
	v_mul_f32_e32 v1, s22, v17
	v_cmp_ne_u32_e32 vcc_lo, 1, v8
	v_fma_f32 v0, v16, s22, -v0
	v_add_co_u32 v2, s0, v6, v2
	v_fmac_f32_e32 v1, s23, v16
	v_add_co_ci_u32_e64 v3, null, v7, v3, s0
	s_cbranch_vccnz .LBB238_33
; %bb.32:
	global_load_dwordx2 v[4:5], v[2:3], off
	s_waitcnt vmcnt(0)
	v_mul_f32_e32 v6, s3, v5
	v_mul_f32_e32 v5, s2, v5
	v_fma_f32 v6, v4, s2, -v6
	v_fmac_f32_e32 v5, s3, v4
	v_add_f32_e32 v0, v0, v6
	v_add_f32_e32 v1, v1, v5
.LBB238_33:
	global_store_dwordx2 v[2:3], v[0:1], off
.LBB238_34:
	s_endpgm
	.section	.rodata,"a",@progbits
	.p2align	6, 0x0
	.amdhsa_kernel _ZL29rocblas_internal_gemmt_kernelIlLi16ELi32ELi8ELc84ELc84ELc85ELb0ELb0E19rocblas_complex_numIfES1_PKS1_PS1_EviT_T9_T10_S5_lS7_S5_lS6_T11_S5_li
		.amdhsa_group_segment_fixed_size 4096
		.amdhsa_private_segment_fixed_size 0
		.amdhsa_kernarg_size 108
		.amdhsa_user_sgpr_count 6
		.amdhsa_user_sgpr_private_segment_buffer 1
		.amdhsa_user_sgpr_dispatch_ptr 0
		.amdhsa_user_sgpr_queue_ptr 0
		.amdhsa_user_sgpr_kernarg_segment_ptr 1
		.amdhsa_user_sgpr_dispatch_id 0
		.amdhsa_user_sgpr_flat_scratch_init 0
		.amdhsa_user_sgpr_private_segment_size 0
		.amdhsa_wavefront_size32 1
		.amdhsa_uses_dynamic_stack 0
		.amdhsa_system_sgpr_private_segment_wavefront_offset 0
		.amdhsa_system_sgpr_workgroup_id_x 1
		.amdhsa_system_sgpr_workgroup_id_y 1
		.amdhsa_system_sgpr_workgroup_id_z 1
		.amdhsa_system_sgpr_workgroup_info 0
		.amdhsa_system_vgpr_workitem_id 1
		.amdhsa_next_free_vgpr 61
		.amdhsa_next_free_sgpr 29
		.amdhsa_reserve_vcc 1
		.amdhsa_reserve_flat_scratch 0
		.amdhsa_float_round_mode_32 0
		.amdhsa_float_round_mode_16_64 0
		.amdhsa_float_denorm_mode_32 3
		.amdhsa_float_denorm_mode_16_64 3
		.amdhsa_dx10_clamp 1
		.amdhsa_ieee_mode 1
		.amdhsa_fp16_overflow 0
		.amdhsa_workgroup_processor_mode 1
		.amdhsa_memory_ordered 1
		.amdhsa_forward_progress 1
		.amdhsa_shared_vgpr_count 0
		.amdhsa_exception_fp_ieee_invalid_op 0
		.amdhsa_exception_fp_denorm_src 0
		.amdhsa_exception_fp_ieee_div_zero 0
		.amdhsa_exception_fp_ieee_overflow 0
		.amdhsa_exception_fp_ieee_underflow 0
		.amdhsa_exception_fp_ieee_inexact 0
		.amdhsa_exception_int_div_zero 0
	.end_amdhsa_kernel
	.section	.text._ZL29rocblas_internal_gemmt_kernelIlLi16ELi32ELi8ELc84ELc84ELc85ELb0ELb0E19rocblas_complex_numIfES1_PKS1_PS1_EviT_T9_T10_S5_lS7_S5_lS6_T11_S5_li,"axG",@progbits,_ZL29rocblas_internal_gemmt_kernelIlLi16ELi32ELi8ELc84ELc84ELc85ELb0ELb0E19rocblas_complex_numIfES1_PKS1_PS1_EviT_T9_T10_S5_lS7_S5_lS6_T11_S5_li,comdat
.Lfunc_end238:
	.size	_ZL29rocblas_internal_gemmt_kernelIlLi16ELi32ELi8ELc84ELc84ELc85ELb0ELb0E19rocblas_complex_numIfES1_PKS1_PS1_EviT_T9_T10_S5_lS7_S5_lS6_T11_S5_li, .Lfunc_end238-_ZL29rocblas_internal_gemmt_kernelIlLi16ELi32ELi8ELc84ELc84ELc85ELb0ELb0E19rocblas_complex_numIfES1_PKS1_PS1_EviT_T9_T10_S5_lS7_S5_lS6_T11_S5_li
                                        ; -- End function
	.set _ZL29rocblas_internal_gemmt_kernelIlLi16ELi32ELi8ELc84ELc84ELc85ELb0ELb0E19rocblas_complex_numIfES1_PKS1_PS1_EviT_T9_T10_S5_lS7_S5_lS6_T11_S5_li.num_vgpr, 61
	.set _ZL29rocblas_internal_gemmt_kernelIlLi16ELi32ELi8ELc84ELc84ELc85ELb0ELb0E19rocblas_complex_numIfES1_PKS1_PS1_EviT_T9_T10_S5_lS7_S5_lS6_T11_S5_li.num_agpr, 0
	.set _ZL29rocblas_internal_gemmt_kernelIlLi16ELi32ELi8ELc84ELc84ELc85ELb0ELb0E19rocblas_complex_numIfES1_PKS1_PS1_EviT_T9_T10_S5_lS7_S5_lS6_T11_S5_li.numbered_sgpr, 29
	.set _ZL29rocblas_internal_gemmt_kernelIlLi16ELi32ELi8ELc84ELc84ELc85ELb0ELb0E19rocblas_complex_numIfES1_PKS1_PS1_EviT_T9_T10_S5_lS7_S5_lS6_T11_S5_li.num_named_barrier, 0
	.set _ZL29rocblas_internal_gemmt_kernelIlLi16ELi32ELi8ELc84ELc84ELc85ELb0ELb0E19rocblas_complex_numIfES1_PKS1_PS1_EviT_T9_T10_S5_lS7_S5_lS6_T11_S5_li.private_seg_size, 0
	.set _ZL29rocblas_internal_gemmt_kernelIlLi16ELi32ELi8ELc84ELc84ELc85ELb0ELb0E19rocblas_complex_numIfES1_PKS1_PS1_EviT_T9_T10_S5_lS7_S5_lS6_T11_S5_li.uses_vcc, 1
	.set _ZL29rocblas_internal_gemmt_kernelIlLi16ELi32ELi8ELc84ELc84ELc85ELb0ELb0E19rocblas_complex_numIfES1_PKS1_PS1_EviT_T9_T10_S5_lS7_S5_lS6_T11_S5_li.uses_flat_scratch, 0
	.set _ZL29rocblas_internal_gemmt_kernelIlLi16ELi32ELi8ELc84ELc84ELc85ELb0ELb0E19rocblas_complex_numIfES1_PKS1_PS1_EviT_T9_T10_S5_lS7_S5_lS6_T11_S5_li.has_dyn_sized_stack, 0
	.set _ZL29rocblas_internal_gemmt_kernelIlLi16ELi32ELi8ELc84ELc84ELc85ELb0ELb0E19rocblas_complex_numIfES1_PKS1_PS1_EviT_T9_T10_S5_lS7_S5_lS6_T11_S5_li.has_recursion, 0
	.set _ZL29rocblas_internal_gemmt_kernelIlLi16ELi32ELi8ELc84ELc84ELc85ELb0ELb0E19rocblas_complex_numIfES1_PKS1_PS1_EviT_T9_T10_S5_lS7_S5_lS6_T11_S5_li.has_indirect_call, 0
	.section	.AMDGPU.csdata,"",@progbits
; Kernel info:
; codeLenInByte = 2620
; TotalNumSgprs: 31
; NumVgprs: 61
; ScratchSize: 0
; MemoryBound: 0
; FloatMode: 240
; IeeeMode: 1
; LDSByteSize: 4096 bytes/workgroup (compile time only)
; SGPRBlocks: 0
; VGPRBlocks: 7
; NumSGPRsForWavesPerEU: 31
; NumVGPRsForWavesPerEU: 61
; Occupancy: 16
; WaveLimiterHint : 0
; COMPUTE_PGM_RSRC2:SCRATCH_EN: 0
; COMPUTE_PGM_RSRC2:USER_SGPR: 6
; COMPUTE_PGM_RSRC2:TRAP_HANDLER: 0
; COMPUTE_PGM_RSRC2:TGID_X_EN: 1
; COMPUTE_PGM_RSRC2:TGID_Y_EN: 1
; COMPUTE_PGM_RSRC2:TGID_Z_EN: 1
; COMPUTE_PGM_RSRC2:TIDIG_COMP_CNT: 1
	.section	.text._ZL29rocblas_internal_gemmt_kernelIlLi16ELi32ELi8ELc84ELc67ELc85ELb0ELb1E19rocblas_complex_numIfES1_PKS1_PS1_EviT_T9_T10_S5_lS7_S5_lS6_T11_S5_li,"axG",@progbits,_ZL29rocblas_internal_gemmt_kernelIlLi16ELi32ELi8ELc84ELc67ELc85ELb0ELb1E19rocblas_complex_numIfES1_PKS1_PS1_EviT_T9_T10_S5_lS7_S5_lS6_T11_S5_li,comdat
	.globl	_ZL29rocblas_internal_gemmt_kernelIlLi16ELi32ELi8ELc84ELc67ELc85ELb0ELb1E19rocblas_complex_numIfES1_PKS1_PS1_EviT_T9_T10_S5_lS7_S5_lS6_T11_S5_li ; -- Begin function _ZL29rocblas_internal_gemmt_kernelIlLi16ELi32ELi8ELc84ELc67ELc85ELb0ELb1E19rocblas_complex_numIfES1_PKS1_PS1_EviT_T9_T10_S5_lS7_S5_lS6_T11_S5_li
	.p2align	8
	.type	_ZL29rocblas_internal_gemmt_kernelIlLi16ELi32ELi8ELc84ELc67ELc85ELb0ELb1E19rocblas_complex_numIfES1_PKS1_PS1_EviT_T9_T10_S5_lS7_S5_lS6_T11_S5_li,@function
_ZL29rocblas_internal_gemmt_kernelIlLi16ELi32ELi8ELc84ELc67ELc85ELb0ELb1E19rocblas_complex_numIfES1_PKS1_PS1_EviT_T9_T10_S5_lS7_S5_lS6_T11_S5_li: ; @_ZL29rocblas_internal_gemmt_kernelIlLi16ELi32ELi8ELc84ELc67ELc85ELb0ELb1E19rocblas_complex_numIfES1_PKS1_PS1_EviT_T9_T10_S5_lS7_S5_lS6_T11_S5_li
; %bb.0:
	s_clause 0x1
	s_load_dwordx2 s[2:3], s[4:5], 0x48
	s_load_dwordx4 s[20:23], s[4:5], 0x8
	s_waitcnt lgkmcnt(0)
	s_and_b32 s0, s3, 0x7fffffff
	v_cmp_eq_f32_e64 s1, s2, 1.0
	s_cmp_eq_u32 s0, 0
	s_mov_b32 s0, 0
	s_cselect_b32 s10, -1, 0
	s_and_b32 s1, s1, s10
	s_andn2_b32 vcc_lo, exec_lo, s1
	s_mov_b32 s1, -1
	s_cbranch_vccnz .LBB239_4
; %bb.1:
	s_cmp_lg_u64 s[20:21], 0
	s_cbranch_scc0 .LBB239_3
; %bb.2:
	v_cmp_neq_f32_e64 s0, s22, 0
	v_cmp_neq_f32_e64 s1, s23, 0
	s_or_b32 s0, s0, s1
.LBB239_3:
	s_mov_b32 s1, s0
.LBB239_4:
	s_and_b32 vcc_lo, exec_lo, s1
	s_cbranch_vccz .LBB239_34
; %bb.5:
	s_load_dword s9, s[4:5], 0x0
	v_cmp_eq_f32_e64 s0, s22, 0
	v_cmp_eq_f32_e64 s1, s23, 0
	v_cmp_lt_i64_e64 s12, s[20:21], 1
	v_mov_b32_e32 v22, 0
	v_mov_b32_e32 v23, 0
	;; [unrolled: 1-line block ×3, first 2 shown]
	s_and_b32 s0, s0, s1
	v_mov_b32_e32 v21, 0
	v_mov_b32_e32 v18, 0
	;; [unrolled: 1-line block ×5, first 2 shown]
	s_or_b32 s0, s0, s12
	s_lshl_b32 s11, s6, 5
	s_and_b32 vcc_lo, exec_lo, s0
	s_lshl_b32 s28, s7, 5
	s_cbranch_vccnz .LBB239_18
; %bb.6:
	s_clause 0x1
	s_load_dwordx4 s[24:27], s[4:5], 0x38
	s_load_dwordx8 s[12:19], s[4:5], 0x18
	v_lshl_add_u32 v2, v1, 4, v0
	v_and_b32_e32 v6, 7, v0
	v_lshlrev_b32_e32 v14, 3, v0
	v_lshl_add_u32 v15, v1, 6, 0x800
	v_mov_b32_e32 v17, 0
	v_and_b32_e32 v4, 31, v2
	v_lshrrev_b32_e32 v3, 3, v2
	v_lshlrev_b32_e32 v5, 3, v6
	v_lshrrev_b32_e32 v7, 5, v2
	v_mov_b32_e32 v16, 0
	v_or_b32_e32 v8, s11, v4
	v_lshlrev_b32_e32 v9, 3, v4
	v_lshl_or_b32 v12, v3, 6, v5
	v_add_nc_u32_e32 v2, s28, v3
	v_mov_b32_e32 v19, 0
	v_mov_b32_e32 v18, 0
	;; [unrolled: 1-line block ×4, first 2 shown]
	s_waitcnt lgkmcnt(0)
	s_mul_i32 s1, s27, s8
	s_mul_hi_u32 s6, s26, s8
	s_mul_i32 s0, s26, s8
	s_add_i32 s1, s6, s1
	s_mul_i32 s7, s17, s8
	s_lshl_b64 s[0:1], s[0:1], 3
	s_mul_hi_u32 s17, s16, s8
	v_mul_lo_u32 v10, s15, v8
	s_add_u32 s15, s18, s0
	s_mul_i32 s6, s16, s8
	s_addc_u32 s16, s19, s1
	s_add_i32 s7, s17, s7
	v_mad_u64_u32 v[4:5], null, s14, v8, 0
	s_lshl_b64 s[0:1], s[6:7], 3
	v_ashrrev_i32_e32 v3, 31, v2
	s_add_u32 s6, s12, s0
	s_addc_u32 s7, s13, s1
	s_ashr_i32 s1, s11, 31
	v_cmp_gt_i32_e32 vcc_lo, s9, v2
	s_mul_i32 s1, s14, s1
	v_cmp_gt_i32_e64 s0, s9, v8
	v_add3_u32 v5, v5, s1, v10
	v_lshlrev_b64 v[10:11], 3, v[2:3]
	v_cmp_le_i32_e64 s12, s9, v8
	v_lshl_or_b32 v8, v7, 8, v9
	v_add_nc_u32_e32 v9, 0x800, v12
	v_lshlrev_b64 v[2:3], 3, v[4:5]
	v_mov_b32_e32 v23, 0
	v_add_co_u32 v10, s1, s15, v10
	v_add_co_ci_u32_e64 v11, null, s16, v11, s1
	v_add_co_u32 v12, s1, s6, v2
	v_add_co_ci_u32_e64 v13, null, s7, v3, s1
	v_mov_b32_e32 v3, 0
	v_mov_b32_e32 v22, 0
	s_mov_b64 s[6:7], 0
	s_xor_b32 s1, vcc_lo, -1
                                        ; implicit-def: $vgpr4_vgpr5
	s_branch .LBB239_8
.LBB239_7:                              ;   in Loop: Header=BB239_8 Depth=1
	s_or_b32 exec_lo, exec_lo, s13
	ds_write_b32 v9, v24 offset:4
	s_waitcnt lgkmcnt(0)
	s_barrier
	buffer_gl0_inv
	ds_read_b128 v[24:27], v15
	ds_read2_b64 v[28:31], v14 offset1:16
	ds_read_b128 v[32:35], v15 offset:1024
	ds_read_b128 v[36:39], v15 offset:16
	;; [unrolled: 1-line block ×4, first 2 shown]
	ds_read2_b64 v[48:51], v14 offset0:32 offset1:48
	ds_read_b128 v[52:55], v15 offset:1040
	s_add_u32 s6, s6, 8
	s_addc_u32 s7, s7, 0
	v_cmp_gt_i64_e64 s13, s[20:21], s[6:7]
	s_and_b32 vcc_lo, exec_lo, s13
	s_waitcnt lgkmcnt(6)
	v_mul_f32_e32 v2, v25, v29
	v_mul_f32_e32 v56, v24, v29
	;; [unrolled: 1-line block ×4, first 2 shown]
	s_waitcnt lgkmcnt(5)
	v_mul_f32_e32 v59, v33, v29
	v_mul_f32_e32 v29, v32, v29
	;; [unrolled: 1-line block ×3, first 2 shown]
	v_fma_f32 v2, v24, v28, -v2
	v_fmac_f32_e32 v56, v25, v28
	v_fma_f32 v24, v24, v30, -v57
	v_fmac_f32_e32 v58, v25, v30
	;; [unrolled: 2-line block ×3, first 2 shown]
	v_mul_f32_e32 v31, v32, v31
	v_fma_f32 v28, v32, v30, -v60
	v_add_f32_e32 v2, v22, v2
	v_add_f32_e32 v22, v23, v56
	;; [unrolled: 1-line block ×6, first 2 shown]
	s_waitcnt lgkmcnt(1)
	v_mul_f32_e32 v32, v27, v49
	ds_read2_b64 v[18:21], v14 offset0:64 offset1:80
	v_fmac_f32_e32 v31, v33, v30
	v_add_f32_e32 v16, v16, v28
	v_mul_f32_e32 v28, v26, v49
	v_fma_f32 v30, v26, v48, -v32
	v_mul_f32_e32 v32, v27, v51
	v_add_f32_e32 v17, v17, v31
	v_mul_f32_e32 v31, v26, v51
	v_fmac_f32_e32 v28, v27, v48
	v_add_f32_e32 v2, v2, v30
	v_fma_f32 v26, v26, v50, -v32
	v_mul_f32_e32 v30, v35, v49
	v_fmac_f32_e32 v31, v27, v50
	v_add_f32_e32 v28, v22, v28
	v_mul_f32_e32 v22, v34, v49
	v_add_f32_e32 v26, v23, v26
	v_fma_f32 v23, v34, v48, -v30
	v_mul_f32_e32 v27, v35, v51
	v_add_f32_e32 v30, v24, v31
	v_fmac_f32_e32 v22, v35, v48
	v_mul_f32_e32 v31, v34, v51
	v_add_f32_e32 v32, v25, v23
	v_fma_f32 v23, v34, v50, -v27
	s_waitcnt lgkmcnt(0)
	v_mul_f32_e32 v24, v37, v19
	v_add_f32_e32 v27, v29, v22
	v_fmac_f32_e32 v31, v35, v50
	v_mul_f32_e32 v29, v36, v19
	v_add_f32_e32 v16, v16, v23
	v_fma_f32 v33, v36, v18, -v24
	v_mul_f32_e32 v34, v37, v21
	ds_read2_b64 v[22:25], v14 offset0:96 offset1:112
	v_fmac_f32_e32 v29, v37, v18
	v_add_f32_e32 v31, v17, v31
	v_add_f32_e32 v2, v2, v33
	v_mul_f32_e32 v17, v36, v21
	v_fma_f32 v33, v36, v20, -v34
	v_add_f32_e32 v28, v28, v29
	v_mul_f32_e32 v29, v53, v19
	v_mul_f32_e32 v19, v52, v19
	v_fmac_f32_e32 v17, v37, v20
	v_add_f32_e32 v26, v26, v33
	v_mul_f32_e32 v33, v53, v21
	v_mul_f32_e32 v21, v52, v21
	v_fmac_f32_e32 v19, v53, v18
	v_add_f32_e32 v30, v30, v17
	v_fma_f32 v29, v52, v18, -v29
	v_fma_f32 v17, v52, v20, -v33
	v_fmac_f32_e32 v21, v53, v20
	v_add_f32_e32 v33, v27, v19
	s_waitcnt lgkmcnt(0)
	v_mul_f32_e32 v20, v39, v23
	v_add_f32_e32 v34, v16, v17
	ds_read2_b64 v[16:19], v14 offset0:128 offset1:144
	v_add_f32_e32 v32, v32, v29
	v_mul_f32_e32 v27, v38, v23
	v_mul_f32_e32 v29, v39, v25
	v_fma_f32 v20, v38, v22, -v20
	v_add_f32_e32 v31, v31, v21
	v_mul_f32_e32 v21, v38, v25
	v_fmac_f32_e32 v27, v39, v22
	v_fma_f32 v29, v38, v24, -v29
	v_add_f32_e32 v2, v2, v20
	v_mul_f32_e32 v20, v55, v23
	v_fmac_f32_e32 v21, v39, v24
	v_add_f32_e32 v35, v28, v27
	v_add_f32_e32 v36, v26, v29
	v_mul_f32_e32 v23, v54, v23
	v_fma_f32 v20, v54, v22, -v20
	v_mul_f32_e32 v37, v55, v25
	ds_read_b128 v[26:29], v15 offset:1056
	v_add_f32_e32 v38, v30, v21
	v_fmac_f32_e32 v23, v55, v22
	v_mul_f32_e32 v25, v54, v25
	v_fma_f32 v21, v54, v24, -v37
	v_add_f32_e32 v37, v32, v20
	s_waitcnt lgkmcnt(1)
	v_mul_f32_e32 v20, v41, v17
	v_add_f32_e32 v39, v33, v23
	v_fmac_f32_e32 v25, v55, v24
	v_add_f32_e32 v24, v34, v21
	v_mul_f32_e32 v32, v41, v19
	v_fma_f32 v30, v40, v16, -v20
	ds_read2_b64 v[20:23], v14 offset0:160 offset1:176
	v_mul_f32_e32 v34, v40, v17
	v_add_f32_e32 v25, v31, v25
	v_fma_f32 v48, v40, v18, -v32
	v_mul_f32_e32 v40, v40, v19
	v_add_f32_e32 v2, v2, v30
	v_fmac_f32_e32 v34, v41, v16
	ds_read_b128 v[30:33], v15 offset:1072
	s_waitcnt lgkmcnt(2)
	v_mul_f32_e32 v49, v27, v17
	v_mul_f32_e32 v17, v26, v17
	v_fmac_f32_e32 v40, v41, v18
	v_mul_f32_e32 v41, v27, v19
	v_add_f32_e32 v34, v35, v34
	v_add_f32_e32 v35, v36, v48
	v_fma_f32 v36, v26, v16, -v49
	v_fmac_f32_e32 v17, v27, v16
	v_add_f32_e32 v38, v38, v40
	v_mul_f32_e32 v40, v26, v19
	v_fma_f32 v16, v26, v18, -v41
	v_add_f32_e32 v36, v37, v36
	v_add_f32_e32 v26, v39, v17
	s_waitcnt lgkmcnt(1)
	v_mul_f32_e32 v37, v43, v21
	v_fmac_f32_e32 v40, v27, v18
	v_add_f32_e32 v24, v24, v16
	ds_read2_b64 v[16:19], v14 offset0:192 offset1:208
	v_mul_f32_e32 v27, v42, v21
	v_fma_f32 v37, v42, v20, -v37
	v_mul_f32_e32 v39, v43, v23
	v_add_f32_e32 v40, v25, v40
	v_mul_f32_e32 v25, v42, v23
	v_fmac_f32_e32 v27, v43, v20
	v_add_f32_e32 v2, v2, v37
	v_fma_f32 v37, v42, v22, -v39
	v_fmac_f32_e32 v25, v43, v22
	v_add_f32_e32 v34, v34, v27
	v_mul_f32_e32 v27, v29, v21
	v_mul_f32_e32 v21, v28, v21
	v_add_f32_e32 v35, v35, v37
	v_mul_f32_e32 v37, v29, v23
	v_add_f32_e32 v38, v38, v25
	v_fma_f32 v27, v28, v20, -v27
	v_fmac_f32_e32 v21, v29, v20
	v_mul_f32_e32 v20, v28, v23
	v_fma_f32 v23, v28, v22, -v37
	s_waitcnt lgkmcnt(0)
	v_mul_f32_e32 v25, v45, v17
	v_add_f32_e32 v28, v36, v27
	v_add_f32_e32 v21, v26, v21
	v_fmac_f32_e32 v20, v29, v22
	v_add_f32_e32 v22, v24, v23
	v_fma_f32 v29, v44, v16, -v25
	ds_read2_b64 v[24:27], v14 offset0:224 offset1:240
	v_mul_f32_e32 v23, v44, v17
	v_mul_f32_e32 v37, v31, v17
	v_mul_f32_e32 v17, v30, v17
	v_mul_f32_e32 v36, v45, v19
	v_add_f32_e32 v2, v2, v29
	v_fmac_f32_e32 v23, v45, v16
	v_mul_f32_e32 v29, v44, v19
	v_fmac_f32_e32 v17, v31, v16
	v_fma_f32 v36, v44, v18, -v36
	v_add_f32_e32 v20, v40, v20
	v_add_f32_e32 v23, v34, v23
	v_fma_f32 v34, v30, v16, -v37
	v_mul_f32_e32 v16, v31, v19
	v_mul_f32_e32 v19, v30, v19
	v_fmac_f32_e32 v29, v45, v18
	v_add_f32_e32 v17, v21, v17
	v_add_f32_e32 v35, v35, v36
	v_fma_f32 v16, v30, v18, -v16
	v_fmac_f32_e32 v19, v31, v18
	s_waitcnt lgkmcnt(0)
	v_mul_f32_e32 v21, v47, v25
	v_mul_f32_e32 v18, v47, v27
	v_add_f32_e32 v28, v28, v34
	v_mul_f32_e32 v30, v46, v25
	v_add_f32_e32 v16, v22, v16
	v_fma_f32 v21, v46, v24, -v21
	v_fma_f32 v18, v46, v26, -v18
	v_mul_f32_e32 v31, v46, v27
	v_add_f32_e32 v34, v20, v19
	v_mul_f32_e32 v19, v32, v25
	v_add_f32_e32 v22, v2, v21
	v_add_f32_e32 v20, v35, v18
	v_mul_f32_e32 v2, v33, v25
	v_mul_f32_e32 v18, v33, v27
	;; [unrolled: 1-line block ×3, first 2 shown]
	v_add_f32_e32 v29, v38, v29
	v_fmac_f32_e32 v30, v47, v24
	v_fmac_f32_e32 v31, v47, v26
	v_fma_f32 v2, v32, v24, -v2
	v_fmac_f32_e32 v19, v33, v24
	v_fma_f32 v24, v32, v26, -v18
	v_fmac_f32_e32 v25, v33, v26
	v_add_f32_e32 v23, v23, v30
	v_add_f32_e32 v21, v29, v31
	;; [unrolled: 1-line block ×6, first 2 shown]
	s_barrier
	buffer_gl0_inv
	s_cbranch_vccz .LBB239_18
.LBB239_8:                              ; =>This Inner Loop Header: Depth=1
	s_mov_b32 s15, s12
	s_mov_b32 s13, 0
	s_and_saveexec_b32 s14, s0
	s_cbranch_execnz .LBB239_16
; %bb.9:                                ;   in Loop: Header=BB239_8 Depth=1
	s_or_b32 exec_lo, exec_lo, s14
	s_and_saveexec_b32 s14, s15
	s_xor_b32 s14, exec_lo, s14
	s_cbranch_execnz .LBB239_17
.LBB239_10:                             ;   in Loop: Header=BB239_8 Depth=1
	s_or_b32 exec_lo, exec_lo, s14
	s_and_saveexec_b32 s14, s13
	s_cbranch_execz .LBB239_12
.LBB239_11:                             ;   in Loop: Header=BB239_8 Depth=1
	v_lshlrev_b64 v[24:25], 3, v[4:5]
	v_add_co_u32 v24, vcc_lo, v12, v24
	v_add_co_ci_u32_e64 v25, null, v13, v25, vcc_lo
	global_load_dwordx2 v[24:25], v[24:25], off
	s_waitcnt vmcnt(0)
	ds_write_b64 v8, v[24:25]
.LBB239_12:                             ;   in Loop: Header=BB239_8 Depth=1
	s_or_b32 exec_lo, exec_lo, s14
	v_add_nc_u32_e32 v2, s6, v6
	v_cmp_le_u64_e32 vcc_lo, s[20:21], v[2:3]
	s_or_b32 s13, vcc_lo, s1
	s_and_saveexec_b32 s14, s13
	s_xor_b32 s13, exec_lo, s14
; %bb.13:                               ;   in Loop: Header=BB239_8 Depth=1
	ds_write_b32 v9, v3
; %bb.14:                               ;   in Loop: Header=BB239_8 Depth=1
	s_or_saveexec_b32 s13, s13
	v_mov_b32_e32 v24, 0
	s_xor_b32 exec_lo, exec_lo, s13
	s_cbranch_execz .LBB239_7
; %bb.15:                               ;   in Loop: Header=BB239_8 Depth=1
	v_mad_u64_u32 v[24:25], null, s24, v2, 0
	v_mad_u64_u32 v[25:26], null, s25, v2, v[25:26]
	v_lshlrev_b64 v[24:25], 3, v[24:25]
	v_add_co_u32 v24, vcc_lo, v10, v24
	v_add_co_ci_u32_e64 v25, null, v11, v25, vcc_lo
	global_load_dwordx2 v[25:26], v[24:25], off
	s_waitcnt vmcnt(0)
	v_xor_b32_e32 v24, 0x80000000, v26
	ds_write_b32 v9, v25
	s_branch .LBB239_7
.LBB239_16:                             ;   in Loop: Header=BB239_8 Depth=1
	v_add_nc_u32_e32 v2, s6, v7
	v_mov_b32_e32 v5, v3
	s_andn2_b32 s15, s12, exec_lo
	s_mov_b32 s13, exec_lo
	v_cmp_le_u64_e32 vcc_lo, s[20:21], v[2:3]
	v_mov_b32_e32 v4, v2
	s_and_b32 s16, vcc_lo, exec_lo
	s_or_b32 s15, s15, s16
	s_or_b32 exec_lo, exec_lo, s14
	s_and_saveexec_b32 s14, s15
	s_xor_b32 s14, exec_lo, s14
	s_cbranch_execz .LBB239_10
.LBB239_17:                             ;   in Loop: Header=BB239_8 Depth=1
	v_mov_b32_e32 v2, v3
	s_andn2_b32 s13, s13, exec_lo
	ds_write_b64 v8, v[2:3]
	s_or_b32 exec_lo, exec_lo, s14
	s_and_saveexec_b32 s14, s13
	s_cbranch_execnz .LBB239_11
	s_branch .LBB239_12
.LBB239_18:
	s_clause 0x1
	s_load_dwordx4 s[12:15], s[4:5], 0x50
	s_load_dwordx2 s[4:5], s[4:5], 0x60
	v_add_nc_u32_e32 v9, s28, v1
	v_add_nc_u32_e32 v0, s11, v0
	v_cmp_neq_f32_e64 s6, s2, 0
	v_ashrrev_i32_e32 v1, 31, v9
	s_waitcnt lgkmcnt(0)
	v_cmp_gt_i32_e64 s0, s9, v9
	v_cmp_le_i32_e32 vcc_lo, v0, v9
	v_mul_lo_u32 v3, s14, v1
	v_mul_lo_u32 v4, s15, v9
	v_mad_u64_u32 v[1:2], null, s14, v9, 0
	s_mul_i32 s1, s5, s8
	s_mul_hi_u32 s5, s4, s8
	s_mul_i32 s4, s4, s8
	s_add_i32 s5, s5, s1
	s_lshl_b64 s[4:5], s[4:5], 3
	v_add3_u32 v2, v2, v3, v4
	s_add_u32 s4, s12, s4
	s_addc_u32 s5, s13, s5
	s_xor_b32 s7, s10, -1
	v_lshlrev_b64 v[2:3], 3, v[1:2]
	s_or_b32 s6, s6, s7
	v_ashrrev_i32_e32 v1, 31, v0
	v_cndmask_b32_e64 v8, 0, 1, s6
	s_and_b32 s7, s0, vcc_lo
	v_add_co_u32 v6, s1, s4, v2
	v_add_co_ci_u32_e64 v7, null, s5, v3, s1
	s_and_saveexec_b32 s1, s7
	s_cbranch_execz .LBB239_22
; %bb.19:
	v_lshlrev_b64 v[4:5], 3, v[0:1]
	v_mul_f32_e32 v2, s23, v23
	v_mul_f32_e32 v3, s22, v23
	v_fma_f32 v2, v22, s22, -v2
	v_add_co_u32 v4, vcc_lo, v6, v4
	v_fmac_f32_e32 v3, s23, v22
	v_add_co_ci_u32_e64 v5, null, v7, v5, vcc_lo
	s_andn2_b32 vcc_lo, exec_lo, s6
	s_cbranch_vccnz .LBB239_21
; %bb.20:
	global_load_dwordx2 v[10:11], v[4:5], off
	s_waitcnt vmcnt(0)
	v_mul_f32_e32 v12, s3, v11
	v_mul_f32_e32 v11, s2, v11
	v_fma_f32 v12, v10, s2, -v12
	v_fmac_f32_e32 v11, s3, v10
	v_add_f32_e32 v2, v2, v12
	v_add_f32_e32 v3, v3, v11
.LBB239_21:
	global_store_dwordx2 v[4:5], v[2:3], off
.LBB239_22:
	s_or_b32 exec_lo, exec_lo, s1
	v_add_nc_u32_e32 v2, 16, v0
	v_cmp_le_i32_e32 vcc_lo, v2, v9
	v_ashrrev_i32_e32 v3, 31, v2
	s_and_b32 s0, s0, vcc_lo
	s_and_saveexec_b32 s1, s0
	s_cbranch_execz .LBB239_26
; %bb.23:
	v_lshlrev_b64 v[10:11], 3, v[2:3]
	v_mul_f32_e32 v4, s23, v21
	v_mul_f32_e32 v5, s22, v21
	v_cmp_ne_u32_e32 vcc_lo, 1, v8
	v_fma_f32 v4, v20, s22, -v4
	v_add_co_u32 v6, s0, v6, v10
	v_fmac_f32_e32 v5, s23, v20
	v_add_co_ci_u32_e64 v7, null, v7, v11, s0
	s_cbranch_vccnz .LBB239_25
; %bb.24:
	global_load_dwordx2 v[10:11], v[6:7], off
	s_waitcnt vmcnt(0)
	v_mul_f32_e32 v12, s3, v11
	v_mul_f32_e32 v11, s2, v11
	v_fma_f32 v12, v10, s2, -v12
	v_fmac_f32_e32 v11, s3, v10
	v_add_f32_e32 v4, v4, v12
	v_add_f32_e32 v5, v5, v11
.LBB239_25:
	global_store_dwordx2 v[6:7], v[4:5], off
.LBB239_26:
	s_or_b32 exec_lo, exec_lo, s1
	v_add_nc_u32_e32 v9, 16, v9
	v_ashrrev_i32_e32 v6, 31, v9
	v_mul_lo_u32 v7, s15, v9
	v_mad_u64_u32 v[4:5], null, s14, v9, 0
	v_cmp_gt_i32_e64 s0, s9, v9
	v_mul_lo_u32 v6, s14, v6
	v_cmp_le_i32_e32 vcc_lo, v0, v9
	v_add3_u32 v5, v5, v6, v7
	v_lshlrev_b64 v[4:5], 3, v[4:5]
	v_add_co_u32 v6, s1, s4, v4
	v_add_co_ci_u32_e64 v7, null, s5, v5, s1
	s_and_b32 s1, s0, vcc_lo
	s_and_saveexec_b32 s4, s1
	s_cbranch_execz .LBB239_30
; %bb.27:
	v_lshlrev_b64 v[0:1], 3, v[0:1]
	v_mul_f32_e32 v4, s23, v19
	v_mul_f32_e32 v5, s22, v19
	v_cmp_ne_u32_e32 vcc_lo, 1, v8
	v_fma_f32 v4, v18, s22, -v4
	v_add_co_u32 v0, s1, v6, v0
	v_fmac_f32_e32 v5, s23, v18
	v_add_co_ci_u32_e64 v1, null, v7, v1, s1
	s_cbranch_vccnz .LBB239_29
; %bb.28:
	global_load_dwordx2 v[10:11], v[0:1], off
	s_waitcnt vmcnt(0)
	v_mul_f32_e32 v12, s3, v11
	v_mul_f32_e32 v11, s2, v11
	v_fma_f32 v12, v10, s2, -v12
	v_fmac_f32_e32 v11, s3, v10
	v_add_f32_e32 v4, v4, v12
	v_add_f32_e32 v5, v5, v11
.LBB239_29:
	global_store_dwordx2 v[0:1], v[4:5], off
.LBB239_30:
	s_or_b32 exec_lo, exec_lo, s4
	v_cmp_le_i32_e32 vcc_lo, v2, v9
	s_and_b32 s0, s0, vcc_lo
	s_and_saveexec_b32 s1, s0
	s_cbranch_execz .LBB239_34
; %bb.31:
	v_lshlrev_b64 v[2:3], 3, v[2:3]
	v_mul_f32_e32 v0, s23, v17
	v_mul_f32_e32 v1, s22, v17
	v_cmp_ne_u32_e32 vcc_lo, 1, v8
	v_fma_f32 v0, v16, s22, -v0
	v_add_co_u32 v2, s0, v6, v2
	v_fmac_f32_e32 v1, s23, v16
	v_add_co_ci_u32_e64 v3, null, v7, v3, s0
	s_cbranch_vccnz .LBB239_33
; %bb.32:
	global_load_dwordx2 v[4:5], v[2:3], off
	s_waitcnt vmcnt(0)
	v_mul_f32_e32 v6, s3, v5
	v_mul_f32_e32 v5, s2, v5
	v_fma_f32 v6, v4, s2, -v6
	v_fmac_f32_e32 v5, s3, v4
	v_add_f32_e32 v0, v0, v6
	v_add_f32_e32 v1, v1, v5
.LBB239_33:
	global_store_dwordx2 v[2:3], v[0:1], off
.LBB239_34:
	s_endpgm
	.section	.rodata,"a",@progbits
	.p2align	6, 0x0
	.amdhsa_kernel _ZL29rocblas_internal_gemmt_kernelIlLi16ELi32ELi8ELc84ELc67ELc85ELb0ELb1E19rocblas_complex_numIfES1_PKS1_PS1_EviT_T9_T10_S5_lS7_S5_lS6_T11_S5_li
		.amdhsa_group_segment_fixed_size 4096
		.amdhsa_private_segment_fixed_size 0
		.amdhsa_kernarg_size 108
		.amdhsa_user_sgpr_count 6
		.amdhsa_user_sgpr_private_segment_buffer 1
		.amdhsa_user_sgpr_dispatch_ptr 0
		.amdhsa_user_sgpr_queue_ptr 0
		.amdhsa_user_sgpr_kernarg_segment_ptr 1
		.amdhsa_user_sgpr_dispatch_id 0
		.amdhsa_user_sgpr_flat_scratch_init 0
		.amdhsa_user_sgpr_private_segment_size 0
		.amdhsa_wavefront_size32 1
		.amdhsa_uses_dynamic_stack 0
		.amdhsa_system_sgpr_private_segment_wavefront_offset 0
		.amdhsa_system_sgpr_workgroup_id_x 1
		.amdhsa_system_sgpr_workgroup_id_y 1
		.amdhsa_system_sgpr_workgroup_id_z 1
		.amdhsa_system_sgpr_workgroup_info 0
		.amdhsa_system_vgpr_workitem_id 1
		.amdhsa_next_free_vgpr 61
		.amdhsa_next_free_sgpr 29
		.amdhsa_reserve_vcc 1
		.amdhsa_reserve_flat_scratch 0
		.amdhsa_float_round_mode_32 0
		.amdhsa_float_round_mode_16_64 0
		.amdhsa_float_denorm_mode_32 3
		.amdhsa_float_denorm_mode_16_64 3
		.amdhsa_dx10_clamp 1
		.amdhsa_ieee_mode 1
		.amdhsa_fp16_overflow 0
		.amdhsa_workgroup_processor_mode 1
		.amdhsa_memory_ordered 1
		.amdhsa_forward_progress 1
		.amdhsa_shared_vgpr_count 0
		.amdhsa_exception_fp_ieee_invalid_op 0
		.amdhsa_exception_fp_denorm_src 0
		.amdhsa_exception_fp_ieee_div_zero 0
		.amdhsa_exception_fp_ieee_overflow 0
		.amdhsa_exception_fp_ieee_underflow 0
		.amdhsa_exception_fp_ieee_inexact 0
		.amdhsa_exception_int_div_zero 0
	.end_amdhsa_kernel
	.section	.text._ZL29rocblas_internal_gemmt_kernelIlLi16ELi32ELi8ELc84ELc67ELc85ELb0ELb1E19rocblas_complex_numIfES1_PKS1_PS1_EviT_T9_T10_S5_lS7_S5_lS6_T11_S5_li,"axG",@progbits,_ZL29rocblas_internal_gemmt_kernelIlLi16ELi32ELi8ELc84ELc67ELc85ELb0ELb1E19rocblas_complex_numIfES1_PKS1_PS1_EviT_T9_T10_S5_lS7_S5_lS6_T11_S5_li,comdat
.Lfunc_end239:
	.size	_ZL29rocblas_internal_gemmt_kernelIlLi16ELi32ELi8ELc84ELc67ELc85ELb0ELb1E19rocblas_complex_numIfES1_PKS1_PS1_EviT_T9_T10_S5_lS7_S5_lS6_T11_S5_li, .Lfunc_end239-_ZL29rocblas_internal_gemmt_kernelIlLi16ELi32ELi8ELc84ELc67ELc85ELb0ELb1E19rocblas_complex_numIfES1_PKS1_PS1_EviT_T9_T10_S5_lS7_S5_lS6_T11_S5_li
                                        ; -- End function
	.set _ZL29rocblas_internal_gemmt_kernelIlLi16ELi32ELi8ELc84ELc67ELc85ELb0ELb1E19rocblas_complex_numIfES1_PKS1_PS1_EviT_T9_T10_S5_lS7_S5_lS6_T11_S5_li.num_vgpr, 61
	.set _ZL29rocblas_internal_gemmt_kernelIlLi16ELi32ELi8ELc84ELc67ELc85ELb0ELb1E19rocblas_complex_numIfES1_PKS1_PS1_EviT_T9_T10_S5_lS7_S5_lS6_T11_S5_li.num_agpr, 0
	.set _ZL29rocblas_internal_gemmt_kernelIlLi16ELi32ELi8ELc84ELc67ELc85ELb0ELb1E19rocblas_complex_numIfES1_PKS1_PS1_EviT_T9_T10_S5_lS7_S5_lS6_T11_S5_li.numbered_sgpr, 29
	.set _ZL29rocblas_internal_gemmt_kernelIlLi16ELi32ELi8ELc84ELc67ELc85ELb0ELb1E19rocblas_complex_numIfES1_PKS1_PS1_EviT_T9_T10_S5_lS7_S5_lS6_T11_S5_li.num_named_barrier, 0
	.set _ZL29rocblas_internal_gemmt_kernelIlLi16ELi32ELi8ELc84ELc67ELc85ELb0ELb1E19rocblas_complex_numIfES1_PKS1_PS1_EviT_T9_T10_S5_lS7_S5_lS6_T11_S5_li.private_seg_size, 0
	.set _ZL29rocblas_internal_gemmt_kernelIlLi16ELi32ELi8ELc84ELc67ELc85ELb0ELb1E19rocblas_complex_numIfES1_PKS1_PS1_EviT_T9_T10_S5_lS7_S5_lS6_T11_S5_li.uses_vcc, 1
	.set _ZL29rocblas_internal_gemmt_kernelIlLi16ELi32ELi8ELc84ELc67ELc85ELb0ELb1E19rocblas_complex_numIfES1_PKS1_PS1_EviT_T9_T10_S5_lS7_S5_lS6_T11_S5_li.uses_flat_scratch, 0
	.set _ZL29rocblas_internal_gemmt_kernelIlLi16ELi32ELi8ELc84ELc67ELc85ELb0ELb1E19rocblas_complex_numIfES1_PKS1_PS1_EviT_T9_T10_S5_lS7_S5_lS6_T11_S5_li.has_dyn_sized_stack, 0
	.set _ZL29rocblas_internal_gemmt_kernelIlLi16ELi32ELi8ELc84ELc67ELc85ELb0ELb1E19rocblas_complex_numIfES1_PKS1_PS1_EviT_T9_T10_S5_lS7_S5_lS6_T11_S5_li.has_recursion, 0
	.set _ZL29rocblas_internal_gemmt_kernelIlLi16ELi32ELi8ELc84ELc67ELc85ELb0ELb1E19rocblas_complex_numIfES1_PKS1_PS1_EviT_T9_T10_S5_lS7_S5_lS6_T11_S5_li.has_indirect_call, 0
	.section	.AMDGPU.csdata,"",@progbits
; Kernel info:
; codeLenInByte = 2640
; TotalNumSgprs: 31
; NumVgprs: 61
; ScratchSize: 0
; MemoryBound: 0
; FloatMode: 240
; IeeeMode: 1
; LDSByteSize: 4096 bytes/workgroup (compile time only)
; SGPRBlocks: 0
; VGPRBlocks: 7
; NumSGPRsForWavesPerEU: 31
; NumVGPRsForWavesPerEU: 61
; Occupancy: 16
; WaveLimiterHint : 0
; COMPUTE_PGM_RSRC2:SCRATCH_EN: 0
; COMPUTE_PGM_RSRC2:USER_SGPR: 6
; COMPUTE_PGM_RSRC2:TRAP_HANDLER: 0
; COMPUTE_PGM_RSRC2:TGID_X_EN: 1
; COMPUTE_PGM_RSRC2:TGID_Y_EN: 1
; COMPUTE_PGM_RSRC2:TGID_Z_EN: 1
; COMPUTE_PGM_RSRC2:TIDIG_COMP_CNT: 1
	.section	.text._ZL29rocblas_internal_gemmt_kernelIlLi16ELi32ELi8ELc67ELc78ELc85ELb1ELb0E19rocblas_complex_numIfES1_PKS1_PS1_EviT_T9_T10_S5_lS7_S5_lS6_T11_S5_li,"axG",@progbits,_ZL29rocblas_internal_gemmt_kernelIlLi16ELi32ELi8ELc67ELc78ELc85ELb1ELb0E19rocblas_complex_numIfES1_PKS1_PS1_EviT_T9_T10_S5_lS7_S5_lS6_T11_S5_li,comdat
	.globl	_ZL29rocblas_internal_gemmt_kernelIlLi16ELi32ELi8ELc67ELc78ELc85ELb1ELb0E19rocblas_complex_numIfES1_PKS1_PS1_EviT_T9_T10_S5_lS7_S5_lS6_T11_S5_li ; -- Begin function _ZL29rocblas_internal_gemmt_kernelIlLi16ELi32ELi8ELc67ELc78ELc85ELb1ELb0E19rocblas_complex_numIfES1_PKS1_PS1_EviT_T9_T10_S5_lS7_S5_lS6_T11_S5_li
	.p2align	8
	.type	_ZL29rocblas_internal_gemmt_kernelIlLi16ELi32ELi8ELc67ELc78ELc85ELb1ELb0E19rocblas_complex_numIfES1_PKS1_PS1_EviT_T9_T10_S5_lS7_S5_lS6_T11_S5_li,@function
_ZL29rocblas_internal_gemmt_kernelIlLi16ELi32ELi8ELc67ELc78ELc85ELb1ELb0E19rocblas_complex_numIfES1_PKS1_PS1_EviT_T9_T10_S5_lS7_S5_lS6_T11_S5_li: ; @_ZL29rocblas_internal_gemmt_kernelIlLi16ELi32ELi8ELc67ELc78ELc85ELb1ELb0E19rocblas_complex_numIfES1_PKS1_PS1_EviT_T9_T10_S5_lS7_S5_lS6_T11_S5_li
; %bb.0:
	s_clause 0x1
	s_load_dwordx2 s[10:11], s[4:5], 0x48
	s_load_dwordx4 s[20:23], s[4:5], 0x8
	s_waitcnt lgkmcnt(0)
	s_and_b32 s0, s11, 0x7fffffff
	v_cmp_eq_f32_e64 s1, s10, 1.0
	s_cmp_eq_u32 s0, 0
	s_mov_b32 s0, 0
	s_cselect_b32 s24, -1, 0
	s_and_b32 s1, s1, s24
	s_andn2_b32 vcc_lo, exec_lo, s1
	s_mov_b32 s1, -1
	s_cbranch_vccnz .LBB240_4
; %bb.1:
	s_cmp_lg_u64 s[20:21], 0
	s_cbranch_scc0 .LBB240_3
; %bb.2:
	v_cmp_neq_f32_e64 s0, s22, 0
	v_cmp_neq_f32_e64 s1, s23, 0
	s_or_b32 s0, s0, s1
.LBB240_3:
	s_mov_b32 s1, s0
.LBB240_4:
	s_and_b32 vcc_lo, exec_lo, s1
	s_cbranch_vccz .LBB240_34
; %bb.5:
	s_load_dword s9, s[4:5], 0x0
	v_cmp_eq_f32_e64 s0, s22, 0
	v_cmp_eq_f32_e64 s1, s23, 0
	v_cmp_lt_i64_e64 s2, s[20:21], 1
	v_mov_b32_e32 v22, 0
	v_mov_b32_e32 v23, 0
	;; [unrolled: 1-line block ×3, first 2 shown]
	s_and_b32 s0, s0, s1
	v_mov_b32_e32 v21, 0
	v_mov_b32_e32 v18, 0
	;; [unrolled: 1-line block ×5, first 2 shown]
	s_or_b32 s0, s0, s2
	s_lshl_b32 s6, s6, 5
	s_and_b32 vcc_lo, exec_lo, s0
	s_lshl_b32 s7, s7, 5
	s_cbranch_vccnz .LBB240_18
; %bb.6:
	s_clause 0x1
	s_load_dwordx4 s[0:3], s[4:5], 0x38
	s_load_dwordx8 s[12:19], s[4:5], 0x18
	v_lshl_add_u32 v7, v1, 4, v0
	v_and_b32_e32 v6, 7, v0
	v_mov_b32_e32 v17, 0
	v_mov_b32_e32 v16, 0
	v_mov_b32_e32 v19, 0
	v_lshrrev_b32_e32 v8, 3, v7
	v_and_b32_e32 v9, 31, v7
	v_lshlrev_b32_e32 v15, 3, v6
	v_lshrrev_b32_e32 v7, 5, v7
	v_mov_b32_e32 v18, 0
	v_add_nc_u32_e32 v10, s7, v8
	v_or_b32_e32 v11, s6, v9
	v_lshlrev_b32_e32 v9, 3, v9
	v_mov_b32_e32 v21, 0
	v_mov_b32_e32 v20, 0
	v_ashrrev_i32_e32 v4, 31, v10
	s_waitcnt lgkmcnt(0)
	v_cmp_gt_i32_e32 vcc_lo, s9, v10
	v_mov_b32_e32 v23, 0
	s_mul_i32 s3, s3, s8
	s_mul_hi_u32 s25, s2, s8
	s_mul_i32 s2, s2, s8
	s_add_i32 s3, s25, s3
	s_mul_i32 s17, s17, s8
	s_lshl_b64 s[2:3], s[2:3], 3
	s_mul_hi_u32 s26, s16, s8
	v_mul_lo_u32 v12, s15, v11
	s_add_u32 s15, s18, s2
	s_mul_i32 s16, s16, s8
	s_addc_u32 s18, s19, s3
	s_add_i32 s17, s26, s17
	v_mad_u64_u32 v[2:3], null, s14, v11, 0
	s_lshl_b64 s[2:3], s[16:17], 3
	v_mul_lo_u32 v13, s0, v4
	v_mul_lo_u32 v14, s1, v10
	v_mad_u64_u32 v[4:5], null, s0, v10, 0
	s_add_u32 s1, s12, s2
	s_addc_u32 s2, s13, s3
	s_ashr_i32 s0, s6, 31
	v_cmp_le_i32_e64 s12, s9, v11
	s_mul_i32 s0, s14, s0
	v_mov_b32_e32 v22, 0
	v_add3_u32 v3, v3, s0, v12
	v_add3_u32 v5, v5, v13, v14
	v_lshl_or_b32 v12, v8, 6, v15
	v_lshl_or_b32 v8, v7, 8, v9
	v_cmp_gt_i32_e64 s0, s9, v11
	v_lshlrev_b64 v[2:3], 3, v[2:3]
	v_lshlrev_b64 v[4:5], 3, v[4:5]
	v_add_nc_u32_e32 v11, 0x800, v12
	v_lshlrev_b32_e32 v14, 3, v0
	v_lshl_add_u32 v15, v1, 6, 0x800
	v_add_co_u32 v9, s1, s1, v2
	v_add_co_ci_u32_e64 v10, null, s2, v3, s1
	v_add_co_u32 v12, s1, s15, v4
	v_add_co_ci_u32_e64 v13, null, s18, v5, s1
	v_mov_b32_e32 v3, 0
	s_mov_b64 s[2:3], 0
	s_xor_b32 s1, vcc_lo, -1
                                        ; implicit-def: $vgpr4_vgpr5
	s_branch .LBB240_8
.LBB240_7:                              ;   in Loop: Header=BB240_8 Depth=1
	s_or_b32 exec_lo, exec_lo, s13
	s_waitcnt lgkmcnt(0)
	s_barrier
	buffer_gl0_inv
	ds_read_b128 v[24:27], v15
	ds_read2_b64 v[28:31], v14 offset1:16
	ds_read_b128 v[32:35], v15 offset:1024
	ds_read_b128 v[36:39], v15 offset:16
	;; [unrolled: 1-line block ×4, first 2 shown]
	ds_read2_b64 v[48:51], v14 offset0:32 offset1:48
	ds_read_b128 v[52:55], v15 offset:1040
	s_add_u32 s2, s2, 8
	s_addc_u32 s3, s3, 0
	v_cmp_gt_i64_e64 s13, s[20:21], s[2:3]
	s_and_b32 vcc_lo, exec_lo, s13
	s_waitcnt lgkmcnt(6)
	v_mul_f32_e32 v2, v25, v29
	v_mul_f32_e32 v56, v24, v29
	;; [unrolled: 1-line block ×4, first 2 shown]
	s_waitcnt lgkmcnt(5)
	v_mul_f32_e32 v59, v33, v29
	v_mul_f32_e32 v29, v32, v29
	v_mul_f32_e32 v60, v33, v31
	v_fma_f32 v2, v24, v28, -v2
	v_fmac_f32_e32 v56, v25, v28
	v_fma_f32 v24, v24, v30, -v57
	v_fmac_f32_e32 v58, v25, v30
	;; [unrolled: 2-line block ×3, first 2 shown]
	v_mul_f32_e32 v31, v32, v31
	v_fma_f32 v28, v32, v30, -v60
	v_add_f32_e32 v2, v22, v2
	v_add_f32_e32 v22, v23, v56
	;; [unrolled: 1-line block ×6, first 2 shown]
	s_waitcnt lgkmcnt(1)
	v_mul_f32_e32 v32, v27, v49
	ds_read2_b64 v[18:21], v14 offset0:64 offset1:80
	v_fmac_f32_e32 v31, v33, v30
	v_add_f32_e32 v16, v16, v28
	v_mul_f32_e32 v28, v26, v49
	v_fma_f32 v30, v26, v48, -v32
	v_mul_f32_e32 v32, v27, v51
	v_add_f32_e32 v17, v17, v31
	v_mul_f32_e32 v31, v26, v51
	v_fmac_f32_e32 v28, v27, v48
	v_add_f32_e32 v2, v2, v30
	v_fma_f32 v26, v26, v50, -v32
	v_mul_f32_e32 v30, v35, v49
	v_fmac_f32_e32 v31, v27, v50
	v_add_f32_e32 v28, v22, v28
	v_mul_f32_e32 v22, v34, v49
	v_add_f32_e32 v26, v23, v26
	v_fma_f32 v23, v34, v48, -v30
	v_mul_f32_e32 v27, v35, v51
	v_add_f32_e32 v30, v24, v31
	v_fmac_f32_e32 v22, v35, v48
	v_mul_f32_e32 v31, v34, v51
	v_add_f32_e32 v32, v25, v23
	v_fma_f32 v23, v34, v50, -v27
	s_waitcnt lgkmcnt(0)
	v_mul_f32_e32 v24, v37, v19
	v_add_f32_e32 v27, v29, v22
	v_fmac_f32_e32 v31, v35, v50
	v_mul_f32_e32 v29, v36, v19
	v_add_f32_e32 v16, v16, v23
	v_fma_f32 v33, v36, v18, -v24
	v_mul_f32_e32 v34, v37, v21
	ds_read2_b64 v[22:25], v14 offset0:96 offset1:112
	v_fmac_f32_e32 v29, v37, v18
	v_add_f32_e32 v31, v17, v31
	v_add_f32_e32 v2, v2, v33
	v_mul_f32_e32 v17, v36, v21
	v_fma_f32 v33, v36, v20, -v34
	v_add_f32_e32 v28, v28, v29
	v_mul_f32_e32 v29, v53, v19
	v_mul_f32_e32 v19, v52, v19
	v_fmac_f32_e32 v17, v37, v20
	v_add_f32_e32 v26, v26, v33
	v_mul_f32_e32 v33, v53, v21
	v_mul_f32_e32 v21, v52, v21
	v_fmac_f32_e32 v19, v53, v18
	v_add_f32_e32 v30, v30, v17
	v_fma_f32 v29, v52, v18, -v29
	v_fma_f32 v17, v52, v20, -v33
	v_fmac_f32_e32 v21, v53, v20
	v_add_f32_e32 v33, v27, v19
	s_waitcnt lgkmcnt(0)
	v_mul_f32_e32 v20, v39, v23
	v_add_f32_e32 v34, v16, v17
	ds_read2_b64 v[16:19], v14 offset0:128 offset1:144
	v_add_f32_e32 v32, v32, v29
	v_mul_f32_e32 v27, v38, v23
	v_mul_f32_e32 v29, v39, v25
	v_fma_f32 v20, v38, v22, -v20
	v_add_f32_e32 v31, v31, v21
	v_mul_f32_e32 v21, v38, v25
	v_fmac_f32_e32 v27, v39, v22
	v_fma_f32 v29, v38, v24, -v29
	v_add_f32_e32 v2, v2, v20
	v_mul_f32_e32 v20, v55, v23
	v_fmac_f32_e32 v21, v39, v24
	v_add_f32_e32 v35, v28, v27
	v_add_f32_e32 v36, v26, v29
	v_mul_f32_e32 v23, v54, v23
	v_fma_f32 v20, v54, v22, -v20
	v_mul_f32_e32 v37, v55, v25
	ds_read_b128 v[26:29], v15 offset:1056
	v_add_f32_e32 v38, v30, v21
	v_fmac_f32_e32 v23, v55, v22
	v_mul_f32_e32 v25, v54, v25
	v_fma_f32 v21, v54, v24, -v37
	v_add_f32_e32 v37, v32, v20
	s_waitcnt lgkmcnt(1)
	v_mul_f32_e32 v20, v41, v17
	v_add_f32_e32 v39, v33, v23
	v_fmac_f32_e32 v25, v55, v24
	v_add_f32_e32 v24, v34, v21
	v_mul_f32_e32 v32, v41, v19
	v_fma_f32 v30, v40, v16, -v20
	ds_read2_b64 v[20:23], v14 offset0:160 offset1:176
	v_mul_f32_e32 v34, v40, v17
	v_add_f32_e32 v25, v31, v25
	v_fma_f32 v48, v40, v18, -v32
	v_mul_f32_e32 v40, v40, v19
	v_add_f32_e32 v2, v2, v30
	v_fmac_f32_e32 v34, v41, v16
	ds_read_b128 v[30:33], v15 offset:1072
	s_waitcnt lgkmcnt(2)
	v_mul_f32_e32 v49, v27, v17
	v_mul_f32_e32 v17, v26, v17
	v_fmac_f32_e32 v40, v41, v18
	v_mul_f32_e32 v41, v27, v19
	v_add_f32_e32 v34, v35, v34
	v_add_f32_e32 v35, v36, v48
	v_fma_f32 v36, v26, v16, -v49
	v_fmac_f32_e32 v17, v27, v16
	v_add_f32_e32 v38, v38, v40
	v_mul_f32_e32 v40, v26, v19
	v_fma_f32 v16, v26, v18, -v41
	v_add_f32_e32 v36, v37, v36
	v_add_f32_e32 v26, v39, v17
	s_waitcnt lgkmcnt(1)
	v_mul_f32_e32 v37, v43, v21
	v_fmac_f32_e32 v40, v27, v18
	v_add_f32_e32 v24, v24, v16
	ds_read2_b64 v[16:19], v14 offset0:192 offset1:208
	v_mul_f32_e32 v27, v42, v21
	v_fma_f32 v37, v42, v20, -v37
	v_mul_f32_e32 v39, v43, v23
	v_add_f32_e32 v40, v25, v40
	v_mul_f32_e32 v25, v42, v23
	v_fmac_f32_e32 v27, v43, v20
	v_add_f32_e32 v2, v2, v37
	v_fma_f32 v37, v42, v22, -v39
	v_fmac_f32_e32 v25, v43, v22
	v_add_f32_e32 v34, v34, v27
	v_mul_f32_e32 v27, v29, v21
	v_mul_f32_e32 v21, v28, v21
	v_add_f32_e32 v35, v35, v37
	v_mul_f32_e32 v37, v29, v23
	v_add_f32_e32 v38, v38, v25
	v_fma_f32 v27, v28, v20, -v27
	v_fmac_f32_e32 v21, v29, v20
	v_mul_f32_e32 v20, v28, v23
	v_fma_f32 v23, v28, v22, -v37
	s_waitcnt lgkmcnt(0)
	v_mul_f32_e32 v25, v45, v17
	v_add_f32_e32 v28, v36, v27
	v_add_f32_e32 v21, v26, v21
	v_fmac_f32_e32 v20, v29, v22
	v_add_f32_e32 v22, v24, v23
	v_fma_f32 v29, v44, v16, -v25
	ds_read2_b64 v[24:27], v14 offset0:224 offset1:240
	v_mul_f32_e32 v23, v44, v17
	v_mul_f32_e32 v37, v31, v17
	;; [unrolled: 1-line block ×4, first 2 shown]
	v_add_f32_e32 v2, v2, v29
	v_fmac_f32_e32 v23, v45, v16
	v_mul_f32_e32 v29, v44, v19
	v_fmac_f32_e32 v17, v31, v16
	v_fma_f32 v36, v44, v18, -v36
	v_add_f32_e32 v20, v40, v20
	v_add_f32_e32 v23, v34, v23
	v_fma_f32 v34, v30, v16, -v37
	v_mul_f32_e32 v16, v31, v19
	v_mul_f32_e32 v19, v30, v19
	v_fmac_f32_e32 v29, v45, v18
	v_add_f32_e32 v17, v21, v17
	v_add_f32_e32 v35, v35, v36
	v_fma_f32 v16, v30, v18, -v16
	v_fmac_f32_e32 v19, v31, v18
	s_waitcnt lgkmcnt(0)
	v_mul_f32_e32 v21, v47, v25
	v_mul_f32_e32 v18, v47, v27
	v_add_f32_e32 v28, v28, v34
	v_mul_f32_e32 v30, v46, v25
	v_add_f32_e32 v16, v22, v16
	v_fma_f32 v21, v46, v24, -v21
	v_fma_f32 v18, v46, v26, -v18
	v_mul_f32_e32 v31, v46, v27
	v_add_f32_e32 v34, v20, v19
	v_mul_f32_e32 v19, v32, v25
	v_add_f32_e32 v22, v2, v21
	v_add_f32_e32 v20, v35, v18
	v_mul_f32_e32 v2, v33, v25
	v_mul_f32_e32 v18, v33, v27
	;; [unrolled: 1-line block ×3, first 2 shown]
	v_add_f32_e32 v29, v38, v29
	v_fmac_f32_e32 v30, v47, v24
	v_fmac_f32_e32 v31, v47, v26
	v_fma_f32 v2, v32, v24, -v2
	v_fmac_f32_e32 v19, v33, v24
	v_fma_f32 v24, v32, v26, -v18
	v_fmac_f32_e32 v25, v33, v26
	v_add_f32_e32 v23, v23, v30
	v_add_f32_e32 v21, v29, v31
	;; [unrolled: 1-line block ×6, first 2 shown]
	s_barrier
	buffer_gl0_inv
	s_cbranch_vccz .LBB240_18
.LBB240_8:                              ; =>This Inner Loop Header: Depth=1
	s_mov_b32 s15, s12
	s_mov_b32 s13, 0
	s_and_saveexec_b32 s14, s0
	s_cbranch_execnz .LBB240_16
; %bb.9:                                ;   in Loop: Header=BB240_8 Depth=1
	s_or_b32 exec_lo, exec_lo, s14
	s_and_saveexec_b32 s14, s15
	s_xor_b32 s14, exec_lo, s14
	s_cbranch_execnz .LBB240_17
.LBB240_10:                             ;   in Loop: Header=BB240_8 Depth=1
	s_or_b32 exec_lo, exec_lo, s14
	v_mov_b32_e32 v24, 0
	s_and_saveexec_b32 s14, s13
	s_cbranch_execz .LBB240_12
.LBB240_11:                             ;   in Loop: Header=BB240_8 Depth=1
	v_lshlrev_b64 v[24:25], 3, v[4:5]
	v_add_co_u32 v24, vcc_lo, v9, v24
	v_add_co_ci_u32_e64 v25, null, v10, v25, vcc_lo
	global_load_dwordx2 v[25:26], v[24:25], off
	s_waitcnt vmcnt(0)
	v_xor_b32_e32 v24, 0x80000000, v26
	ds_write_b32 v8, v25
.LBB240_12:                             ;   in Loop: Header=BB240_8 Depth=1
	s_or_b32 exec_lo, exec_lo, s14
	v_add_nc_u32_e32 v2, s2, v6
	ds_write_b32 v8, v24 offset:4
	v_cmp_le_u64_e32 vcc_lo, s[20:21], v[2:3]
	s_or_b32 s13, vcc_lo, s1
	s_and_saveexec_b32 s14, s13
	s_xor_b32 s13, exec_lo, s14
; %bb.13:                               ;   in Loop: Header=BB240_8 Depth=1
	v_mov_b32_e32 v2, v3
	ds_write_b64 v11, v[2:3]
; %bb.14:                               ;   in Loop: Header=BB240_8 Depth=1
	s_andn2_saveexec_b32 s13, s13
	s_cbranch_execz .LBB240_7
; %bb.15:                               ;   in Loop: Header=BB240_8 Depth=1
	v_lshlrev_b64 v[24:25], 3, v[2:3]
	v_add_co_u32 v24, vcc_lo, v12, v24
	v_add_co_ci_u32_e64 v25, null, v13, v25, vcc_lo
	global_load_dwordx2 v[24:25], v[24:25], off
	s_waitcnt vmcnt(0)
	ds_write_b64 v11, v[24:25]
	s_branch .LBB240_7
.LBB240_16:                             ;   in Loop: Header=BB240_8 Depth=1
	v_add_nc_u32_e32 v2, s2, v7
	v_mov_b32_e32 v5, v3
	s_andn2_b32 s15, s12, exec_lo
	s_mov_b32 s13, exec_lo
	v_cmp_le_u64_e32 vcc_lo, s[20:21], v[2:3]
	v_mov_b32_e32 v4, v2
	s_and_b32 s16, vcc_lo, exec_lo
	s_or_b32 s15, s15, s16
	s_or_b32 exec_lo, exec_lo, s14
	s_and_saveexec_b32 s14, s15
	s_xor_b32 s14, exec_lo, s14
	s_cbranch_execz .LBB240_10
.LBB240_17:                             ;   in Loop: Header=BB240_8 Depth=1
	s_andn2_b32 s13, s13, exec_lo
	ds_write_b32 v8, v3
	s_or_b32 exec_lo, exec_lo, s14
	v_mov_b32_e32 v24, 0
	s_and_saveexec_b32 s14, s13
	s_cbranch_execnz .LBB240_11
	s_branch .LBB240_12
.LBB240_18:
	s_clause 0x1
	s_load_dwordx4 s[12:15], s[4:5], 0x50
	s_load_dwordx2 s[2:3], s[4:5], 0x60
	v_add_nc_u32_e32 v9, s7, v1
	v_add_nc_u32_e32 v0, s6, v0
	v_cmp_neq_f32_e64 s4, s10, 0
	v_ashrrev_i32_e32 v1, 31, v9
	s_waitcnt lgkmcnt(0)
	v_cmp_gt_i32_e64 s0, s9, v9
	v_cmp_le_i32_e32 vcc_lo, v0, v9
	v_mul_lo_u32 v3, s14, v1
	v_mul_lo_u32 v4, s15, v9
	v_mad_u64_u32 v[1:2], null, s14, v9, 0
	s_mul_i32 s1, s3, s8
	s_mul_hi_u32 s3, s2, s8
	s_mul_i32 s2, s2, s8
	s_add_i32 s3, s3, s1
	s_lshl_b64 s[2:3], s[2:3], 3
	v_add3_u32 v2, v2, v3, v4
	s_add_u32 s2, s12, s2
	s_addc_u32 s3, s13, s3
	s_xor_b32 s5, s24, -1
	v_lshlrev_b64 v[2:3], 3, v[1:2]
	s_or_b32 s4, s4, s5
	v_ashrrev_i32_e32 v1, 31, v0
	v_cndmask_b32_e64 v8, 0, 1, s4
	s_and_b32 s5, s0, vcc_lo
	v_add_co_u32 v6, s1, s2, v2
	v_add_co_ci_u32_e64 v7, null, s3, v3, s1
	s_and_saveexec_b32 s1, s5
	s_cbranch_execz .LBB240_22
; %bb.19:
	v_lshlrev_b64 v[4:5], 3, v[0:1]
	v_mul_f32_e32 v2, s23, v23
	v_mul_f32_e32 v3, s22, v23
	v_fma_f32 v2, v22, s22, -v2
	v_add_co_u32 v4, vcc_lo, v6, v4
	v_fmac_f32_e32 v3, s23, v22
	v_add_co_ci_u32_e64 v5, null, v7, v5, vcc_lo
	s_andn2_b32 vcc_lo, exec_lo, s4
	s_cbranch_vccnz .LBB240_21
; %bb.20:
	global_load_dwordx2 v[10:11], v[4:5], off
	s_waitcnt vmcnt(0)
	v_mul_f32_e32 v12, s11, v11
	v_mul_f32_e32 v11, s10, v11
	v_fma_f32 v12, v10, s10, -v12
	v_fmac_f32_e32 v11, s11, v10
	v_add_f32_e32 v2, v2, v12
	v_add_f32_e32 v3, v3, v11
.LBB240_21:
	global_store_dwordx2 v[4:5], v[2:3], off
.LBB240_22:
	s_or_b32 exec_lo, exec_lo, s1
	v_add_nc_u32_e32 v2, 16, v0
	v_cmp_le_i32_e32 vcc_lo, v2, v9
	v_ashrrev_i32_e32 v3, 31, v2
	s_and_b32 s0, s0, vcc_lo
	s_and_saveexec_b32 s1, s0
	s_cbranch_execz .LBB240_26
; %bb.23:
	v_lshlrev_b64 v[10:11], 3, v[2:3]
	v_mul_f32_e32 v4, s23, v21
	v_mul_f32_e32 v5, s22, v21
	v_cmp_ne_u32_e32 vcc_lo, 1, v8
	v_fma_f32 v4, v20, s22, -v4
	v_add_co_u32 v6, s0, v6, v10
	v_fmac_f32_e32 v5, s23, v20
	v_add_co_ci_u32_e64 v7, null, v7, v11, s0
	s_cbranch_vccnz .LBB240_25
; %bb.24:
	global_load_dwordx2 v[10:11], v[6:7], off
	s_waitcnt vmcnt(0)
	v_mul_f32_e32 v12, s11, v11
	v_mul_f32_e32 v11, s10, v11
	v_fma_f32 v12, v10, s10, -v12
	v_fmac_f32_e32 v11, s11, v10
	v_add_f32_e32 v4, v4, v12
	v_add_f32_e32 v5, v5, v11
.LBB240_25:
	global_store_dwordx2 v[6:7], v[4:5], off
.LBB240_26:
	s_or_b32 exec_lo, exec_lo, s1
	v_add_nc_u32_e32 v9, 16, v9
	v_ashrrev_i32_e32 v6, 31, v9
	v_mul_lo_u32 v7, s15, v9
	v_mad_u64_u32 v[4:5], null, s14, v9, 0
	v_cmp_gt_i32_e64 s0, s9, v9
	v_mul_lo_u32 v6, s14, v6
	v_cmp_le_i32_e32 vcc_lo, v0, v9
	v_add3_u32 v5, v5, v6, v7
	v_lshlrev_b64 v[4:5], 3, v[4:5]
	v_add_co_u32 v6, s1, s2, v4
	v_add_co_ci_u32_e64 v7, null, s3, v5, s1
	s_and_b32 s1, s0, vcc_lo
	s_and_saveexec_b32 s2, s1
	s_cbranch_execz .LBB240_30
; %bb.27:
	v_lshlrev_b64 v[0:1], 3, v[0:1]
	v_mul_f32_e32 v4, s23, v19
	v_mul_f32_e32 v5, s22, v19
	v_cmp_ne_u32_e32 vcc_lo, 1, v8
	v_fma_f32 v4, v18, s22, -v4
	v_add_co_u32 v0, s1, v6, v0
	v_fmac_f32_e32 v5, s23, v18
	v_add_co_ci_u32_e64 v1, null, v7, v1, s1
	s_cbranch_vccnz .LBB240_29
; %bb.28:
	global_load_dwordx2 v[10:11], v[0:1], off
	s_waitcnt vmcnt(0)
	v_mul_f32_e32 v12, s11, v11
	v_mul_f32_e32 v11, s10, v11
	v_fma_f32 v12, v10, s10, -v12
	v_fmac_f32_e32 v11, s11, v10
	v_add_f32_e32 v4, v4, v12
	v_add_f32_e32 v5, v5, v11
.LBB240_29:
	global_store_dwordx2 v[0:1], v[4:5], off
.LBB240_30:
	s_or_b32 exec_lo, exec_lo, s2
	v_cmp_le_i32_e32 vcc_lo, v2, v9
	s_and_b32 s0, s0, vcc_lo
	s_and_saveexec_b32 s1, s0
	s_cbranch_execz .LBB240_34
; %bb.31:
	v_lshlrev_b64 v[2:3], 3, v[2:3]
	v_mul_f32_e32 v0, s23, v17
	v_mul_f32_e32 v1, s22, v17
	v_cmp_ne_u32_e32 vcc_lo, 1, v8
	v_fma_f32 v0, v16, s22, -v0
	v_add_co_u32 v2, s0, v6, v2
	v_fmac_f32_e32 v1, s23, v16
	v_add_co_ci_u32_e64 v3, null, v7, v3, s0
	s_cbranch_vccnz .LBB240_33
; %bb.32:
	global_load_dwordx2 v[4:5], v[2:3], off
	s_waitcnt vmcnt(0)
	v_mul_f32_e32 v6, s11, v5
	v_mul_f32_e32 v5, s10, v5
	v_fma_f32 v6, v4, s10, -v6
	v_fmac_f32_e32 v5, s11, v4
	v_add_f32_e32 v0, v0, v6
	v_add_f32_e32 v1, v1, v5
.LBB240_33:
	global_store_dwordx2 v[2:3], v[0:1], off
.LBB240_34:
	s_endpgm
	.section	.rodata,"a",@progbits
	.p2align	6, 0x0
	.amdhsa_kernel _ZL29rocblas_internal_gemmt_kernelIlLi16ELi32ELi8ELc67ELc78ELc85ELb1ELb0E19rocblas_complex_numIfES1_PKS1_PS1_EviT_T9_T10_S5_lS7_S5_lS6_T11_S5_li
		.amdhsa_group_segment_fixed_size 4096
		.amdhsa_private_segment_fixed_size 0
		.amdhsa_kernarg_size 108
		.amdhsa_user_sgpr_count 6
		.amdhsa_user_sgpr_private_segment_buffer 1
		.amdhsa_user_sgpr_dispatch_ptr 0
		.amdhsa_user_sgpr_queue_ptr 0
		.amdhsa_user_sgpr_kernarg_segment_ptr 1
		.amdhsa_user_sgpr_dispatch_id 0
		.amdhsa_user_sgpr_flat_scratch_init 0
		.amdhsa_user_sgpr_private_segment_size 0
		.amdhsa_wavefront_size32 1
		.amdhsa_uses_dynamic_stack 0
		.amdhsa_system_sgpr_private_segment_wavefront_offset 0
		.amdhsa_system_sgpr_workgroup_id_x 1
		.amdhsa_system_sgpr_workgroup_id_y 1
		.amdhsa_system_sgpr_workgroup_id_z 1
		.amdhsa_system_sgpr_workgroup_info 0
		.amdhsa_system_vgpr_workitem_id 1
		.amdhsa_next_free_vgpr 61
		.amdhsa_next_free_sgpr 27
		.amdhsa_reserve_vcc 1
		.amdhsa_reserve_flat_scratch 0
		.amdhsa_float_round_mode_32 0
		.amdhsa_float_round_mode_16_64 0
		.amdhsa_float_denorm_mode_32 3
		.amdhsa_float_denorm_mode_16_64 3
		.amdhsa_dx10_clamp 1
		.amdhsa_ieee_mode 1
		.amdhsa_fp16_overflow 0
		.amdhsa_workgroup_processor_mode 1
		.amdhsa_memory_ordered 1
		.amdhsa_forward_progress 1
		.amdhsa_shared_vgpr_count 0
		.amdhsa_exception_fp_ieee_invalid_op 0
		.amdhsa_exception_fp_denorm_src 0
		.amdhsa_exception_fp_ieee_div_zero 0
		.amdhsa_exception_fp_ieee_overflow 0
		.amdhsa_exception_fp_ieee_underflow 0
		.amdhsa_exception_fp_ieee_inexact 0
		.amdhsa_exception_int_div_zero 0
	.end_amdhsa_kernel
	.section	.text._ZL29rocblas_internal_gemmt_kernelIlLi16ELi32ELi8ELc67ELc78ELc85ELb1ELb0E19rocblas_complex_numIfES1_PKS1_PS1_EviT_T9_T10_S5_lS7_S5_lS6_T11_S5_li,"axG",@progbits,_ZL29rocblas_internal_gemmt_kernelIlLi16ELi32ELi8ELc67ELc78ELc85ELb1ELb0E19rocblas_complex_numIfES1_PKS1_PS1_EviT_T9_T10_S5_lS7_S5_lS6_T11_S5_li,comdat
.Lfunc_end240:
	.size	_ZL29rocblas_internal_gemmt_kernelIlLi16ELi32ELi8ELc67ELc78ELc85ELb1ELb0E19rocblas_complex_numIfES1_PKS1_PS1_EviT_T9_T10_S5_lS7_S5_lS6_T11_S5_li, .Lfunc_end240-_ZL29rocblas_internal_gemmt_kernelIlLi16ELi32ELi8ELc67ELc78ELc85ELb1ELb0E19rocblas_complex_numIfES1_PKS1_PS1_EviT_T9_T10_S5_lS7_S5_lS6_T11_S5_li
                                        ; -- End function
	.set _ZL29rocblas_internal_gemmt_kernelIlLi16ELi32ELi8ELc67ELc78ELc85ELb1ELb0E19rocblas_complex_numIfES1_PKS1_PS1_EviT_T9_T10_S5_lS7_S5_lS6_T11_S5_li.num_vgpr, 61
	.set _ZL29rocblas_internal_gemmt_kernelIlLi16ELi32ELi8ELc67ELc78ELc85ELb1ELb0E19rocblas_complex_numIfES1_PKS1_PS1_EviT_T9_T10_S5_lS7_S5_lS6_T11_S5_li.num_agpr, 0
	.set _ZL29rocblas_internal_gemmt_kernelIlLi16ELi32ELi8ELc67ELc78ELc85ELb1ELb0E19rocblas_complex_numIfES1_PKS1_PS1_EviT_T9_T10_S5_lS7_S5_lS6_T11_S5_li.numbered_sgpr, 27
	.set _ZL29rocblas_internal_gemmt_kernelIlLi16ELi32ELi8ELc67ELc78ELc85ELb1ELb0E19rocblas_complex_numIfES1_PKS1_PS1_EviT_T9_T10_S5_lS7_S5_lS6_T11_S5_li.num_named_barrier, 0
	.set _ZL29rocblas_internal_gemmt_kernelIlLi16ELi32ELi8ELc67ELc78ELc85ELb1ELb0E19rocblas_complex_numIfES1_PKS1_PS1_EviT_T9_T10_S5_lS7_S5_lS6_T11_S5_li.private_seg_size, 0
	.set _ZL29rocblas_internal_gemmt_kernelIlLi16ELi32ELi8ELc67ELc78ELc85ELb1ELb0E19rocblas_complex_numIfES1_PKS1_PS1_EviT_T9_T10_S5_lS7_S5_lS6_T11_S5_li.uses_vcc, 1
	.set _ZL29rocblas_internal_gemmt_kernelIlLi16ELi32ELi8ELc67ELc78ELc85ELb1ELb0E19rocblas_complex_numIfES1_PKS1_PS1_EviT_T9_T10_S5_lS7_S5_lS6_T11_S5_li.uses_flat_scratch, 0
	.set _ZL29rocblas_internal_gemmt_kernelIlLi16ELi32ELi8ELc67ELc78ELc85ELb1ELb0E19rocblas_complex_numIfES1_PKS1_PS1_EviT_T9_T10_S5_lS7_S5_lS6_T11_S5_li.has_dyn_sized_stack, 0
	.set _ZL29rocblas_internal_gemmt_kernelIlLi16ELi32ELi8ELc67ELc78ELc85ELb1ELb0E19rocblas_complex_numIfES1_PKS1_PS1_EviT_T9_T10_S5_lS7_S5_lS6_T11_S5_li.has_recursion, 0
	.set _ZL29rocblas_internal_gemmt_kernelIlLi16ELi32ELi8ELc67ELc78ELc85ELb1ELb0E19rocblas_complex_numIfES1_PKS1_PS1_EviT_T9_T10_S5_lS7_S5_lS6_T11_S5_li.has_indirect_call, 0
	.section	.AMDGPU.csdata,"",@progbits
; Kernel info:
; codeLenInByte = 2656
; TotalNumSgprs: 29
; NumVgprs: 61
; ScratchSize: 0
; MemoryBound: 0
; FloatMode: 240
; IeeeMode: 1
; LDSByteSize: 4096 bytes/workgroup (compile time only)
; SGPRBlocks: 0
; VGPRBlocks: 7
; NumSGPRsForWavesPerEU: 29
; NumVGPRsForWavesPerEU: 61
; Occupancy: 16
; WaveLimiterHint : 0
; COMPUTE_PGM_RSRC2:SCRATCH_EN: 0
; COMPUTE_PGM_RSRC2:USER_SGPR: 6
; COMPUTE_PGM_RSRC2:TRAP_HANDLER: 0
; COMPUTE_PGM_RSRC2:TGID_X_EN: 1
; COMPUTE_PGM_RSRC2:TGID_Y_EN: 1
; COMPUTE_PGM_RSRC2:TGID_Z_EN: 1
; COMPUTE_PGM_RSRC2:TIDIG_COMP_CNT: 1
	.section	.text._ZL29rocblas_internal_gemmt_kernelIlLi16ELi32ELi8ELc67ELc84ELc85ELb1ELb0E19rocblas_complex_numIfES1_PKS1_PS1_EviT_T9_T10_S5_lS7_S5_lS6_T11_S5_li,"axG",@progbits,_ZL29rocblas_internal_gemmt_kernelIlLi16ELi32ELi8ELc67ELc84ELc85ELb1ELb0E19rocblas_complex_numIfES1_PKS1_PS1_EviT_T9_T10_S5_lS7_S5_lS6_T11_S5_li,comdat
	.globl	_ZL29rocblas_internal_gemmt_kernelIlLi16ELi32ELi8ELc67ELc84ELc85ELb1ELb0E19rocblas_complex_numIfES1_PKS1_PS1_EviT_T9_T10_S5_lS7_S5_lS6_T11_S5_li ; -- Begin function _ZL29rocblas_internal_gemmt_kernelIlLi16ELi32ELi8ELc67ELc84ELc85ELb1ELb0E19rocblas_complex_numIfES1_PKS1_PS1_EviT_T9_T10_S5_lS7_S5_lS6_T11_S5_li
	.p2align	8
	.type	_ZL29rocblas_internal_gemmt_kernelIlLi16ELi32ELi8ELc67ELc84ELc85ELb1ELb0E19rocblas_complex_numIfES1_PKS1_PS1_EviT_T9_T10_S5_lS7_S5_lS6_T11_S5_li,@function
_ZL29rocblas_internal_gemmt_kernelIlLi16ELi32ELi8ELc67ELc84ELc85ELb1ELb0E19rocblas_complex_numIfES1_PKS1_PS1_EviT_T9_T10_S5_lS7_S5_lS6_T11_S5_li: ; @_ZL29rocblas_internal_gemmt_kernelIlLi16ELi32ELi8ELc67ELc84ELc85ELb1ELb0E19rocblas_complex_numIfES1_PKS1_PS1_EviT_T9_T10_S5_lS7_S5_lS6_T11_S5_li
; %bb.0:
	s_clause 0x1
	s_load_dwordx2 s[2:3], s[4:5], 0x48
	s_load_dwordx4 s[20:23], s[4:5], 0x8
	s_waitcnt lgkmcnt(0)
	s_and_b32 s0, s3, 0x7fffffff
	v_cmp_eq_f32_e64 s1, s2, 1.0
	s_cmp_eq_u32 s0, 0
	s_mov_b32 s0, 0
	s_cselect_b32 s10, -1, 0
	s_and_b32 s1, s1, s10
	s_andn2_b32 vcc_lo, exec_lo, s1
	s_mov_b32 s1, -1
	s_cbranch_vccnz .LBB241_4
; %bb.1:
	s_cmp_lg_u64 s[20:21], 0
	s_cbranch_scc0 .LBB241_3
; %bb.2:
	v_cmp_neq_f32_e64 s0, s22, 0
	v_cmp_neq_f32_e64 s1, s23, 0
	s_or_b32 s0, s0, s1
.LBB241_3:
	s_mov_b32 s1, s0
.LBB241_4:
	s_and_b32 vcc_lo, exec_lo, s1
	s_cbranch_vccz .LBB241_34
; %bb.5:
	s_load_dword s9, s[4:5], 0x0
	v_cmp_eq_f32_e64 s0, s22, 0
	v_cmp_eq_f32_e64 s1, s23, 0
	v_cmp_lt_i64_e64 s12, s[20:21], 1
	v_mov_b32_e32 v22, 0
	v_mov_b32_e32 v23, 0
	;; [unrolled: 1-line block ×3, first 2 shown]
	s_and_b32 s0, s0, s1
	v_mov_b32_e32 v21, 0
	v_mov_b32_e32 v18, 0
	;; [unrolled: 1-line block ×5, first 2 shown]
	s_or_b32 s0, s0, s12
	s_lshl_b32 s11, s6, 5
	s_and_b32 vcc_lo, exec_lo, s0
	s_lshl_b32 s28, s7, 5
	s_cbranch_vccnz .LBB241_18
; %bb.6:
	s_clause 0x1
	s_load_dwordx4 s[24:27], s[4:5], 0x38
	s_load_dwordx8 s[12:19], s[4:5], 0x18
	v_lshl_add_u32 v2, v1, 4, v0
	v_and_b32_e32 v6, 7, v0
	v_lshlrev_b32_e32 v14, 3, v0
	v_lshl_add_u32 v15, v1, 6, 0x800
	v_mov_b32_e32 v17, 0
	v_and_b32_e32 v4, 31, v2
	v_lshrrev_b32_e32 v3, 3, v2
	v_lshlrev_b32_e32 v5, 3, v6
	v_lshrrev_b32_e32 v7, 5, v2
	v_mov_b32_e32 v16, 0
	v_or_b32_e32 v8, s11, v4
	v_lshlrev_b32_e32 v9, 3, v4
	v_lshl_or_b32 v12, v3, 6, v5
	v_add_nc_u32_e32 v2, s28, v3
	v_mov_b32_e32 v19, 0
	v_mov_b32_e32 v18, 0
	;; [unrolled: 1-line block ×4, first 2 shown]
	s_waitcnt lgkmcnt(0)
	s_mul_i32 s1, s27, s8
	s_mul_hi_u32 s6, s26, s8
	s_mul_i32 s0, s26, s8
	s_add_i32 s1, s6, s1
	s_mul_i32 s7, s17, s8
	s_lshl_b64 s[0:1], s[0:1], 3
	s_mul_hi_u32 s17, s16, s8
	v_mul_lo_u32 v10, s15, v8
	s_add_u32 s15, s18, s0
	s_mul_i32 s6, s16, s8
	s_addc_u32 s16, s19, s1
	s_add_i32 s7, s17, s7
	v_mad_u64_u32 v[4:5], null, s14, v8, 0
	s_lshl_b64 s[0:1], s[6:7], 3
	v_ashrrev_i32_e32 v3, 31, v2
	s_add_u32 s6, s12, s0
	s_addc_u32 s7, s13, s1
	s_ashr_i32 s1, s11, 31
	v_cmp_gt_i32_e32 vcc_lo, s9, v2
	s_mul_i32 s1, s14, s1
	v_cmp_gt_i32_e64 s0, s9, v8
	v_add3_u32 v5, v5, s1, v10
	v_lshlrev_b64 v[10:11], 3, v[2:3]
	v_cmp_le_i32_e64 s12, s9, v8
	v_lshl_or_b32 v8, v7, 8, v9
	v_add_nc_u32_e32 v9, 0x800, v12
	v_lshlrev_b64 v[2:3], 3, v[4:5]
	v_mov_b32_e32 v23, 0
	v_add_co_u32 v10, s1, s15, v10
	v_add_co_ci_u32_e64 v11, null, s16, v11, s1
	v_add_co_u32 v12, s1, s6, v2
	v_add_co_ci_u32_e64 v13, null, s7, v3, s1
	v_mov_b32_e32 v3, 0
	v_mov_b32_e32 v22, 0
	s_mov_b64 s[6:7], 0
	s_xor_b32 s1, vcc_lo, -1
                                        ; implicit-def: $vgpr4_vgpr5
	s_branch .LBB241_8
.LBB241_7:                              ;   in Loop: Header=BB241_8 Depth=1
	s_or_b32 exec_lo, exec_lo, s13
	s_waitcnt lgkmcnt(0)
	s_barrier
	buffer_gl0_inv
	ds_read_b128 v[24:27], v15
	ds_read2_b64 v[28:31], v14 offset1:16
	ds_read_b128 v[32:35], v15 offset:1024
	ds_read_b128 v[36:39], v15 offset:16
	;; [unrolled: 1-line block ×4, first 2 shown]
	ds_read2_b64 v[48:51], v14 offset0:32 offset1:48
	ds_read_b128 v[52:55], v15 offset:1040
	s_add_u32 s6, s6, 8
	s_addc_u32 s7, s7, 0
	v_cmp_gt_i64_e64 s13, s[20:21], s[6:7]
	s_and_b32 vcc_lo, exec_lo, s13
	s_waitcnt lgkmcnt(6)
	v_mul_f32_e32 v2, v25, v29
	v_mul_f32_e32 v56, v24, v29
	v_mul_f32_e32 v57, v25, v31
	v_mul_f32_e32 v58, v24, v31
	s_waitcnt lgkmcnt(5)
	v_mul_f32_e32 v59, v33, v29
	v_mul_f32_e32 v29, v32, v29
	;; [unrolled: 1-line block ×3, first 2 shown]
	v_fma_f32 v2, v24, v28, -v2
	v_fmac_f32_e32 v56, v25, v28
	v_fma_f32 v24, v24, v30, -v57
	v_fmac_f32_e32 v58, v25, v30
	;; [unrolled: 2-line block ×3, first 2 shown]
	v_mul_f32_e32 v31, v32, v31
	v_fma_f32 v28, v32, v30, -v60
	v_add_f32_e32 v2, v22, v2
	v_add_f32_e32 v22, v23, v56
	;; [unrolled: 1-line block ×6, first 2 shown]
	s_waitcnt lgkmcnt(1)
	v_mul_f32_e32 v32, v27, v49
	ds_read2_b64 v[18:21], v14 offset0:64 offset1:80
	v_fmac_f32_e32 v31, v33, v30
	v_add_f32_e32 v16, v16, v28
	v_mul_f32_e32 v28, v26, v49
	v_fma_f32 v30, v26, v48, -v32
	v_mul_f32_e32 v32, v27, v51
	v_add_f32_e32 v17, v17, v31
	v_mul_f32_e32 v31, v26, v51
	v_fmac_f32_e32 v28, v27, v48
	v_add_f32_e32 v2, v2, v30
	v_fma_f32 v26, v26, v50, -v32
	v_mul_f32_e32 v30, v35, v49
	v_fmac_f32_e32 v31, v27, v50
	v_add_f32_e32 v28, v22, v28
	v_mul_f32_e32 v22, v34, v49
	v_add_f32_e32 v26, v23, v26
	v_fma_f32 v23, v34, v48, -v30
	v_mul_f32_e32 v27, v35, v51
	v_add_f32_e32 v30, v24, v31
	v_fmac_f32_e32 v22, v35, v48
	v_mul_f32_e32 v31, v34, v51
	v_add_f32_e32 v32, v25, v23
	v_fma_f32 v23, v34, v50, -v27
	s_waitcnt lgkmcnt(0)
	v_mul_f32_e32 v24, v37, v19
	v_add_f32_e32 v27, v29, v22
	v_fmac_f32_e32 v31, v35, v50
	v_mul_f32_e32 v29, v36, v19
	v_add_f32_e32 v16, v16, v23
	v_fma_f32 v33, v36, v18, -v24
	v_mul_f32_e32 v34, v37, v21
	ds_read2_b64 v[22:25], v14 offset0:96 offset1:112
	v_fmac_f32_e32 v29, v37, v18
	v_add_f32_e32 v31, v17, v31
	v_add_f32_e32 v2, v2, v33
	v_mul_f32_e32 v17, v36, v21
	v_fma_f32 v33, v36, v20, -v34
	v_add_f32_e32 v28, v28, v29
	v_mul_f32_e32 v29, v53, v19
	v_mul_f32_e32 v19, v52, v19
	v_fmac_f32_e32 v17, v37, v20
	v_add_f32_e32 v26, v26, v33
	v_mul_f32_e32 v33, v53, v21
	v_mul_f32_e32 v21, v52, v21
	v_fmac_f32_e32 v19, v53, v18
	v_add_f32_e32 v30, v30, v17
	v_fma_f32 v29, v52, v18, -v29
	v_fma_f32 v17, v52, v20, -v33
	v_fmac_f32_e32 v21, v53, v20
	v_add_f32_e32 v33, v27, v19
	s_waitcnt lgkmcnt(0)
	v_mul_f32_e32 v20, v39, v23
	v_add_f32_e32 v34, v16, v17
	ds_read2_b64 v[16:19], v14 offset0:128 offset1:144
	v_add_f32_e32 v32, v32, v29
	v_mul_f32_e32 v27, v38, v23
	v_mul_f32_e32 v29, v39, v25
	v_fma_f32 v20, v38, v22, -v20
	v_add_f32_e32 v31, v31, v21
	v_mul_f32_e32 v21, v38, v25
	v_fmac_f32_e32 v27, v39, v22
	v_fma_f32 v29, v38, v24, -v29
	v_add_f32_e32 v2, v2, v20
	v_mul_f32_e32 v20, v55, v23
	v_fmac_f32_e32 v21, v39, v24
	v_add_f32_e32 v35, v28, v27
	v_add_f32_e32 v36, v26, v29
	v_mul_f32_e32 v23, v54, v23
	v_fma_f32 v20, v54, v22, -v20
	v_mul_f32_e32 v37, v55, v25
	ds_read_b128 v[26:29], v15 offset:1056
	v_add_f32_e32 v38, v30, v21
	v_fmac_f32_e32 v23, v55, v22
	v_mul_f32_e32 v25, v54, v25
	v_fma_f32 v21, v54, v24, -v37
	v_add_f32_e32 v37, v32, v20
	s_waitcnt lgkmcnt(1)
	v_mul_f32_e32 v20, v41, v17
	v_add_f32_e32 v39, v33, v23
	v_fmac_f32_e32 v25, v55, v24
	v_add_f32_e32 v24, v34, v21
	v_mul_f32_e32 v32, v41, v19
	v_fma_f32 v30, v40, v16, -v20
	ds_read2_b64 v[20:23], v14 offset0:160 offset1:176
	v_mul_f32_e32 v34, v40, v17
	v_add_f32_e32 v25, v31, v25
	v_fma_f32 v48, v40, v18, -v32
	v_mul_f32_e32 v40, v40, v19
	v_add_f32_e32 v2, v2, v30
	v_fmac_f32_e32 v34, v41, v16
	ds_read_b128 v[30:33], v15 offset:1072
	s_waitcnt lgkmcnt(2)
	v_mul_f32_e32 v49, v27, v17
	v_mul_f32_e32 v17, v26, v17
	v_fmac_f32_e32 v40, v41, v18
	v_mul_f32_e32 v41, v27, v19
	v_add_f32_e32 v34, v35, v34
	v_add_f32_e32 v35, v36, v48
	v_fma_f32 v36, v26, v16, -v49
	v_fmac_f32_e32 v17, v27, v16
	v_add_f32_e32 v38, v38, v40
	v_mul_f32_e32 v40, v26, v19
	v_fma_f32 v16, v26, v18, -v41
	v_add_f32_e32 v36, v37, v36
	v_add_f32_e32 v26, v39, v17
	s_waitcnt lgkmcnt(1)
	v_mul_f32_e32 v37, v43, v21
	v_fmac_f32_e32 v40, v27, v18
	v_add_f32_e32 v24, v24, v16
	ds_read2_b64 v[16:19], v14 offset0:192 offset1:208
	v_mul_f32_e32 v27, v42, v21
	v_fma_f32 v37, v42, v20, -v37
	v_mul_f32_e32 v39, v43, v23
	v_add_f32_e32 v40, v25, v40
	v_mul_f32_e32 v25, v42, v23
	v_fmac_f32_e32 v27, v43, v20
	v_add_f32_e32 v2, v2, v37
	v_fma_f32 v37, v42, v22, -v39
	v_fmac_f32_e32 v25, v43, v22
	v_add_f32_e32 v34, v34, v27
	v_mul_f32_e32 v27, v29, v21
	v_mul_f32_e32 v21, v28, v21
	v_add_f32_e32 v35, v35, v37
	v_mul_f32_e32 v37, v29, v23
	v_add_f32_e32 v38, v38, v25
	v_fma_f32 v27, v28, v20, -v27
	v_fmac_f32_e32 v21, v29, v20
	v_mul_f32_e32 v20, v28, v23
	v_fma_f32 v23, v28, v22, -v37
	s_waitcnt lgkmcnt(0)
	v_mul_f32_e32 v25, v45, v17
	v_add_f32_e32 v28, v36, v27
	v_add_f32_e32 v21, v26, v21
	v_fmac_f32_e32 v20, v29, v22
	v_add_f32_e32 v22, v24, v23
	v_fma_f32 v29, v44, v16, -v25
	ds_read2_b64 v[24:27], v14 offset0:224 offset1:240
	v_mul_f32_e32 v23, v44, v17
	v_mul_f32_e32 v37, v31, v17
	;; [unrolled: 1-line block ×4, first 2 shown]
	v_add_f32_e32 v2, v2, v29
	v_fmac_f32_e32 v23, v45, v16
	v_mul_f32_e32 v29, v44, v19
	v_fmac_f32_e32 v17, v31, v16
	v_fma_f32 v36, v44, v18, -v36
	v_add_f32_e32 v20, v40, v20
	v_add_f32_e32 v23, v34, v23
	v_fma_f32 v34, v30, v16, -v37
	v_mul_f32_e32 v16, v31, v19
	v_mul_f32_e32 v19, v30, v19
	v_fmac_f32_e32 v29, v45, v18
	v_add_f32_e32 v17, v21, v17
	v_add_f32_e32 v35, v35, v36
	v_fma_f32 v16, v30, v18, -v16
	v_fmac_f32_e32 v19, v31, v18
	s_waitcnt lgkmcnt(0)
	v_mul_f32_e32 v21, v47, v25
	v_mul_f32_e32 v18, v47, v27
	v_add_f32_e32 v28, v28, v34
	v_mul_f32_e32 v30, v46, v25
	v_add_f32_e32 v16, v22, v16
	v_fma_f32 v21, v46, v24, -v21
	v_fma_f32 v18, v46, v26, -v18
	v_mul_f32_e32 v31, v46, v27
	v_add_f32_e32 v34, v20, v19
	v_mul_f32_e32 v19, v32, v25
	v_add_f32_e32 v22, v2, v21
	v_add_f32_e32 v20, v35, v18
	v_mul_f32_e32 v2, v33, v25
	v_mul_f32_e32 v18, v33, v27
	;; [unrolled: 1-line block ×3, first 2 shown]
	v_add_f32_e32 v29, v38, v29
	v_fmac_f32_e32 v30, v47, v24
	v_fmac_f32_e32 v31, v47, v26
	v_fma_f32 v2, v32, v24, -v2
	v_fmac_f32_e32 v19, v33, v24
	v_fma_f32 v24, v32, v26, -v18
	v_fmac_f32_e32 v25, v33, v26
	v_add_f32_e32 v23, v23, v30
	v_add_f32_e32 v21, v29, v31
	;; [unrolled: 1-line block ×6, first 2 shown]
	s_barrier
	buffer_gl0_inv
	s_cbranch_vccz .LBB241_18
.LBB241_8:                              ; =>This Inner Loop Header: Depth=1
	s_mov_b32 s15, s12
	s_mov_b32 s13, 0
	s_and_saveexec_b32 s14, s0
	s_cbranch_execnz .LBB241_16
; %bb.9:                                ;   in Loop: Header=BB241_8 Depth=1
	s_or_b32 exec_lo, exec_lo, s14
	s_and_saveexec_b32 s14, s15
	s_xor_b32 s14, exec_lo, s14
	s_cbranch_execnz .LBB241_17
.LBB241_10:                             ;   in Loop: Header=BB241_8 Depth=1
	s_or_b32 exec_lo, exec_lo, s14
	v_mov_b32_e32 v24, 0
	s_and_saveexec_b32 s14, s13
	s_cbranch_execz .LBB241_12
.LBB241_11:                             ;   in Loop: Header=BB241_8 Depth=1
	v_lshlrev_b64 v[24:25], 3, v[4:5]
	v_add_co_u32 v24, vcc_lo, v12, v24
	v_add_co_ci_u32_e64 v25, null, v13, v25, vcc_lo
	global_load_dwordx2 v[25:26], v[24:25], off
	s_waitcnt vmcnt(0)
	v_xor_b32_e32 v24, 0x80000000, v26
	ds_write_b32 v8, v25
.LBB241_12:                             ;   in Loop: Header=BB241_8 Depth=1
	s_or_b32 exec_lo, exec_lo, s14
	v_add_nc_u32_e32 v2, s6, v6
	ds_write_b32 v8, v24 offset:4
	v_cmp_le_u64_e32 vcc_lo, s[20:21], v[2:3]
	s_or_b32 s13, vcc_lo, s1
	s_and_saveexec_b32 s14, s13
	s_xor_b32 s13, exec_lo, s14
; %bb.13:                               ;   in Loop: Header=BB241_8 Depth=1
	v_mov_b32_e32 v2, v3
	ds_write_b64 v9, v[2:3]
; %bb.14:                               ;   in Loop: Header=BB241_8 Depth=1
	s_andn2_saveexec_b32 s13, s13
	s_cbranch_execz .LBB241_7
; %bb.15:                               ;   in Loop: Header=BB241_8 Depth=1
	v_mad_u64_u32 v[24:25], null, s24, v2, 0
	v_mad_u64_u32 v[25:26], null, s25, v2, v[25:26]
	v_lshlrev_b64 v[24:25], 3, v[24:25]
	v_add_co_u32 v24, vcc_lo, v10, v24
	v_add_co_ci_u32_e64 v25, null, v11, v25, vcc_lo
	global_load_dwordx2 v[24:25], v[24:25], off
	s_waitcnt vmcnt(0)
	ds_write_b64 v9, v[24:25]
	s_branch .LBB241_7
.LBB241_16:                             ;   in Loop: Header=BB241_8 Depth=1
	v_add_nc_u32_e32 v2, s6, v7
	v_mov_b32_e32 v5, v3
	s_andn2_b32 s15, s12, exec_lo
	s_mov_b32 s13, exec_lo
	v_cmp_le_u64_e32 vcc_lo, s[20:21], v[2:3]
	v_mov_b32_e32 v4, v2
	s_and_b32 s16, vcc_lo, exec_lo
	s_or_b32 s15, s15, s16
	s_or_b32 exec_lo, exec_lo, s14
	s_and_saveexec_b32 s14, s15
	s_xor_b32 s14, exec_lo, s14
	s_cbranch_execz .LBB241_10
.LBB241_17:                             ;   in Loop: Header=BB241_8 Depth=1
	s_andn2_b32 s13, s13, exec_lo
	ds_write_b32 v8, v3
	s_or_b32 exec_lo, exec_lo, s14
	v_mov_b32_e32 v24, 0
	s_and_saveexec_b32 s14, s13
	s_cbranch_execnz .LBB241_11
	s_branch .LBB241_12
.LBB241_18:
	s_clause 0x1
	s_load_dwordx4 s[12:15], s[4:5], 0x50
	s_load_dwordx2 s[4:5], s[4:5], 0x60
	v_add_nc_u32_e32 v9, s28, v1
	v_add_nc_u32_e32 v0, s11, v0
	v_cmp_neq_f32_e64 s6, s2, 0
	v_ashrrev_i32_e32 v1, 31, v9
	s_waitcnt lgkmcnt(0)
	v_cmp_gt_i32_e64 s0, s9, v9
	v_cmp_le_i32_e32 vcc_lo, v0, v9
	v_mul_lo_u32 v3, s14, v1
	v_mul_lo_u32 v4, s15, v9
	v_mad_u64_u32 v[1:2], null, s14, v9, 0
	s_mul_i32 s1, s5, s8
	s_mul_hi_u32 s5, s4, s8
	s_mul_i32 s4, s4, s8
	s_add_i32 s5, s5, s1
	s_lshl_b64 s[4:5], s[4:5], 3
	v_add3_u32 v2, v2, v3, v4
	s_add_u32 s4, s12, s4
	s_addc_u32 s5, s13, s5
	s_xor_b32 s7, s10, -1
	v_lshlrev_b64 v[2:3], 3, v[1:2]
	s_or_b32 s6, s6, s7
	v_ashrrev_i32_e32 v1, 31, v0
	v_cndmask_b32_e64 v8, 0, 1, s6
	s_and_b32 s7, s0, vcc_lo
	v_add_co_u32 v6, s1, s4, v2
	v_add_co_ci_u32_e64 v7, null, s5, v3, s1
	s_and_saveexec_b32 s1, s7
	s_cbranch_execz .LBB241_22
; %bb.19:
	v_lshlrev_b64 v[4:5], 3, v[0:1]
	v_mul_f32_e32 v2, s23, v23
	v_mul_f32_e32 v3, s22, v23
	v_fma_f32 v2, v22, s22, -v2
	v_add_co_u32 v4, vcc_lo, v6, v4
	v_fmac_f32_e32 v3, s23, v22
	v_add_co_ci_u32_e64 v5, null, v7, v5, vcc_lo
	s_andn2_b32 vcc_lo, exec_lo, s6
	s_cbranch_vccnz .LBB241_21
; %bb.20:
	global_load_dwordx2 v[10:11], v[4:5], off
	s_waitcnt vmcnt(0)
	v_mul_f32_e32 v12, s3, v11
	v_mul_f32_e32 v11, s2, v11
	v_fma_f32 v12, v10, s2, -v12
	v_fmac_f32_e32 v11, s3, v10
	v_add_f32_e32 v2, v2, v12
	v_add_f32_e32 v3, v3, v11
.LBB241_21:
	global_store_dwordx2 v[4:5], v[2:3], off
.LBB241_22:
	s_or_b32 exec_lo, exec_lo, s1
	v_add_nc_u32_e32 v2, 16, v0
	v_cmp_le_i32_e32 vcc_lo, v2, v9
	v_ashrrev_i32_e32 v3, 31, v2
	s_and_b32 s0, s0, vcc_lo
	s_and_saveexec_b32 s1, s0
	s_cbranch_execz .LBB241_26
; %bb.23:
	v_lshlrev_b64 v[10:11], 3, v[2:3]
	v_mul_f32_e32 v4, s23, v21
	v_mul_f32_e32 v5, s22, v21
	v_cmp_ne_u32_e32 vcc_lo, 1, v8
	v_fma_f32 v4, v20, s22, -v4
	v_add_co_u32 v6, s0, v6, v10
	v_fmac_f32_e32 v5, s23, v20
	v_add_co_ci_u32_e64 v7, null, v7, v11, s0
	s_cbranch_vccnz .LBB241_25
; %bb.24:
	global_load_dwordx2 v[10:11], v[6:7], off
	s_waitcnt vmcnt(0)
	v_mul_f32_e32 v12, s3, v11
	v_mul_f32_e32 v11, s2, v11
	v_fma_f32 v12, v10, s2, -v12
	v_fmac_f32_e32 v11, s3, v10
	v_add_f32_e32 v4, v4, v12
	v_add_f32_e32 v5, v5, v11
.LBB241_25:
	global_store_dwordx2 v[6:7], v[4:5], off
.LBB241_26:
	s_or_b32 exec_lo, exec_lo, s1
	v_add_nc_u32_e32 v9, 16, v9
	v_ashrrev_i32_e32 v6, 31, v9
	v_mul_lo_u32 v7, s15, v9
	v_mad_u64_u32 v[4:5], null, s14, v9, 0
	v_cmp_gt_i32_e64 s0, s9, v9
	v_mul_lo_u32 v6, s14, v6
	v_cmp_le_i32_e32 vcc_lo, v0, v9
	v_add3_u32 v5, v5, v6, v7
	v_lshlrev_b64 v[4:5], 3, v[4:5]
	v_add_co_u32 v6, s1, s4, v4
	v_add_co_ci_u32_e64 v7, null, s5, v5, s1
	s_and_b32 s1, s0, vcc_lo
	s_and_saveexec_b32 s4, s1
	s_cbranch_execz .LBB241_30
; %bb.27:
	v_lshlrev_b64 v[0:1], 3, v[0:1]
	v_mul_f32_e32 v4, s23, v19
	v_mul_f32_e32 v5, s22, v19
	v_cmp_ne_u32_e32 vcc_lo, 1, v8
	v_fma_f32 v4, v18, s22, -v4
	v_add_co_u32 v0, s1, v6, v0
	v_fmac_f32_e32 v5, s23, v18
	v_add_co_ci_u32_e64 v1, null, v7, v1, s1
	s_cbranch_vccnz .LBB241_29
; %bb.28:
	global_load_dwordx2 v[10:11], v[0:1], off
	s_waitcnt vmcnt(0)
	v_mul_f32_e32 v12, s3, v11
	v_mul_f32_e32 v11, s2, v11
	v_fma_f32 v12, v10, s2, -v12
	v_fmac_f32_e32 v11, s3, v10
	v_add_f32_e32 v4, v4, v12
	v_add_f32_e32 v5, v5, v11
.LBB241_29:
	global_store_dwordx2 v[0:1], v[4:5], off
.LBB241_30:
	s_or_b32 exec_lo, exec_lo, s4
	v_cmp_le_i32_e32 vcc_lo, v2, v9
	s_and_b32 s0, s0, vcc_lo
	s_and_saveexec_b32 s1, s0
	s_cbranch_execz .LBB241_34
; %bb.31:
	v_lshlrev_b64 v[2:3], 3, v[2:3]
	v_mul_f32_e32 v0, s23, v17
	v_mul_f32_e32 v1, s22, v17
	v_cmp_ne_u32_e32 vcc_lo, 1, v8
	v_fma_f32 v0, v16, s22, -v0
	v_add_co_u32 v2, s0, v6, v2
	v_fmac_f32_e32 v1, s23, v16
	v_add_co_ci_u32_e64 v3, null, v7, v3, s0
	s_cbranch_vccnz .LBB241_33
; %bb.32:
	global_load_dwordx2 v[4:5], v[2:3], off
	s_waitcnt vmcnt(0)
	v_mul_f32_e32 v6, s3, v5
	v_mul_f32_e32 v5, s2, v5
	v_fma_f32 v6, v4, s2, -v6
	v_fmac_f32_e32 v5, s3, v4
	v_add_f32_e32 v0, v0, v6
	v_add_f32_e32 v1, v1, v5
.LBB241_33:
	global_store_dwordx2 v[2:3], v[0:1], off
.LBB241_34:
	s_endpgm
	.section	.rodata,"a",@progbits
	.p2align	6, 0x0
	.amdhsa_kernel _ZL29rocblas_internal_gemmt_kernelIlLi16ELi32ELi8ELc67ELc84ELc85ELb1ELb0E19rocblas_complex_numIfES1_PKS1_PS1_EviT_T9_T10_S5_lS7_S5_lS6_T11_S5_li
		.amdhsa_group_segment_fixed_size 4096
		.amdhsa_private_segment_fixed_size 0
		.amdhsa_kernarg_size 108
		.amdhsa_user_sgpr_count 6
		.amdhsa_user_sgpr_private_segment_buffer 1
		.amdhsa_user_sgpr_dispatch_ptr 0
		.amdhsa_user_sgpr_queue_ptr 0
		.amdhsa_user_sgpr_kernarg_segment_ptr 1
		.amdhsa_user_sgpr_dispatch_id 0
		.amdhsa_user_sgpr_flat_scratch_init 0
		.amdhsa_user_sgpr_private_segment_size 0
		.amdhsa_wavefront_size32 1
		.amdhsa_uses_dynamic_stack 0
		.amdhsa_system_sgpr_private_segment_wavefront_offset 0
		.amdhsa_system_sgpr_workgroup_id_x 1
		.amdhsa_system_sgpr_workgroup_id_y 1
		.amdhsa_system_sgpr_workgroup_id_z 1
		.amdhsa_system_sgpr_workgroup_info 0
		.amdhsa_system_vgpr_workitem_id 1
		.amdhsa_next_free_vgpr 61
		.amdhsa_next_free_sgpr 29
		.amdhsa_reserve_vcc 1
		.amdhsa_reserve_flat_scratch 0
		.amdhsa_float_round_mode_32 0
		.amdhsa_float_round_mode_16_64 0
		.amdhsa_float_denorm_mode_32 3
		.amdhsa_float_denorm_mode_16_64 3
		.amdhsa_dx10_clamp 1
		.amdhsa_ieee_mode 1
		.amdhsa_fp16_overflow 0
		.amdhsa_workgroup_processor_mode 1
		.amdhsa_memory_ordered 1
		.amdhsa_forward_progress 1
		.amdhsa_shared_vgpr_count 0
		.amdhsa_exception_fp_ieee_invalid_op 0
		.amdhsa_exception_fp_denorm_src 0
		.amdhsa_exception_fp_ieee_div_zero 0
		.amdhsa_exception_fp_ieee_overflow 0
		.amdhsa_exception_fp_ieee_underflow 0
		.amdhsa_exception_fp_ieee_inexact 0
		.amdhsa_exception_int_div_zero 0
	.end_amdhsa_kernel
	.section	.text._ZL29rocblas_internal_gemmt_kernelIlLi16ELi32ELi8ELc67ELc84ELc85ELb1ELb0E19rocblas_complex_numIfES1_PKS1_PS1_EviT_T9_T10_S5_lS7_S5_lS6_T11_S5_li,"axG",@progbits,_ZL29rocblas_internal_gemmt_kernelIlLi16ELi32ELi8ELc67ELc84ELc85ELb1ELb0E19rocblas_complex_numIfES1_PKS1_PS1_EviT_T9_T10_S5_lS7_S5_lS6_T11_S5_li,comdat
.Lfunc_end241:
	.size	_ZL29rocblas_internal_gemmt_kernelIlLi16ELi32ELi8ELc67ELc84ELc85ELb1ELb0E19rocblas_complex_numIfES1_PKS1_PS1_EviT_T9_T10_S5_lS7_S5_lS6_T11_S5_li, .Lfunc_end241-_ZL29rocblas_internal_gemmt_kernelIlLi16ELi32ELi8ELc67ELc84ELc85ELb1ELb0E19rocblas_complex_numIfES1_PKS1_PS1_EviT_T9_T10_S5_lS7_S5_lS6_T11_S5_li
                                        ; -- End function
	.set _ZL29rocblas_internal_gemmt_kernelIlLi16ELi32ELi8ELc67ELc84ELc85ELb1ELb0E19rocblas_complex_numIfES1_PKS1_PS1_EviT_T9_T10_S5_lS7_S5_lS6_T11_S5_li.num_vgpr, 61
	.set _ZL29rocblas_internal_gemmt_kernelIlLi16ELi32ELi8ELc67ELc84ELc85ELb1ELb0E19rocblas_complex_numIfES1_PKS1_PS1_EviT_T9_T10_S5_lS7_S5_lS6_T11_S5_li.num_agpr, 0
	.set _ZL29rocblas_internal_gemmt_kernelIlLi16ELi32ELi8ELc67ELc84ELc85ELb1ELb0E19rocblas_complex_numIfES1_PKS1_PS1_EviT_T9_T10_S5_lS7_S5_lS6_T11_S5_li.numbered_sgpr, 29
	.set _ZL29rocblas_internal_gemmt_kernelIlLi16ELi32ELi8ELc67ELc84ELc85ELb1ELb0E19rocblas_complex_numIfES1_PKS1_PS1_EviT_T9_T10_S5_lS7_S5_lS6_T11_S5_li.num_named_barrier, 0
	.set _ZL29rocblas_internal_gemmt_kernelIlLi16ELi32ELi8ELc67ELc84ELc85ELb1ELb0E19rocblas_complex_numIfES1_PKS1_PS1_EviT_T9_T10_S5_lS7_S5_lS6_T11_S5_li.private_seg_size, 0
	.set _ZL29rocblas_internal_gemmt_kernelIlLi16ELi32ELi8ELc67ELc84ELc85ELb1ELb0E19rocblas_complex_numIfES1_PKS1_PS1_EviT_T9_T10_S5_lS7_S5_lS6_T11_S5_li.uses_vcc, 1
	.set _ZL29rocblas_internal_gemmt_kernelIlLi16ELi32ELi8ELc67ELc84ELc85ELb1ELb0E19rocblas_complex_numIfES1_PKS1_PS1_EviT_T9_T10_S5_lS7_S5_lS6_T11_S5_li.uses_flat_scratch, 0
	.set _ZL29rocblas_internal_gemmt_kernelIlLi16ELi32ELi8ELc67ELc84ELc85ELb1ELb0E19rocblas_complex_numIfES1_PKS1_PS1_EviT_T9_T10_S5_lS7_S5_lS6_T11_S5_li.has_dyn_sized_stack, 0
	.set _ZL29rocblas_internal_gemmt_kernelIlLi16ELi32ELi8ELc67ELc84ELc85ELb1ELb0E19rocblas_complex_numIfES1_PKS1_PS1_EviT_T9_T10_S5_lS7_S5_lS6_T11_S5_li.has_recursion, 0
	.set _ZL29rocblas_internal_gemmt_kernelIlLi16ELi32ELi8ELc67ELc84ELc85ELb1ELb0E19rocblas_complex_numIfES1_PKS1_PS1_EviT_T9_T10_S5_lS7_S5_lS6_T11_S5_li.has_indirect_call, 0
	.section	.AMDGPU.csdata,"",@progbits
; Kernel info:
; codeLenInByte = 2640
; TotalNumSgprs: 31
; NumVgprs: 61
; ScratchSize: 0
; MemoryBound: 0
; FloatMode: 240
; IeeeMode: 1
; LDSByteSize: 4096 bytes/workgroup (compile time only)
; SGPRBlocks: 0
; VGPRBlocks: 7
; NumSGPRsForWavesPerEU: 31
; NumVGPRsForWavesPerEU: 61
; Occupancy: 16
; WaveLimiterHint : 0
; COMPUTE_PGM_RSRC2:SCRATCH_EN: 0
; COMPUTE_PGM_RSRC2:USER_SGPR: 6
; COMPUTE_PGM_RSRC2:TRAP_HANDLER: 0
; COMPUTE_PGM_RSRC2:TGID_X_EN: 1
; COMPUTE_PGM_RSRC2:TGID_Y_EN: 1
; COMPUTE_PGM_RSRC2:TGID_Z_EN: 1
; COMPUTE_PGM_RSRC2:TIDIG_COMP_CNT: 1
	.section	.text._ZL29rocblas_internal_gemmt_kernelIlLi16ELi32ELi8ELc67ELc67ELc85ELb1ELb1E19rocblas_complex_numIfES1_PKS1_PS1_EviT_T9_T10_S5_lS7_S5_lS6_T11_S5_li,"axG",@progbits,_ZL29rocblas_internal_gemmt_kernelIlLi16ELi32ELi8ELc67ELc67ELc85ELb1ELb1E19rocblas_complex_numIfES1_PKS1_PS1_EviT_T9_T10_S5_lS7_S5_lS6_T11_S5_li,comdat
	.globl	_ZL29rocblas_internal_gemmt_kernelIlLi16ELi32ELi8ELc67ELc67ELc85ELb1ELb1E19rocblas_complex_numIfES1_PKS1_PS1_EviT_T9_T10_S5_lS7_S5_lS6_T11_S5_li ; -- Begin function _ZL29rocblas_internal_gemmt_kernelIlLi16ELi32ELi8ELc67ELc67ELc85ELb1ELb1E19rocblas_complex_numIfES1_PKS1_PS1_EviT_T9_T10_S5_lS7_S5_lS6_T11_S5_li
	.p2align	8
	.type	_ZL29rocblas_internal_gemmt_kernelIlLi16ELi32ELi8ELc67ELc67ELc85ELb1ELb1E19rocblas_complex_numIfES1_PKS1_PS1_EviT_T9_T10_S5_lS7_S5_lS6_T11_S5_li,@function
_ZL29rocblas_internal_gemmt_kernelIlLi16ELi32ELi8ELc67ELc67ELc85ELb1ELb1E19rocblas_complex_numIfES1_PKS1_PS1_EviT_T9_T10_S5_lS7_S5_lS6_T11_S5_li: ; @_ZL29rocblas_internal_gemmt_kernelIlLi16ELi32ELi8ELc67ELc67ELc85ELb1ELb1E19rocblas_complex_numIfES1_PKS1_PS1_EviT_T9_T10_S5_lS7_S5_lS6_T11_S5_li
; %bb.0:
	s_clause 0x1
	s_load_dwordx2 s[2:3], s[4:5], 0x48
	s_load_dwordx4 s[20:23], s[4:5], 0x8
	s_waitcnt lgkmcnt(0)
	s_and_b32 s0, s3, 0x7fffffff
	v_cmp_eq_f32_e64 s1, s2, 1.0
	s_cmp_eq_u32 s0, 0
	s_mov_b32 s0, 0
	s_cselect_b32 s10, -1, 0
	s_and_b32 s1, s1, s10
	s_andn2_b32 vcc_lo, exec_lo, s1
	s_mov_b32 s1, -1
	s_cbranch_vccnz .LBB242_4
; %bb.1:
	s_cmp_lg_u64 s[20:21], 0
	s_cbranch_scc0 .LBB242_3
; %bb.2:
	v_cmp_neq_f32_e64 s0, s22, 0
	v_cmp_neq_f32_e64 s1, s23, 0
	s_or_b32 s0, s0, s1
.LBB242_3:
	s_mov_b32 s1, s0
.LBB242_4:
	s_and_b32 vcc_lo, exec_lo, s1
	s_cbranch_vccz .LBB242_34
; %bb.5:
	s_load_dword s9, s[4:5], 0x0
	v_cmp_eq_f32_e64 s0, s22, 0
	v_cmp_eq_f32_e64 s1, s23, 0
	v_cmp_lt_i64_e64 s12, s[20:21], 1
	v_mov_b32_e32 v22, 0
	v_mov_b32_e32 v23, 0
	;; [unrolled: 1-line block ×3, first 2 shown]
	s_and_b32 s0, s0, s1
	v_mov_b32_e32 v21, 0
	v_mov_b32_e32 v18, 0
	;; [unrolled: 1-line block ×5, first 2 shown]
	s_or_b32 s0, s0, s12
	s_lshl_b32 s11, s6, 5
	s_and_b32 vcc_lo, exec_lo, s0
	s_lshl_b32 s28, s7, 5
	s_cbranch_vccnz .LBB242_18
; %bb.6:
	s_clause 0x1
	s_load_dwordx4 s[24:27], s[4:5], 0x38
	s_load_dwordx8 s[12:19], s[4:5], 0x18
	v_lshl_add_u32 v2, v1, 4, v0
	v_and_b32_e32 v6, 7, v0
	v_lshlrev_b32_e32 v14, 3, v0
	v_lshl_add_u32 v15, v1, 6, 0x800
	v_mov_b32_e32 v17, 0
	v_and_b32_e32 v4, 31, v2
	v_lshrrev_b32_e32 v3, 3, v2
	v_lshlrev_b32_e32 v5, 3, v6
	v_lshrrev_b32_e32 v7, 5, v2
	v_mov_b32_e32 v16, 0
	v_or_b32_e32 v8, s11, v4
	v_lshlrev_b32_e32 v9, 3, v4
	v_lshl_or_b32 v12, v3, 6, v5
	v_add_nc_u32_e32 v2, s28, v3
	v_mov_b32_e32 v19, 0
	v_mov_b32_e32 v18, 0
	;; [unrolled: 1-line block ×4, first 2 shown]
	s_waitcnt lgkmcnt(0)
	s_mul_i32 s1, s27, s8
	s_mul_hi_u32 s6, s26, s8
	s_mul_i32 s0, s26, s8
	s_add_i32 s1, s6, s1
	s_mul_i32 s7, s17, s8
	s_lshl_b64 s[0:1], s[0:1], 3
	s_mul_hi_u32 s17, s16, s8
	v_mul_lo_u32 v10, s15, v8
	s_add_u32 s15, s18, s0
	s_mul_i32 s6, s16, s8
	s_addc_u32 s16, s19, s1
	s_add_i32 s7, s17, s7
	v_mad_u64_u32 v[4:5], null, s14, v8, 0
	s_lshl_b64 s[0:1], s[6:7], 3
	v_ashrrev_i32_e32 v3, 31, v2
	s_add_u32 s6, s12, s0
	s_addc_u32 s7, s13, s1
	s_ashr_i32 s1, s11, 31
	v_cmp_gt_i32_e32 vcc_lo, s9, v2
	s_mul_i32 s1, s14, s1
	v_cmp_gt_i32_e64 s0, s9, v8
	v_add3_u32 v5, v5, s1, v10
	v_lshlrev_b64 v[10:11], 3, v[2:3]
	v_cmp_le_i32_e64 s12, s9, v8
	v_lshl_or_b32 v8, v7, 8, v9
	v_add_nc_u32_e32 v9, 0x800, v12
	v_lshlrev_b64 v[2:3], 3, v[4:5]
	v_mov_b32_e32 v23, 0
	v_add_co_u32 v10, s1, s15, v10
	v_add_co_ci_u32_e64 v11, null, s16, v11, s1
	v_add_co_u32 v12, s1, s6, v2
	v_add_co_ci_u32_e64 v13, null, s7, v3, s1
	v_mov_b32_e32 v3, 0
	v_mov_b32_e32 v22, 0
	s_mov_b64 s[6:7], 0
	s_xor_b32 s1, vcc_lo, -1
                                        ; implicit-def: $vgpr4_vgpr5
	s_branch .LBB242_8
.LBB242_7:                              ;   in Loop: Header=BB242_8 Depth=1
	s_or_b32 exec_lo, exec_lo, s13
	ds_write_b32 v9, v24 offset:4
	s_waitcnt lgkmcnt(0)
	s_barrier
	buffer_gl0_inv
	ds_read_b128 v[24:27], v15
	ds_read2_b64 v[28:31], v14 offset1:16
	ds_read_b128 v[32:35], v15 offset:1024
	ds_read_b128 v[36:39], v15 offset:16
	;; [unrolled: 1-line block ×4, first 2 shown]
	ds_read2_b64 v[48:51], v14 offset0:32 offset1:48
	ds_read_b128 v[52:55], v15 offset:1040
	s_add_u32 s6, s6, 8
	s_addc_u32 s7, s7, 0
	v_cmp_gt_i64_e64 s13, s[20:21], s[6:7]
	s_and_b32 vcc_lo, exec_lo, s13
	s_waitcnt lgkmcnt(6)
	v_mul_f32_e32 v2, v25, v29
	v_mul_f32_e32 v56, v24, v29
	;; [unrolled: 1-line block ×4, first 2 shown]
	s_waitcnt lgkmcnt(5)
	v_mul_f32_e32 v59, v33, v29
	v_mul_f32_e32 v29, v32, v29
	;; [unrolled: 1-line block ×3, first 2 shown]
	v_fma_f32 v2, v24, v28, -v2
	v_fmac_f32_e32 v56, v25, v28
	v_fma_f32 v24, v24, v30, -v57
	v_fmac_f32_e32 v58, v25, v30
	;; [unrolled: 2-line block ×3, first 2 shown]
	v_mul_f32_e32 v31, v32, v31
	v_fma_f32 v28, v32, v30, -v60
	v_add_f32_e32 v2, v22, v2
	v_add_f32_e32 v22, v23, v56
	;; [unrolled: 1-line block ×6, first 2 shown]
	s_waitcnt lgkmcnt(1)
	v_mul_f32_e32 v32, v27, v49
	ds_read2_b64 v[18:21], v14 offset0:64 offset1:80
	v_fmac_f32_e32 v31, v33, v30
	v_add_f32_e32 v16, v16, v28
	v_mul_f32_e32 v28, v26, v49
	v_fma_f32 v30, v26, v48, -v32
	v_mul_f32_e32 v32, v27, v51
	v_add_f32_e32 v17, v17, v31
	v_mul_f32_e32 v31, v26, v51
	v_fmac_f32_e32 v28, v27, v48
	v_add_f32_e32 v2, v2, v30
	v_fma_f32 v26, v26, v50, -v32
	v_mul_f32_e32 v30, v35, v49
	v_fmac_f32_e32 v31, v27, v50
	v_add_f32_e32 v28, v22, v28
	v_mul_f32_e32 v22, v34, v49
	v_add_f32_e32 v26, v23, v26
	v_fma_f32 v23, v34, v48, -v30
	v_mul_f32_e32 v27, v35, v51
	v_add_f32_e32 v30, v24, v31
	v_fmac_f32_e32 v22, v35, v48
	v_mul_f32_e32 v31, v34, v51
	v_add_f32_e32 v32, v25, v23
	v_fma_f32 v23, v34, v50, -v27
	s_waitcnt lgkmcnt(0)
	v_mul_f32_e32 v24, v37, v19
	v_add_f32_e32 v27, v29, v22
	v_fmac_f32_e32 v31, v35, v50
	v_mul_f32_e32 v29, v36, v19
	v_add_f32_e32 v16, v16, v23
	v_fma_f32 v33, v36, v18, -v24
	v_mul_f32_e32 v34, v37, v21
	ds_read2_b64 v[22:25], v14 offset0:96 offset1:112
	v_fmac_f32_e32 v29, v37, v18
	v_add_f32_e32 v31, v17, v31
	v_add_f32_e32 v2, v2, v33
	v_mul_f32_e32 v17, v36, v21
	v_fma_f32 v33, v36, v20, -v34
	v_add_f32_e32 v28, v28, v29
	v_mul_f32_e32 v29, v53, v19
	v_mul_f32_e32 v19, v52, v19
	v_fmac_f32_e32 v17, v37, v20
	v_add_f32_e32 v26, v26, v33
	v_mul_f32_e32 v33, v53, v21
	v_mul_f32_e32 v21, v52, v21
	v_fmac_f32_e32 v19, v53, v18
	v_add_f32_e32 v30, v30, v17
	v_fma_f32 v29, v52, v18, -v29
	v_fma_f32 v17, v52, v20, -v33
	v_fmac_f32_e32 v21, v53, v20
	v_add_f32_e32 v33, v27, v19
	s_waitcnt lgkmcnt(0)
	v_mul_f32_e32 v20, v39, v23
	v_add_f32_e32 v34, v16, v17
	ds_read2_b64 v[16:19], v14 offset0:128 offset1:144
	v_add_f32_e32 v32, v32, v29
	v_mul_f32_e32 v27, v38, v23
	v_mul_f32_e32 v29, v39, v25
	v_fma_f32 v20, v38, v22, -v20
	v_add_f32_e32 v31, v31, v21
	v_mul_f32_e32 v21, v38, v25
	v_fmac_f32_e32 v27, v39, v22
	v_fma_f32 v29, v38, v24, -v29
	v_add_f32_e32 v2, v2, v20
	v_mul_f32_e32 v20, v55, v23
	v_fmac_f32_e32 v21, v39, v24
	v_add_f32_e32 v35, v28, v27
	v_add_f32_e32 v36, v26, v29
	v_mul_f32_e32 v23, v54, v23
	v_fma_f32 v20, v54, v22, -v20
	v_mul_f32_e32 v37, v55, v25
	ds_read_b128 v[26:29], v15 offset:1056
	v_add_f32_e32 v38, v30, v21
	v_fmac_f32_e32 v23, v55, v22
	v_mul_f32_e32 v25, v54, v25
	v_fma_f32 v21, v54, v24, -v37
	v_add_f32_e32 v37, v32, v20
	s_waitcnt lgkmcnt(1)
	v_mul_f32_e32 v20, v41, v17
	v_add_f32_e32 v39, v33, v23
	v_fmac_f32_e32 v25, v55, v24
	v_add_f32_e32 v24, v34, v21
	v_mul_f32_e32 v32, v41, v19
	v_fma_f32 v30, v40, v16, -v20
	ds_read2_b64 v[20:23], v14 offset0:160 offset1:176
	v_mul_f32_e32 v34, v40, v17
	v_add_f32_e32 v25, v31, v25
	v_fma_f32 v48, v40, v18, -v32
	v_mul_f32_e32 v40, v40, v19
	v_add_f32_e32 v2, v2, v30
	v_fmac_f32_e32 v34, v41, v16
	ds_read_b128 v[30:33], v15 offset:1072
	s_waitcnt lgkmcnt(2)
	v_mul_f32_e32 v49, v27, v17
	v_mul_f32_e32 v17, v26, v17
	v_fmac_f32_e32 v40, v41, v18
	v_mul_f32_e32 v41, v27, v19
	v_add_f32_e32 v34, v35, v34
	v_add_f32_e32 v35, v36, v48
	v_fma_f32 v36, v26, v16, -v49
	v_fmac_f32_e32 v17, v27, v16
	v_add_f32_e32 v38, v38, v40
	v_mul_f32_e32 v40, v26, v19
	v_fma_f32 v16, v26, v18, -v41
	v_add_f32_e32 v36, v37, v36
	v_add_f32_e32 v26, v39, v17
	s_waitcnt lgkmcnt(1)
	v_mul_f32_e32 v37, v43, v21
	v_fmac_f32_e32 v40, v27, v18
	v_add_f32_e32 v24, v24, v16
	ds_read2_b64 v[16:19], v14 offset0:192 offset1:208
	v_mul_f32_e32 v27, v42, v21
	v_fma_f32 v37, v42, v20, -v37
	v_mul_f32_e32 v39, v43, v23
	v_add_f32_e32 v40, v25, v40
	v_mul_f32_e32 v25, v42, v23
	v_fmac_f32_e32 v27, v43, v20
	v_add_f32_e32 v2, v2, v37
	v_fma_f32 v37, v42, v22, -v39
	v_fmac_f32_e32 v25, v43, v22
	v_add_f32_e32 v34, v34, v27
	v_mul_f32_e32 v27, v29, v21
	v_mul_f32_e32 v21, v28, v21
	v_add_f32_e32 v35, v35, v37
	v_mul_f32_e32 v37, v29, v23
	v_add_f32_e32 v38, v38, v25
	v_fma_f32 v27, v28, v20, -v27
	v_fmac_f32_e32 v21, v29, v20
	v_mul_f32_e32 v20, v28, v23
	v_fma_f32 v23, v28, v22, -v37
	s_waitcnt lgkmcnt(0)
	v_mul_f32_e32 v25, v45, v17
	v_add_f32_e32 v28, v36, v27
	v_add_f32_e32 v21, v26, v21
	v_fmac_f32_e32 v20, v29, v22
	v_add_f32_e32 v22, v24, v23
	v_fma_f32 v29, v44, v16, -v25
	ds_read2_b64 v[24:27], v14 offset0:224 offset1:240
	v_mul_f32_e32 v23, v44, v17
	v_mul_f32_e32 v37, v31, v17
	;; [unrolled: 1-line block ×4, first 2 shown]
	v_add_f32_e32 v2, v2, v29
	v_fmac_f32_e32 v23, v45, v16
	v_mul_f32_e32 v29, v44, v19
	v_fmac_f32_e32 v17, v31, v16
	v_fma_f32 v36, v44, v18, -v36
	v_add_f32_e32 v20, v40, v20
	v_add_f32_e32 v23, v34, v23
	v_fma_f32 v34, v30, v16, -v37
	v_mul_f32_e32 v16, v31, v19
	v_mul_f32_e32 v19, v30, v19
	v_fmac_f32_e32 v29, v45, v18
	v_add_f32_e32 v17, v21, v17
	v_add_f32_e32 v35, v35, v36
	v_fma_f32 v16, v30, v18, -v16
	v_fmac_f32_e32 v19, v31, v18
	s_waitcnt lgkmcnt(0)
	v_mul_f32_e32 v21, v47, v25
	v_mul_f32_e32 v18, v47, v27
	v_add_f32_e32 v28, v28, v34
	v_mul_f32_e32 v30, v46, v25
	v_add_f32_e32 v16, v22, v16
	v_fma_f32 v21, v46, v24, -v21
	v_fma_f32 v18, v46, v26, -v18
	v_mul_f32_e32 v31, v46, v27
	v_add_f32_e32 v34, v20, v19
	v_mul_f32_e32 v19, v32, v25
	v_add_f32_e32 v22, v2, v21
	v_add_f32_e32 v20, v35, v18
	v_mul_f32_e32 v2, v33, v25
	v_mul_f32_e32 v18, v33, v27
	;; [unrolled: 1-line block ×3, first 2 shown]
	v_add_f32_e32 v29, v38, v29
	v_fmac_f32_e32 v30, v47, v24
	v_fmac_f32_e32 v31, v47, v26
	v_fma_f32 v2, v32, v24, -v2
	v_fmac_f32_e32 v19, v33, v24
	v_fma_f32 v24, v32, v26, -v18
	v_fmac_f32_e32 v25, v33, v26
	v_add_f32_e32 v23, v23, v30
	v_add_f32_e32 v21, v29, v31
	;; [unrolled: 1-line block ×6, first 2 shown]
	s_barrier
	buffer_gl0_inv
	s_cbranch_vccz .LBB242_18
.LBB242_8:                              ; =>This Inner Loop Header: Depth=1
	s_mov_b32 s13, 0
	s_mov_b32 s15, s12
	s_and_saveexec_b32 s14, s0
	s_cbranch_execnz .LBB242_16
; %bb.9:                                ;   in Loop: Header=BB242_8 Depth=1
	s_or_b32 exec_lo, exec_lo, s14
	s_and_saveexec_b32 s14, s15
	s_xor_b32 s14, exec_lo, s14
	s_cbranch_execnz .LBB242_17
.LBB242_10:                             ;   in Loop: Header=BB242_8 Depth=1
	s_or_b32 exec_lo, exec_lo, s14
	v_mov_b32_e32 v24, 0
	s_and_saveexec_b32 s14, s13
	s_cbranch_execz .LBB242_12
.LBB242_11:                             ;   in Loop: Header=BB242_8 Depth=1
	v_lshlrev_b64 v[24:25], 3, v[4:5]
	v_add_co_u32 v24, vcc_lo, v12, v24
	v_add_co_ci_u32_e64 v25, null, v13, v25, vcc_lo
	global_load_dwordx2 v[25:26], v[24:25], off
	s_waitcnt vmcnt(0)
	v_xor_b32_e32 v24, 0x80000000, v26
	ds_write_b32 v8, v25
.LBB242_12:                             ;   in Loop: Header=BB242_8 Depth=1
	s_or_b32 exec_lo, exec_lo, s14
	v_add_nc_u32_e32 v2, s6, v6
	ds_write_b32 v8, v24 offset:4
	v_cmp_le_u64_e32 vcc_lo, s[20:21], v[2:3]
	s_or_b32 s13, vcc_lo, s1
	s_and_saveexec_b32 s14, s13
	s_xor_b32 s13, exec_lo, s14
; %bb.13:                               ;   in Loop: Header=BB242_8 Depth=1
	ds_write_b32 v9, v3
; %bb.14:                               ;   in Loop: Header=BB242_8 Depth=1
	s_or_saveexec_b32 s13, s13
	v_mov_b32_e32 v24, 0
	s_xor_b32 exec_lo, exec_lo, s13
	s_cbranch_execz .LBB242_7
; %bb.15:                               ;   in Loop: Header=BB242_8 Depth=1
	v_mad_u64_u32 v[24:25], null, s24, v2, 0
	v_mad_u64_u32 v[25:26], null, s25, v2, v[25:26]
	v_lshlrev_b64 v[24:25], 3, v[24:25]
	v_add_co_u32 v24, vcc_lo, v10, v24
	v_add_co_ci_u32_e64 v25, null, v11, v25, vcc_lo
	global_load_dwordx2 v[25:26], v[24:25], off
	s_waitcnt vmcnt(0)
	v_xor_b32_e32 v24, 0x80000000, v26
	ds_write_b32 v9, v25
	s_branch .LBB242_7
.LBB242_16:                             ;   in Loop: Header=BB242_8 Depth=1
	v_add_nc_u32_e32 v2, s6, v7
	v_mov_b32_e32 v5, v3
	s_andn2_b32 s15, s12, exec_lo
	s_mov_b32 s13, exec_lo
	v_cmp_le_u64_e32 vcc_lo, s[20:21], v[2:3]
	v_mov_b32_e32 v4, v2
	s_and_b32 s16, vcc_lo, exec_lo
	s_or_b32 s15, s15, s16
	s_or_b32 exec_lo, exec_lo, s14
	s_and_saveexec_b32 s14, s15
	s_xor_b32 s14, exec_lo, s14
	s_cbranch_execz .LBB242_10
.LBB242_17:                             ;   in Loop: Header=BB242_8 Depth=1
	s_andn2_b32 s13, s13, exec_lo
	ds_write_b32 v8, v3
	s_or_b32 exec_lo, exec_lo, s14
	v_mov_b32_e32 v24, 0
	s_and_saveexec_b32 s14, s13
	s_cbranch_execnz .LBB242_11
	s_branch .LBB242_12
.LBB242_18:
	s_clause 0x1
	s_load_dwordx4 s[12:15], s[4:5], 0x50
	s_load_dwordx2 s[4:5], s[4:5], 0x60
	v_add_nc_u32_e32 v9, s28, v1
	v_add_nc_u32_e32 v0, s11, v0
	v_cmp_neq_f32_e64 s6, s2, 0
	v_ashrrev_i32_e32 v1, 31, v9
	s_waitcnt lgkmcnt(0)
	v_cmp_gt_i32_e64 s0, s9, v9
	v_cmp_le_i32_e32 vcc_lo, v0, v9
	v_mul_lo_u32 v3, s14, v1
	v_mul_lo_u32 v4, s15, v9
	v_mad_u64_u32 v[1:2], null, s14, v9, 0
	s_mul_i32 s1, s5, s8
	s_mul_hi_u32 s5, s4, s8
	s_mul_i32 s4, s4, s8
	s_add_i32 s5, s5, s1
	s_lshl_b64 s[4:5], s[4:5], 3
	v_add3_u32 v2, v2, v3, v4
	s_add_u32 s4, s12, s4
	s_addc_u32 s5, s13, s5
	s_xor_b32 s7, s10, -1
	v_lshlrev_b64 v[2:3], 3, v[1:2]
	s_or_b32 s6, s6, s7
	v_ashrrev_i32_e32 v1, 31, v0
	v_cndmask_b32_e64 v8, 0, 1, s6
	s_and_b32 s7, s0, vcc_lo
	v_add_co_u32 v6, s1, s4, v2
	v_add_co_ci_u32_e64 v7, null, s5, v3, s1
	s_and_saveexec_b32 s1, s7
	s_cbranch_execz .LBB242_22
; %bb.19:
	v_lshlrev_b64 v[4:5], 3, v[0:1]
	v_mul_f32_e32 v2, s23, v23
	v_mul_f32_e32 v3, s22, v23
	v_fma_f32 v2, v22, s22, -v2
	v_add_co_u32 v4, vcc_lo, v6, v4
	v_fmac_f32_e32 v3, s23, v22
	v_add_co_ci_u32_e64 v5, null, v7, v5, vcc_lo
	s_andn2_b32 vcc_lo, exec_lo, s6
	s_cbranch_vccnz .LBB242_21
; %bb.20:
	global_load_dwordx2 v[10:11], v[4:5], off
	s_waitcnt vmcnt(0)
	v_mul_f32_e32 v12, s3, v11
	v_mul_f32_e32 v11, s2, v11
	v_fma_f32 v12, v10, s2, -v12
	v_fmac_f32_e32 v11, s3, v10
	v_add_f32_e32 v2, v2, v12
	v_add_f32_e32 v3, v3, v11
.LBB242_21:
	global_store_dwordx2 v[4:5], v[2:3], off
.LBB242_22:
	s_or_b32 exec_lo, exec_lo, s1
	v_add_nc_u32_e32 v2, 16, v0
	v_cmp_le_i32_e32 vcc_lo, v2, v9
	v_ashrrev_i32_e32 v3, 31, v2
	s_and_b32 s0, s0, vcc_lo
	s_and_saveexec_b32 s1, s0
	s_cbranch_execz .LBB242_26
; %bb.23:
	v_lshlrev_b64 v[10:11], 3, v[2:3]
	v_mul_f32_e32 v4, s23, v21
	v_mul_f32_e32 v5, s22, v21
	v_cmp_ne_u32_e32 vcc_lo, 1, v8
	v_fma_f32 v4, v20, s22, -v4
	v_add_co_u32 v6, s0, v6, v10
	v_fmac_f32_e32 v5, s23, v20
	v_add_co_ci_u32_e64 v7, null, v7, v11, s0
	s_cbranch_vccnz .LBB242_25
; %bb.24:
	global_load_dwordx2 v[10:11], v[6:7], off
	s_waitcnt vmcnt(0)
	v_mul_f32_e32 v12, s3, v11
	v_mul_f32_e32 v11, s2, v11
	v_fma_f32 v12, v10, s2, -v12
	v_fmac_f32_e32 v11, s3, v10
	v_add_f32_e32 v4, v4, v12
	v_add_f32_e32 v5, v5, v11
.LBB242_25:
	global_store_dwordx2 v[6:7], v[4:5], off
.LBB242_26:
	s_or_b32 exec_lo, exec_lo, s1
	v_add_nc_u32_e32 v9, 16, v9
	v_ashrrev_i32_e32 v6, 31, v9
	v_mul_lo_u32 v7, s15, v9
	v_mad_u64_u32 v[4:5], null, s14, v9, 0
	v_cmp_gt_i32_e64 s0, s9, v9
	v_mul_lo_u32 v6, s14, v6
	v_cmp_le_i32_e32 vcc_lo, v0, v9
	v_add3_u32 v5, v5, v6, v7
	v_lshlrev_b64 v[4:5], 3, v[4:5]
	v_add_co_u32 v6, s1, s4, v4
	v_add_co_ci_u32_e64 v7, null, s5, v5, s1
	s_and_b32 s1, s0, vcc_lo
	s_and_saveexec_b32 s4, s1
	s_cbranch_execz .LBB242_30
; %bb.27:
	v_lshlrev_b64 v[0:1], 3, v[0:1]
	v_mul_f32_e32 v4, s23, v19
	v_mul_f32_e32 v5, s22, v19
	v_cmp_ne_u32_e32 vcc_lo, 1, v8
	v_fma_f32 v4, v18, s22, -v4
	v_add_co_u32 v0, s1, v6, v0
	v_fmac_f32_e32 v5, s23, v18
	v_add_co_ci_u32_e64 v1, null, v7, v1, s1
	s_cbranch_vccnz .LBB242_29
; %bb.28:
	global_load_dwordx2 v[10:11], v[0:1], off
	s_waitcnt vmcnt(0)
	v_mul_f32_e32 v12, s3, v11
	v_mul_f32_e32 v11, s2, v11
	v_fma_f32 v12, v10, s2, -v12
	v_fmac_f32_e32 v11, s3, v10
	v_add_f32_e32 v4, v4, v12
	v_add_f32_e32 v5, v5, v11
.LBB242_29:
	global_store_dwordx2 v[0:1], v[4:5], off
.LBB242_30:
	s_or_b32 exec_lo, exec_lo, s4
	v_cmp_le_i32_e32 vcc_lo, v2, v9
	s_and_b32 s0, s0, vcc_lo
	s_and_saveexec_b32 s1, s0
	s_cbranch_execz .LBB242_34
; %bb.31:
	v_lshlrev_b64 v[2:3], 3, v[2:3]
	v_mul_f32_e32 v0, s23, v17
	v_mul_f32_e32 v1, s22, v17
	v_cmp_ne_u32_e32 vcc_lo, 1, v8
	v_fma_f32 v0, v16, s22, -v0
	v_add_co_u32 v2, s0, v6, v2
	v_fmac_f32_e32 v1, s23, v16
	v_add_co_ci_u32_e64 v3, null, v7, v3, s0
	s_cbranch_vccnz .LBB242_33
; %bb.32:
	global_load_dwordx2 v[4:5], v[2:3], off
	s_waitcnt vmcnt(0)
	v_mul_f32_e32 v6, s3, v5
	v_mul_f32_e32 v5, s2, v5
	v_fma_f32 v6, v4, s2, -v6
	v_fmac_f32_e32 v5, s3, v4
	v_add_f32_e32 v0, v0, v6
	v_add_f32_e32 v1, v1, v5
.LBB242_33:
	global_store_dwordx2 v[2:3], v[0:1], off
.LBB242_34:
	s_endpgm
	.section	.rodata,"a",@progbits
	.p2align	6, 0x0
	.amdhsa_kernel _ZL29rocblas_internal_gemmt_kernelIlLi16ELi32ELi8ELc67ELc67ELc85ELb1ELb1E19rocblas_complex_numIfES1_PKS1_PS1_EviT_T9_T10_S5_lS7_S5_lS6_T11_S5_li
		.amdhsa_group_segment_fixed_size 4096
		.amdhsa_private_segment_fixed_size 0
		.amdhsa_kernarg_size 108
		.amdhsa_user_sgpr_count 6
		.amdhsa_user_sgpr_private_segment_buffer 1
		.amdhsa_user_sgpr_dispatch_ptr 0
		.amdhsa_user_sgpr_queue_ptr 0
		.amdhsa_user_sgpr_kernarg_segment_ptr 1
		.amdhsa_user_sgpr_dispatch_id 0
		.amdhsa_user_sgpr_flat_scratch_init 0
		.amdhsa_user_sgpr_private_segment_size 0
		.amdhsa_wavefront_size32 1
		.amdhsa_uses_dynamic_stack 0
		.amdhsa_system_sgpr_private_segment_wavefront_offset 0
		.amdhsa_system_sgpr_workgroup_id_x 1
		.amdhsa_system_sgpr_workgroup_id_y 1
		.amdhsa_system_sgpr_workgroup_id_z 1
		.amdhsa_system_sgpr_workgroup_info 0
		.amdhsa_system_vgpr_workitem_id 1
		.amdhsa_next_free_vgpr 61
		.amdhsa_next_free_sgpr 29
		.amdhsa_reserve_vcc 1
		.amdhsa_reserve_flat_scratch 0
		.amdhsa_float_round_mode_32 0
		.amdhsa_float_round_mode_16_64 0
		.amdhsa_float_denorm_mode_32 3
		.amdhsa_float_denorm_mode_16_64 3
		.amdhsa_dx10_clamp 1
		.amdhsa_ieee_mode 1
		.amdhsa_fp16_overflow 0
		.amdhsa_workgroup_processor_mode 1
		.amdhsa_memory_ordered 1
		.amdhsa_forward_progress 1
		.amdhsa_shared_vgpr_count 0
		.amdhsa_exception_fp_ieee_invalid_op 0
		.amdhsa_exception_fp_denorm_src 0
		.amdhsa_exception_fp_ieee_div_zero 0
		.amdhsa_exception_fp_ieee_overflow 0
		.amdhsa_exception_fp_ieee_underflow 0
		.amdhsa_exception_fp_ieee_inexact 0
		.amdhsa_exception_int_div_zero 0
	.end_amdhsa_kernel
	.section	.text._ZL29rocblas_internal_gemmt_kernelIlLi16ELi32ELi8ELc67ELc67ELc85ELb1ELb1E19rocblas_complex_numIfES1_PKS1_PS1_EviT_T9_T10_S5_lS7_S5_lS6_T11_S5_li,"axG",@progbits,_ZL29rocblas_internal_gemmt_kernelIlLi16ELi32ELi8ELc67ELc67ELc85ELb1ELb1E19rocblas_complex_numIfES1_PKS1_PS1_EviT_T9_T10_S5_lS7_S5_lS6_T11_S5_li,comdat
.Lfunc_end242:
	.size	_ZL29rocblas_internal_gemmt_kernelIlLi16ELi32ELi8ELc67ELc67ELc85ELb1ELb1E19rocblas_complex_numIfES1_PKS1_PS1_EviT_T9_T10_S5_lS7_S5_lS6_T11_S5_li, .Lfunc_end242-_ZL29rocblas_internal_gemmt_kernelIlLi16ELi32ELi8ELc67ELc67ELc85ELb1ELb1E19rocblas_complex_numIfES1_PKS1_PS1_EviT_T9_T10_S5_lS7_S5_lS6_T11_S5_li
                                        ; -- End function
	.set _ZL29rocblas_internal_gemmt_kernelIlLi16ELi32ELi8ELc67ELc67ELc85ELb1ELb1E19rocblas_complex_numIfES1_PKS1_PS1_EviT_T9_T10_S5_lS7_S5_lS6_T11_S5_li.num_vgpr, 61
	.set _ZL29rocblas_internal_gemmt_kernelIlLi16ELi32ELi8ELc67ELc67ELc85ELb1ELb1E19rocblas_complex_numIfES1_PKS1_PS1_EviT_T9_T10_S5_lS7_S5_lS6_T11_S5_li.num_agpr, 0
	.set _ZL29rocblas_internal_gemmt_kernelIlLi16ELi32ELi8ELc67ELc67ELc85ELb1ELb1E19rocblas_complex_numIfES1_PKS1_PS1_EviT_T9_T10_S5_lS7_S5_lS6_T11_S5_li.numbered_sgpr, 29
	.set _ZL29rocblas_internal_gemmt_kernelIlLi16ELi32ELi8ELc67ELc67ELc85ELb1ELb1E19rocblas_complex_numIfES1_PKS1_PS1_EviT_T9_T10_S5_lS7_S5_lS6_T11_S5_li.num_named_barrier, 0
	.set _ZL29rocblas_internal_gemmt_kernelIlLi16ELi32ELi8ELc67ELc67ELc85ELb1ELb1E19rocblas_complex_numIfES1_PKS1_PS1_EviT_T9_T10_S5_lS7_S5_lS6_T11_S5_li.private_seg_size, 0
	.set _ZL29rocblas_internal_gemmt_kernelIlLi16ELi32ELi8ELc67ELc67ELc85ELb1ELb1E19rocblas_complex_numIfES1_PKS1_PS1_EviT_T9_T10_S5_lS7_S5_lS6_T11_S5_li.uses_vcc, 1
	.set _ZL29rocblas_internal_gemmt_kernelIlLi16ELi32ELi8ELc67ELc67ELc85ELb1ELb1E19rocblas_complex_numIfES1_PKS1_PS1_EviT_T9_T10_S5_lS7_S5_lS6_T11_S5_li.uses_flat_scratch, 0
	.set _ZL29rocblas_internal_gemmt_kernelIlLi16ELi32ELi8ELc67ELc67ELc85ELb1ELb1E19rocblas_complex_numIfES1_PKS1_PS1_EviT_T9_T10_S5_lS7_S5_lS6_T11_S5_li.has_dyn_sized_stack, 0
	.set _ZL29rocblas_internal_gemmt_kernelIlLi16ELi32ELi8ELc67ELc67ELc85ELb1ELb1E19rocblas_complex_numIfES1_PKS1_PS1_EviT_T9_T10_S5_lS7_S5_lS6_T11_S5_li.has_recursion, 0
	.set _ZL29rocblas_internal_gemmt_kernelIlLi16ELi32ELi8ELc67ELc67ELc85ELb1ELb1E19rocblas_complex_numIfES1_PKS1_PS1_EviT_T9_T10_S5_lS7_S5_lS6_T11_S5_li.has_indirect_call, 0
	.section	.AMDGPU.csdata,"",@progbits
; Kernel info:
; codeLenInByte = 2660
; TotalNumSgprs: 31
; NumVgprs: 61
; ScratchSize: 0
; MemoryBound: 0
; FloatMode: 240
; IeeeMode: 1
; LDSByteSize: 4096 bytes/workgroup (compile time only)
; SGPRBlocks: 0
; VGPRBlocks: 7
; NumSGPRsForWavesPerEU: 31
; NumVGPRsForWavesPerEU: 61
; Occupancy: 16
; WaveLimiterHint : 0
; COMPUTE_PGM_RSRC2:SCRATCH_EN: 0
; COMPUTE_PGM_RSRC2:USER_SGPR: 6
; COMPUTE_PGM_RSRC2:TRAP_HANDLER: 0
; COMPUTE_PGM_RSRC2:TGID_X_EN: 1
; COMPUTE_PGM_RSRC2:TGID_Y_EN: 1
; COMPUTE_PGM_RSRC2:TGID_Z_EN: 1
; COMPUTE_PGM_RSRC2:TIDIG_COMP_CNT: 1
	.section	.text._ZL29rocblas_internal_gemmt_kernelIlLi16ELi32ELi8ELc78ELc78ELc76ELb0ELb0E19rocblas_complex_numIfES1_PKS1_PS1_EviT_T9_T10_S5_lS7_S5_lS6_T11_S5_li,"axG",@progbits,_ZL29rocblas_internal_gemmt_kernelIlLi16ELi32ELi8ELc78ELc78ELc76ELb0ELb0E19rocblas_complex_numIfES1_PKS1_PS1_EviT_T9_T10_S5_lS7_S5_lS6_T11_S5_li,comdat
	.globl	_ZL29rocblas_internal_gemmt_kernelIlLi16ELi32ELi8ELc78ELc78ELc76ELb0ELb0E19rocblas_complex_numIfES1_PKS1_PS1_EviT_T9_T10_S5_lS7_S5_lS6_T11_S5_li ; -- Begin function _ZL29rocblas_internal_gemmt_kernelIlLi16ELi32ELi8ELc78ELc78ELc76ELb0ELb0E19rocblas_complex_numIfES1_PKS1_PS1_EviT_T9_T10_S5_lS7_S5_lS6_T11_S5_li
	.p2align	8
	.type	_ZL29rocblas_internal_gemmt_kernelIlLi16ELi32ELi8ELc78ELc78ELc76ELb0ELb0E19rocblas_complex_numIfES1_PKS1_PS1_EviT_T9_T10_S5_lS7_S5_lS6_T11_S5_li,@function
_ZL29rocblas_internal_gemmt_kernelIlLi16ELi32ELi8ELc78ELc78ELc76ELb0ELb0E19rocblas_complex_numIfES1_PKS1_PS1_EviT_T9_T10_S5_lS7_S5_lS6_T11_S5_li: ; @_ZL29rocblas_internal_gemmt_kernelIlLi16ELi32ELi8ELc78ELc78ELc76ELb0ELb0E19rocblas_complex_numIfES1_PKS1_PS1_EviT_T9_T10_S5_lS7_S5_lS6_T11_S5_li
; %bb.0:
	s_clause 0x1
	s_load_dwordx2 s[10:11], s[4:5], 0x48
	s_load_dwordx4 s[20:23], s[4:5], 0x8
	s_waitcnt lgkmcnt(0)
	s_and_b32 s0, s11, 0x7fffffff
	v_cmp_eq_f32_e64 s1, s10, 1.0
	s_cmp_eq_u32 s0, 0
	s_mov_b32 s0, 0
	s_cselect_b32 s28, -1, 0
	s_and_b32 s1, s1, s28
	s_andn2_b32 vcc_lo, exec_lo, s1
	s_mov_b32 s1, -1
	s_cbranch_vccnz .LBB243_4
; %bb.1:
	s_cmp_lg_u64 s[20:21], 0
	s_cbranch_scc0 .LBB243_3
; %bb.2:
	v_cmp_neq_f32_e64 s0, s22, 0
	v_cmp_neq_f32_e64 s1, s23, 0
	s_or_b32 s0, s0, s1
.LBB243_3:
	s_mov_b32 s1, s0
.LBB243_4:
	s_and_b32 vcc_lo, exec_lo, s1
	s_cbranch_vccz .LBB243_34
; %bb.5:
	s_load_dword s9, s[4:5], 0x0
	v_cmp_eq_f32_e64 s0, s22, 0
	v_cmp_eq_f32_e64 s1, s23, 0
	v_cmp_lt_i64_e64 s2, s[20:21], 1
	v_mov_b32_e32 v22, 0
	v_mov_b32_e32 v23, 0
	;; [unrolled: 1-line block ×3, first 2 shown]
	s_and_b32 s0, s0, s1
	v_mov_b32_e32 v21, 0
	v_mov_b32_e32 v18, 0
	;; [unrolled: 1-line block ×5, first 2 shown]
	s_or_b32 s0, s0, s2
	s_lshl_b32 s6, s6, 5
	s_and_b32 vcc_lo, exec_lo, s0
	s_lshl_b32 s7, s7, 5
	s_cbranch_vccnz .LBB243_18
; %bb.6:
	s_load_dwordx4 s[24:27], s[4:5], 0x38
	v_lshl_add_u32 v3, v1, 4, v0
	s_load_dwordx8 s[12:19], s[4:5], 0x18
	v_and_b32_e32 v6, 7, v0
	v_lshlrev_b32_e32 v14, 3, v0
	v_lshl_add_u32 v15, v1, 6, 0x800
	v_lshrrev_b32_e32 v11, 3, v3
	v_and_b32_e32 v4, 31, v3
	v_lshrrev_b32_e32 v7, 5, v3
	v_lshlrev_b32_e32 v13, 3, v6
	v_mov_b32_e32 v17, 0
	v_add_nc_u32_e32 v12, s7, v11
	v_or_b32_e32 v2, s6, v4
	v_lshlrev_b32_e32 v8, 3, v4
	v_lshl_or_b32 v11, v11, 6, v13
	v_mov_b32_e32 v16, 0
	v_ashrrev_i32_e32 v3, 31, v12
	s_waitcnt lgkmcnt(0)
	v_cmp_gt_i32_e64 s0, s9, v2
	v_lshl_or_b32 v8, v7, 8, v8
	v_add_nc_u32_e32 v11, 0x800, v11
	v_mul_lo_u32 v10, s25, v12
	v_mul_lo_u32 v9, s24, v3
	v_mad_u64_u32 v[4:5], null, s24, v12, 0
	s_mul_i32 s1, s27, s8
	s_mul_hi_u32 s3, s26, s8
	s_mul_i32 s2, s26, s8
	s_add_i32 s3, s3, s1
	v_ashrrev_i32_e32 v3, 31, v2
	s_lshl_b64 s[2:3], s[2:3], 3
	s_mul_i32 s17, s17, s8
	s_mul_hi_u32 s26, s16, s8
	s_add_u32 s1, s18, s2
	v_add3_u32 v5, v5, v9, v10
	s_mul_i32 s16, s16, s8
	s_addc_u32 s18, s19, s3
	s_add_i32 s17, s26, s17
	v_lshlrev_b64 v[9:10], 3, v[2:3]
	s_lshl_b64 s[2:3], s[16:17], 3
	v_mov_b32_e32 v19, 0
	s_add_u32 s2, s12, s2
	v_cmp_le_i32_e64 s12, s9, v2
	v_lshlrev_b64 v[2:3], 3, v[4:5]
	s_addc_u32 s3, s13, s3
	v_add_co_u32 v9, vcc_lo, s2, v9
	v_add_co_ci_u32_e64 v10, null, s3, v10, vcc_lo
	v_cmp_gt_i32_e32 vcc_lo, s9, v12
	v_add_co_u32 v12, s1, s1, v2
	v_add_co_ci_u32_e64 v13, null, s18, v3, s1
	v_mov_b32_e32 v3, 0
	v_mov_b32_e32 v18, 0
	;; [unrolled: 1-line block ×6, first 2 shown]
	s_mov_b64 s[2:3], 0
	s_xor_b32 s1, vcc_lo, -1
                                        ; implicit-def: $vgpr4_vgpr5
	s_branch .LBB243_8
.LBB243_7:                              ;   in Loop: Header=BB243_8 Depth=1
	s_or_b32 exec_lo, exec_lo, s13
	s_waitcnt lgkmcnt(0)
	s_barrier
	buffer_gl0_inv
	ds_read_b128 v[24:27], v15
	ds_read2_b64 v[28:31], v14 offset1:16
	ds_read_b128 v[32:35], v15 offset:1024
	ds_read_b128 v[36:39], v15 offset:16
	;; [unrolled: 1-line block ×4, first 2 shown]
	ds_read2_b64 v[48:51], v14 offset0:32 offset1:48
	ds_read_b128 v[52:55], v15 offset:1040
	s_add_u32 s2, s2, 8
	s_addc_u32 s3, s3, 0
	v_cmp_gt_i64_e64 s13, s[20:21], s[2:3]
	s_and_b32 vcc_lo, exec_lo, s13
	s_waitcnt lgkmcnt(6)
	v_mul_f32_e32 v2, v25, v29
	v_mul_f32_e32 v56, v24, v29
	v_mul_f32_e32 v57, v25, v31
	v_mul_f32_e32 v58, v24, v31
	s_waitcnt lgkmcnt(5)
	v_mul_f32_e32 v59, v33, v29
	v_mul_f32_e32 v29, v32, v29
	;; [unrolled: 1-line block ×3, first 2 shown]
	v_fma_f32 v2, v24, v28, -v2
	v_fmac_f32_e32 v56, v25, v28
	v_fma_f32 v24, v24, v30, -v57
	v_fmac_f32_e32 v58, v25, v30
	;; [unrolled: 2-line block ×3, first 2 shown]
	v_mul_f32_e32 v31, v32, v31
	v_fma_f32 v28, v32, v30, -v60
	v_add_f32_e32 v2, v22, v2
	v_add_f32_e32 v22, v23, v56
	v_add_f32_e32 v23, v20, v24
	v_add_f32_e32 v24, v21, v58
	v_add_f32_e32 v25, v18, v25
	v_add_f32_e32 v29, v19, v29
	s_waitcnt lgkmcnt(1)
	v_mul_f32_e32 v32, v27, v49
	ds_read2_b64 v[18:21], v14 offset0:64 offset1:80
	v_fmac_f32_e32 v31, v33, v30
	v_add_f32_e32 v16, v16, v28
	v_mul_f32_e32 v28, v26, v49
	v_fma_f32 v30, v26, v48, -v32
	v_mul_f32_e32 v32, v27, v51
	v_add_f32_e32 v17, v17, v31
	v_mul_f32_e32 v31, v26, v51
	v_fmac_f32_e32 v28, v27, v48
	v_add_f32_e32 v2, v2, v30
	v_fma_f32 v26, v26, v50, -v32
	v_mul_f32_e32 v30, v35, v49
	v_fmac_f32_e32 v31, v27, v50
	v_add_f32_e32 v28, v22, v28
	v_mul_f32_e32 v22, v34, v49
	v_add_f32_e32 v26, v23, v26
	v_fma_f32 v23, v34, v48, -v30
	v_mul_f32_e32 v27, v35, v51
	v_add_f32_e32 v30, v24, v31
	v_fmac_f32_e32 v22, v35, v48
	v_mul_f32_e32 v31, v34, v51
	v_add_f32_e32 v32, v25, v23
	v_fma_f32 v23, v34, v50, -v27
	s_waitcnt lgkmcnt(0)
	v_mul_f32_e32 v24, v37, v19
	v_add_f32_e32 v27, v29, v22
	v_fmac_f32_e32 v31, v35, v50
	v_mul_f32_e32 v29, v36, v19
	v_add_f32_e32 v16, v16, v23
	v_fma_f32 v33, v36, v18, -v24
	v_mul_f32_e32 v34, v37, v21
	ds_read2_b64 v[22:25], v14 offset0:96 offset1:112
	v_fmac_f32_e32 v29, v37, v18
	v_add_f32_e32 v31, v17, v31
	v_add_f32_e32 v2, v2, v33
	v_mul_f32_e32 v17, v36, v21
	v_fma_f32 v33, v36, v20, -v34
	v_add_f32_e32 v28, v28, v29
	v_mul_f32_e32 v29, v53, v19
	v_mul_f32_e32 v19, v52, v19
	v_fmac_f32_e32 v17, v37, v20
	v_add_f32_e32 v26, v26, v33
	v_mul_f32_e32 v33, v53, v21
	v_mul_f32_e32 v21, v52, v21
	v_fmac_f32_e32 v19, v53, v18
	v_add_f32_e32 v30, v30, v17
	v_fma_f32 v29, v52, v18, -v29
	v_fma_f32 v17, v52, v20, -v33
	v_fmac_f32_e32 v21, v53, v20
	v_add_f32_e32 v33, v27, v19
	s_waitcnt lgkmcnt(0)
	v_mul_f32_e32 v20, v39, v23
	v_add_f32_e32 v34, v16, v17
	ds_read2_b64 v[16:19], v14 offset0:128 offset1:144
	v_add_f32_e32 v32, v32, v29
	v_mul_f32_e32 v27, v38, v23
	v_mul_f32_e32 v29, v39, v25
	v_fma_f32 v20, v38, v22, -v20
	v_add_f32_e32 v31, v31, v21
	v_mul_f32_e32 v21, v38, v25
	v_fmac_f32_e32 v27, v39, v22
	v_fma_f32 v29, v38, v24, -v29
	v_add_f32_e32 v2, v2, v20
	v_mul_f32_e32 v20, v55, v23
	v_fmac_f32_e32 v21, v39, v24
	v_add_f32_e32 v35, v28, v27
	v_add_f32_e32 v36, v26, v29
	v_mul_f32_e32 v23, v54, v23
	v_fma_f32 v20, v54, v22, -v20
	v_mul_f32_e32 v37, v55, v25
	ds_read_b128 v[26:29], v15 offset:1056
	v_add_f32_e32 v38, v30, v21
	v_fmac_f32_e32 v23, v55, v22
	v_mul_f32_e32 v25, v54, v25
	v_fma_f32 v21, v54, v24, -v37
	v_add_f32_e32 v37, v32, v20
	s_waitcnt lgkmcnt(1)
	v_mul_f32_e32 v20, v41, v17
	v_add_f32_e32 v39, v33, v23
	v_fmac_f32_e32 v25, v55, v24
	v_add_f32_e32 v24, v34, v21
	v_mul_f32_e32 v32, v41, v19
	v_fma_f32 v30, v40, v16, -v20
	ds_read2_b64 v[20:23], v14 offset0:160 offset1:176
	v_mul_f32_e32 v34, v40, v17
	v_add_f32_e32 v25, v31, v25
	v_fma_f32 v48, v40, v18, -v32
	v_mul_f32_e32 v40, v40, v19
	v_add_f32_e32 v2, v2, v30
	v_fmac_f32_e32 v34, v41, v16
	ds_read_b128 v[30:33], v15 offset:1072
	s_waitcnt lgkmcnt(2)
	v_mul_f32_e32 v49, v27, v17
	v_mul_f32_e32 v17, v26, v17
	v_fmac_f32_e32 v40, v41, v18
	v_mul_f32_e32 v41, v27, v19
	v_add_f32_e32 v34, v35, v34
	v_add_f32_e32 v35, v36, v48
	v_fma_f32 v36, v26, v16, -v49
	v_fmac_f32_e32 v17, v27, v16
	v_add_f32_e32 v38, v38, v40
	v_mul_f32_e32 v40, v26, v19
	v_fma_f32 v16, v26, v18, -v41
	v_add_f32_e32 v36, v37, v36
	v_add_f32_e32 v26, v39, v17
	s_waitcnt lgkmcnt(1)
	v_mul_f32_e32 v37, v43, v21
	v_fmac_f32_e32 v40, v27, v18
	v_add_f32_e32 v24, v24, v16
	ds_read2_b64 v[16:19], v14 offset0:192 offset1:208
	v_mul_f32_e32 v27, v42, v21
	v_fma_f32 v37, v42, v20, -v37
	v_mul_f32_e32 v39, v43, v23
	v_add_f32_e32 v40, v25, v40
	v_mul_f32_e32 v25, v42, v23
	v_fmac_f32_e32 v27, v43, v20
	v_add_f32_e32 v2, v2, v37
	v_fma_f32 v37, v42, v22, -v39
	v_fmac_f32_e32 v25, v43, v22
	v_add_f32_e32 v34, v34, v27
	v_mul_f32_e32 v27, v29, v21
	v_mul_f32_e32 v21, v28, v21
	v_add_f32_e32 v35, v35, v37
	v_mul_f32_e32 v37, v29, v23
	v_add_f32_e32 v38, v38, v25
	v_fma_f32 v27, v28, v20, -v27
	v_fmac_f32_e32 v21, v29, v20
	v_mul_f32_e32 v20, v28, v23
	v_fma_f32 v23, v28, v22, -v37
	s_waitcnt lgkmcnt(0)
	v_mul_f32_e32 v25, v45, v17
	v_add_f32_e32 v28, v36, v27
	v_add_f32_e32 v21, v26, v21
	v_fmac_f32_e32 v20, v29, v22
	v_add_f32_e32 v22, v24, v23
	v_fma_f32 v29, v44, v16, -v25
	ds_read2_b64 v[24:27], v14 offset0:224 offset1:240
	v_mul_f32_e32 v23, v44, v17
	v_mul_f32_e32 v37, v31, v17
	v_mul_f32_e32 v17, v30, v17
	v_mul_f32_e32 v36, v45, v19
	v_add_f32_e32 v2, v2, v29
	v_fmac_f32_e32 v23, v45, v16
	v_mul_f32_e32 v29, v44, v19
	v_fmac_f32_e32 v17, v31, v16
	v_fma_f32 v36, v44, v18, -v36
	v_add_f32_e32 v20, v40, v20
	v_add_f32_e32 v23, v34, v23
	v_fma_f32 v34, v30, v16, -v37
	v_mul_f32_e32 v16, v31, v19
	v_mul_f32_e32 v19, v30, v19
	v_fmac_f32_e32 v29, v45, v18
	v_add_f32_e32 v17, v21, v17
	v_add_f32_e32 v35, v35, v36
	v_fma_f32 v16, v30, v18, -v16
	v_fmac_f32_e32 v19, v31, v18
	s_waitcnt lgkmcnt(0)
	v_mul_f32_e32 v21, v47, v25
	v_mul_f32_e32 v18, v47, v27
	v_add_f32_e32 v28, v28, v34
	v_mul_f32_e32 v30, v46, v25
	v_add_f32_e32 v16, v22, v16
	v_fma_f32 v21, v46, v24, -v21
	v_fma_f32 v18, v46, v26, -v18
	v_mul_f32_e32 v31, v46, v27
	v_add_f32_e32 v34, v20, v19
	v_mul_f32_e32 v19, v32, v25
	v_add_f32_e32 v22, v2, v21
	v_add_f32_e32 v20, v35, v18
	v_mul_f32_e32 v2, v33, v25
	v_mul_f32_e32 v18, v33, v27
	;; [unrolled: 1-line block ×3, first 2 shown]
	v_add_f32_e32 v29, v38, v29
	v_fmac_f32_e32 v30, v47, v24
	v_fmac_f32_e32 v31, v47, v26
	v_fma_f32 v2, v32, v24, -v2
	v_fmac_f32_e32 v19, v33, v24
	v_fma_f32 v24, v32, v26, -v18
	v_fmac_f32_e32 v25, v33, v26
	v_add_f32_e32 v23, v23, v30
	v_add_f32_e32 v21, v29, v31
	;; [unrolled: 1-line block ×6, first 2 shown]
	s_barrier
	buffer_gl0_inv
	s_cbranch_vccz .LBB243_18
.LBB243_8:                              ; =>This Inner Loop Header: Depth=1
	s_mov_b32 s17, s12
	s_mov_b32 s13, 0
	s_and_saveexec_b32 s16, s0
	s_cbranch_execnz .LBB243_16
; %bb.9:                                ;   in Loop: Header=BB243_8 Depth=1
	s_or_b32 exec_lo, exec_lo, s16
	s_and_saveexec_b32 s16, s17
	s_xor_b32 s16, exec_lo, s16
	s_cbranch_execnz .LBB243_17
.LBB243_10:                             ;   in Loop: Header=BB243_8 Depth=1
	s_or_b32 exec_lo, exec_lo, s16
	s_and_saveexec_b32 s16, s13
	s_cbranch_execz .LBB243_12
.LBB243_11:                             ;   in Loop: Header=BB243_8 Depth=1
	v_mul_lo_u32 v2, s15, v4
	v_mul_lo_u32 v26, s14, v5
	v_mad_u64_u32 v[24:25], null, s14, v4, 0
	v_add3_u32 v25, v25, v26, v2
	v_lshlrev_b64 v[24:25], 3, v[24:25]
	v_add_co_u32 v24, vcc_lo, v9, v24
	v_add_co_ci_u32_e64 v25, null, v10, v25, vcc_lo
	global_load_dwordx2 v[24:25], v[24:25], off
	s_waitcnt vmcnt(0)
	ds_write_b64 v8, v[24:25]
.LBB243_12:                             ;   in Loop: Header=BB243_8 Depth=1
	s_or_b32 exec_lo, exec_lo, s16
	v_add_nc_u32_e32 v2, s2, v6
	v_cmp_le_u64_e32 vcc_lo, s[20:21], v[2:3]
	s_or_b32 s13, vcc_lo, s1
	s_and_saveexec_b32 s16, s13
	s_xor_b32 s13, exec_lo, s16
; %bb.13:                               ;   in Loop: Header=BB243_8 Depth=1
	v_mov_b32_e32 v2, v3
	ds_write_b64 v11, v[2:3]
; %bb.14:                               ;   in Loop: Header=BB243_8 Depth=1
	s_andn2_saveexec_b32 s13, s13
	s_cbranch_execz .LBB243_7
; %bb.15:                               ;   in Loop: Header=BB243_8 Depth=1
	v_lshlrev_b64 v[24:25], 3, v[2:3]
	v_add_co_u32 v24, vcc_lo, v12, v24
	v_add_co_ci_u32_e64 v25, null, v13, v25, vcc_lo
	global_load_dwordx2 v[24:25], v[24:25], off
	s_waitcnt vmcnt(0)
	ds_write_b64 v11, v[24:25]
	s_branch .LBB243_7
.LBB243_16:                             ;   in Loop: Header=BB243_8 Depth=1
	v_add_nc_u32_e32 v2, s2, v7
	v_mov_b32_e32 v5, v3
	s_andn2_b32 s17, s12, exec_lo
	s_mov_b32 s13, exec_lo
	v_cmp_le_u64_e32 vcc_lo, s[20:21], v[2:3]
	v_mov_b32_e32 v4, v2
	s_and_b32 s18, vcc_lo, exec_lo
	s_or_b32 s17, s17, s18
	s_or_b32 exec_lo, exec_lo, s16
	s_and_saveexec_b32 s16, s17
	s_xor_b32 s16, exec_lo, s16
	s_cbranch_execz .LBB243_10
.LBB243_17:                             ;   in Loop: Header=BB243_8 Depth=1
	v_mov_b32_e32 v2, v3
	s_andn2_b32 s13, s13, exec_lo
	ds_write_b64 v8, v[2:3]
	s_or_b32 exec_lo, exec_lo, s16
	s_and_saveexec_b32 s16, s13
	s_cbranch_execnz .LBB243_11
	s_branch .LBB243_12
.LBB243_18:
	s_clause 0x1
	s_load_dwordx4 s[12:15], s[4:5], 0x50
	s_load_dwordx2 s[0:1], s[4:5], 0x60
	v_add_nc_u32_e32 v9, s7, v1
	v_add_nc_u32_e32 v0, s6, v0
	v_cmp_neq_f32_e64 s6, s10, 0
	v_ashrrev_i32_e32 v1, 31, v9
	v_cmp_le_i32_e32 vcc_lo, v9, v0
	s_waitcnt lgkmcnt(0)
	v_mul_lo_u32 v3, s14, v1
	v_mul_lo_u32 v4, s15, v9
	v_mad_u64_u32 v[1:2], null, s14, v9, 0
	s_mul_i32 s1, s1, s8
	s_mul_hi_u32 s3, s0, s8
	s_mul_i32 s2, s0, s8
	s_add_i32 s3, s3, s1
	v_cmp_gt_i32_e64 s0, s9, v0
	s_lshl_b64 s[4:5], s[2:3], 3
	v_add3_u32 v2, v2, v3, v4
	s_add_u32 s3, s12, s4
	s_addc_u32 s4, s13, s5
	s_xor_b32 s2, s28, -1
	s_and_b32 s5, vcc_lo, s0
	v_lshlrev_b64 v[2:3], 3, v[1:2]
	s_or_b32 s2, s6, s2
	v_ashrrev_i32_e32 v1, 31, v0
	v_cndmask_b32_e64 v8, 0, 1, s2
	v_add_co_u32 v6, s1, s3, v2
	v_add_co_ci_u32_e64 v7, null, s4, v3, s1
	s_and_saveexec_b32 s1, s5
	s_cbranch_execz .LBB243_22
; %bb.19:
	v_lshlrev_b64 v[4:5], 3, v[0:1]
	v_mul_f32_e32 v2, s23, v23
	v_mul_f32_e32 v3, s22, v23
	v_fma_f32 v2, v22, s22, -v2
	v_add_co_u32 v4, vcc_lo, v6, v4
	v_fmac_f32_e32 v3, s23, v22
	v_add_co_ci_u32_e64 v5, null, v7, v5, vcc_lo
	s_andn2_b32 vcc_lo, exec_lo, s2
	s_cbranch_vccnz .LBB243_21
; %bb.20:
	global_load_dwordx2 v[10:11], v[4:5], off
	s_waitcnt vmcnt(0)
	v_mul_f32_e32 v12, s11, v11
	v_mul_f32_e32 v11, s10, v11
	v_fma_f32 v12, v10, s10, -v12
	v_fmac_f32_e32 v11, s11, v10
	v_add_f32_e32 v2, v2, v12
	v_add_f32_e32 v3, v3, v11
.LBB243_21:
	global_store_dwordx2 v[4:5], v[2:3], off
.LBB243_22:
	s_or_b32 exec_lo, exec_lo, s1
	v_add_nc_u32_e32 v2, 16, v0
	v_cmp_le_i32_e32 vcc_lo, v9, v2
	v_cmp_gt_i32_e64 s1, s9, v2
	v_ashrrev_i32_e32 v3, 31, v2
	s_and_b32 s2, vcc_lo, s1
	s_and_saveexec_b32 s5, s2
	s_cbranch_execz .LBB243_26
; %bb.23:
	v_lshlrev_b64 v[10:11], 3, v[2:3]
	v_mul_f32_e32 v4, s23, v21
	v_mul_f32_e32 v5, s22, v21
	v_cmp_ne_u32_e32 vcc_lo, 1, v8
	v_fma_f32 v4, v20, s22, -v4
	v_add_co_u32 v6, s2, v6, v10
	v_fmac_f32_e32 v5, s23, v20
	v_add_co_ci_u32_e64 v7, null, v7, v11, s2
	s_cbranch_vccnz .LBB243_25
; %bb.24:
	global_load_dwordx2 v[10:11], v[6:7], off
	s_waitcnt vmcnt(0)
	v_mul_f32_e32 v12, s11, v11
	v_mul_f32_e32 v11, s10, v11
	v_fma_f32 v12, v10, s10, -v12
	v_fmac_f32_e32 v11, s11, v10
	v_add_f32_e32 v4, v4, v12
	v_add_f32_e32 v5, v5, v11
.LBB243_25:
	global_store_dwordx2 v[6:7], v[4:5], off
.LBB243_26:
	s_or_b32 exec_lo, exec_lo, s5
	v_add_nc_u32_e32 v9, 16, v9
	v_ashrrev_i32_e32 v6, 31, v9
	v_mul_lo_u32 v7, s15, v9
	v_mad_u64_u32 v[4:5], null, s14, v9, 0
	v_cmp_le_i32_e32 vcc_lo, v9, v0
	v_mul_lo_u32 v6, s14, v6
	s_and_b32 s0, vcc_lo, s0
	v_add3_u32 v5, v5, v6, v7
	v_lshlrev_b64 v[4:5], 3, v[4:5]
	v_add_co_u32 v6, s2, s3, v4
	v_add_co_ci_u32_e64 v7, null, s4, v5, s2
	s_and_saveexec_b32 s2, s0
	s_cbranch_execz .LBB243_30
; %bb.27:
	v_lshlrev_b64 v[0:1], 3, v[0:1]
	v_mul_f32_e32 v4, s23, v19
	v_mul_f32_e32 v5, s22, v19
	v_cmp_ne_u32_e32 vcc_lo, 1, v8
	v_fma_f32 v4, v18, s22, -v4
	v_add_co_u32 v0, s0, v6, v0
	v_fmac_f32_e32 v5, s23, v18
	v_add_co_ci_u32_e64 v1, null, v7, v1, s0
	s_cbranch_vccnz .LBB243_29
; %bb.28:
	global_load_dwordx2 v[10:11], v[0:1], off
	s_waitcnt vmcnt(0)
	v_mul_f32_e32 v12, s11, v11
	v_mul_f32_e32 v11, s10, v11
	v_fma_f32 v12, v10, s10, -v12
	v_fmac_f32_e32 v11, s11, v10
	v_add_f32_e32 v4, v4, v12
	v_add_f32_e32 v5, v5, v11
.LBB243_29:
	global_store_dwordx2 v[0:1], v[4:5], off
.LBB243_30:
	s_or_b32 exec_lo, exec_lo, s2
	v_cmp_le_i32_e32 vcc_lo, v9, v2
	s_and_b32 s0, vcc_lo, s1
	s_and_saveexec_b32 s1, s0
	s_cbranch_execz .LBB243_34
; %bb.31:
	v_lshlrev_b64 v[2:3], 3, v[2:3]
	v_mul_f32_e32 v0, s23, v17
	v_mul_f32_e32 v1, s22, v17
	v_cmp_ne_u32_e32 vcc_lo, 1, v8
	v_fma_f32 v0, v16, s22, -v0
	v_add_co_u32 v2, s0, v6, v2
	v_fmac_f32_e32 v1, s23, v16
	v_add_co_ci_u32_e64 v3, null, v7, v3, s0
	s_cbranch_vccnz .LBB243_33
; %bb.32:
	global_load_dwordx2 v[4:5], v[2:3], off
	s_waitcnt vmcnt(0)
	v_mul_f32_e32 v6, s11, v5
	v_mul_f32_e32 v5, s10, v5
	v_fma_f32 v6, v4, s10, -v6
	v_fmac_f32_e32 v5, s11, v4
	v_add_f32_e32 v0, v0, v6
	v_add_f32_e32 v1, v1, v5
.LBB243_33:
	global_store_dwordx2 v[2:3], v[0:1], off
.LBB243_34:
	s_endpgm
	.section	.rodata,"a",@progbits
	.p2align	6, 0x0
	.amdhsa_kernel _ZL29rocblas_internal_gemmt_kernelIlLi16ELi32ELi8ELc78ELc78ELc76ELb0ELb0E19rocblas_complex_numIfES1_PKS1_PS1_EviT_T9_T10_S5_lS7_S5_lS6_T11_S5_li
		.amdhsa_group_segment_fixed_size 4096
		.amdhsa_private_segment_fixed_size 0
		.amdhsa_kernarg_size 108
		.amdhsa_user_sgpr_count 6
		.amdhsa_user_sgpr_private_segment_buffer 1
		.amdhsa_user_sgpr_dispatch_ptr 0
		.amdhsa_user_sgpr_queue_ptr 0
		.amdhsa_user_sgpr_kernarg_segment_ptr 1
		.amdhsa_user_sgpr_dispatch_id 0
		.amdhsa_user_sgpr_flat_scratch_init 0
		.amdhsa_user_sgpr_private_segment_size 0
		.amdhsa_wavefront_size32 1
		.amdhsa_uses_dynamic_stack 0
		.amdhsa_system_sgpr_private_segment_wavefront_offset 0
		.amdhsa_system_sgpr_workgroup_id_x 1
		.amdhsa_system_sgpr_workgroup_id_y 1
		.amdhsa_system_sgpr_workgroup_id_z 1
		.amdhsa_system_sgpr_workgroup_info 0
		.amdhsa_system_vgpr_workitem_id 1
		.amdhsa_next_free_vgpr 61
		.amdhsa_next_free_sgpr 29
		.amdhsa_reserve_vcc 1
		.amdhsa_reserve_flat_scratch 0
		.amdhsa_float_round_mode_32 0
		.amdhsa_float_round_mode_16_64 0
		.amdhsa_float_denorm_mode_32 3
		.amdhsa_float_denorm_mode_16_64 3
		.amdhsa_dx10_clamp 1
		.amdhsa_ieee_mode 1
		.amdhsa_fp16_overflow 0
		.amdhsa_workgroup_processor_mode 1
		.amdhsa_memory_ordered 1
		.amdhsa_forward_progress 1
		.amdhsa_shared_vgpr_count 0
		.amdhsa_exception_fp_ieee_invalid_op 0
		.amdhsa_exception_fp_denorm_src 0
		.amdhsa_exception_fp_ieee_div_zero 0
		.amdhsa_exception_fp_ieee_overflow 0
		.amdhsa_exception_fp_ieee_underflow 0
		.amdhsa_exception_fp_ieee_inexact 0
		.amdhsa_exception_int_div_zero 0
	.end_amdhsa_kernel
	.section	.text._ZL29rocblas_internal_gemmt_kernelIlLi16ELi32ELi8ELc78ELc78ELc76ELb0ELb0E19rocblas_complex_numIfES1_PKS1_PS1_EviT_T9_T10_S5_lS7_S5_lS6_T11_S5_li,"axG",@progbits,_ZL29rocblas_internal_gemmt_kernelIlLi16ELi32ELi8ELc78ELc78ELc76ELb0ELb0E19rocblas_complex_numIfES1_PKS1_PS1_EviT_T9_T10_S5_lS7_S5_lS6_T11_S5_li,comdat
.Lfunc_end243:
	.size	_ZL29rocblas_internal_gemmt_kernelIlLi16ELi32ELi8ELc78ELc78ELc76ELb0ELb0E19rocblas_complex_numIfES1_PKS1_PS1_EviT_T9_T10_S5_lS7_S5_lS6_T11_S5_li, .Lfunc_end243-_ZL29rocblas_internal_gemmt_kernelIlLi16ELi32ELi8ELc78ELc78ELc76ELb0ELb0E19rocblas_complex_numIfES1_PKS1_PS1_EviT_T9_T10_S5_lS7_S5_lS6_T11_S5_li
                                        ; -- End function
	.set _ZL29rocblas_internal_gemmt_kernelIlLi16ELi32ELi8ELc78ELc78ELc76ELb0ELb0E19rocblas_complex_numIfES1_PKS1_PS1_EviT_T9_T10_S5_lS7_S5_lS6_T11_S5_li.num_vgpr, 61
	.set _ZL29rocblas_internal_gemmt_kernelIlLi16ELi32ELi8ELc78ELc78ELc76ELb0ELb0E19rocblas_complex_numIfES1_PKS1_PS1_EviT_T9_T10_S5_lS7_S5_lS6_T11_S5_li.num_agpr, 0
	.set _ZL29rocblas_internal_gemmt_kernelIlLi16ELi32ELi8ELc78ELc78ELc76ELb0ELb0E19rocblas_complex_numIfES1_PKS1_PS1_EviT_T9_T10_S5_lS7_S5_lS6_T11_S5_li.numbered_sgpr, 29
	.set _ZL29rocblas_internal_gemmt_kernelIlLi16ELi32ELi8ELc78ELc78ELc76ELb0ELb0E19rocblas_complex_numIfES1_PKS1_PS1_EviT_T9_T10_S5_lS7_S5_lS6_T11_S5_li.num_named_barrier, 0
	.set _ZL29rocblas_internal_gemmt_kernelIlLi16ELi32ELi8ELc78ELc78ELc76ELb0ELb0E19rocblas_complex_numIfES1_PKS1_PS1_EviT_T9_T10_S5_lS7_S5_lS6_T11_S5_li.private_seg_size, 0
	.set _ZL29rocblas_internal_gemmt_kernelIlLi16ELi32ELi8ELc78ELc78ELc76ELb0ELb0E19rocblas_complex_numIfES1_PKS1_PS1_EviT_T9_T10_S5_lS7_S5_lS6_T11_S5_li.uses_vcc, 1
	.set _ZL29rocblas_internal_gemmt_kernelIlLi16ELi32ELi8ELc78ELc78ELc76ELb0ELb0E19rocblas_complex_numIfES1_PKS1_PS1_EviT_T9_T10_S5_lS7_S5_lS6_T11_S5_li.uses_flat_scratch, 0
	.set _ZL29rocblas_internal_gemmt_kernelIlLi16ELi32ELi8ELc78ELc78ELc76ELb0ELb0E19rocblas_complex_numIfES1_PKS1_PS1_EviT_T9_T10_S5_lS7_S5_lS6_T11_S5_li.has_dyn_sized_stack, 0
	.set _ZL29rocblas_internal_gemmt_kernelIlLi16ELi32ELi8ELc78ELc78ELc76ELb0ELb0E19rocblas_complex_numIfES1_PKS1_PS1_EviT_T9_T10_S5_lS7_S5_lS6_T11_S5_li.has_recursion, 0
	.set _ZL29rocblas_internal_gemmt_kernelIlLi16ELi32ELi8ELc78ELc78ELc76ELb0ELb0E19rocblas_complex_numIfES1_PKS1_PS1_EviT_T9_T10_S5_lS7_S5_lS6_T11_S5_li.has_indirect_call, 0
	.section	.AMDGPU.csdata,"",@progbits
; Kernel info:
; codeLenInByte = 2636
; TotalNumSgprs: 31
; NumVgprs: 61
; ScratchSize: 0
; MemoryBound: 0
; FloatMode: 240
; IeeeMode: 1
; LDSByteSize: 4096 bytes/workgroup (compile time only)
; SGPRBlocks: 0
; VGPRBlocks: 7
; NumSGPRsForWavesPerEU: 31
; NumVGPRsForWavesPerEU: 61
; Occupancy: 16
; WaveLimiterHint : 0
; COMPUTE_PGM_RSRC2:SCRATCH_EN: 0
; COMPUTE_PGM_RSRC2:USER_SGPR: 6
; COMPUTE_PGM_RSRC2:TRAP_HANDLER: 0
; COMPUTE_PGM_RSRC2:TGID_X_EN: 1
; COMPUTE_PGM_RSRC2:TGID_Y_EN: 1
; COMPUTE_PGM_RSRC2:TGID_Z_EN: 1
; COMPUTE_PGM_RSRC2:TIDIG_COMP_CNT: 1
	.section	.text._ZL29rocblas_internal_gemmt_kernelIlLi16ELi32ELi8ELc78ELc84ELc76ELb0ELb0E19rocblas_complex_numIfES1_PKS1_PS1_EviT_T9_T10_S5_lS7_S5_lS6_T11_S5_li,"axG",@progbits,_ZL29rocblas_internal_gemmt_kernelIlLi16ELi32ELi8ELc78ELc84ELc76ELb0ELb0E19rocblas_complex_numIfES1_PKS1_PS1_EviT_T9_T10_S5_lS7_S5_lS6_T11_S5_li,comdat
	.globl	_ZL29rocblas_internal_gemmt_kernelIlLi16ELi32ELi8ELc78ELc84ELc76ELb0ELb0E19rocblas_complex_numIfES1_PKS1_PS1_EviT_T9_T10_S5_lS7_S5_lS6_T11_S5_li ; -- Begin function _ZL29rocblas_internal_gemmt_kernelIlLi16ELi32ELi8ELc78ELc84ELc76ELb0ELb0E19rocblas_complex_numIfES1_PKS1_PS1_EviT_T9_T10_S5_lS7_S5_lS6_T11_S5_li
	.p2align	8
	.type	_ZL29rocblas_internal_gemmt_kernelIlLi16ELi32ELi8ELc78ELc84ELc76ELb0ELb0E19rocblas_complex_numIfES1_PKS1_PS1_EviT_T9_T10_S5_lS7_S5_lS6_T11_S5_li,@function
_ZL29rocblas_internal_gemmt_kernelIlLi16ELi32ELi8ELc78ELc84ELc76ELb0ELb0E19rocblas_complex_numIfES1_PKS1_PS1_EviT_T9_T10_S5_lS7_S5_lS6_T11_S5_li: ; @_ZL29rocblas_internal_gemmt_kernelIlLi16ELi32ELi8ELc78ELc84ELc76ELb0ELb0E19rocblas_complex_numIfES1_PKS1_PS1_EviT_T9_T10_S5_lS7_S5_lS6_T11_S5_li
; %bb.0:
	s_clause 0x1
	s_load_dwordx2 s[10:11], s[4:5], 0x48
	s_load_dwordx4 s[20:23], s[4:5], 0x8
	s_waitcnt lgkmcnt(0)
	s_and_b32 s0, s11, 0x7fffffff
	v_cmp_eq_f32_e64 s1, s10, 1.0
	s_cmp_eq_u32 s0, 0
	s_mov_b32 s0, 0
	s_cselect_b32 s28, -1, 0
	s_and_b32 s1, s1, s28
	s_andn2_b32 vcc_lo, exec_lo, s1
	s_mov_b32 s1, -1
	s_cbranch_vccnz .LBB244_4
; %bb.1:
	s_cmp_lg_u64 s[20:21], 0
	s_cbranch_scc0 .LBB244_3
; %bb.2:
	v_cmp_neq_f32_e64 s0, s22, 0
	v_cmp_neq_f32_e64 s1, s23, 0
	s_or_b32 s0, s0, s1
.LBB244_3:
	s_mov_b32 s1, s0
.LBB244_4:
	s_and_b32 vcc_lo, exec_lo, s1
	s_cbranch_vccz .LBB244_34
; %bb.5:
	s_load_dword s9, s[4:5], 0x0
	v_cmp_eq_f32_e64 s0, s22, 0
	v_cmp_eq_f32_e64 s1, s23, 0
	v_cmp_lt_i64_e64 s2, s[20:21], 1
	v_mov_b32_e32 v22, 0
	v_mov_b32_e32 v23, 0
	;; [unrolled: 1-line block ×3, first 2 shown]
	s_and_b32 s0, s0, s1
	v_mov_b32_e32 v21, 0
	v_mov_b32_e32 v18, 0
	;; [unrolled: 1-line block ×5, first 2 shown]
	s_or_b32 s0, s0, s2
	s_lshl_b32 s6, s6, 5
	s_and_b32 vcc_lo, exec_lo, s0
	s_lshl_b32 s7, s7, 5
	s_cbranch_vccnz .LBB244_18
; %bb.6:
	s_clause 0x1
	s_load_dwordx4 s[24:27], s[4:5], 0x38
	s_load_dwordx8 s[12:19], s[4:5], 0x18
	v_lshl_add_u32 v3, v1, 4, v0
	v_and_b32_e32 v6, 7, v0
	v_lshlrev_b32_e32 v14, 3, v0
	v_lshl_add_u32 v15, v1, 6, 0x800
	v_mov_b32_e32 v17, 0
	v_and_b32_e32 v4, 31, v3
	v_lshrrev_b32_e32 v5, 3, v3
	v_lshlrev_b32_e32 v8, 3, v6
	v_lshrrev_b32_e32 v7, 5, v3
	v_mov_b32_e32 v16, 0
	v_or_b32_e32 v2, s6, v4
	v_lshlrev_b32_e32 v3, 3, v4
	v_add_nc_u32_e32 v4, s7, v5
	v_lshl_or_b32 v11, v5, 6, v8
	v_mov_b32_e32 v19, 0
	s_waitcnt lgkmcnt(0)
	v_cmp_gt_i32_e64 s0, s9, v2
	v_lshl_or_b32 v8, v7, 8, v3
	v_ashrrev_i32_e32 v3, 31, v2
	s_mul_i32 s1, s27, s8
	s_mul_hi_u32 s3, s26, s8
	s_mul_i32 s2, s26, s8
	s_add_i32 s3, s3, s1
	v_ashrrev_i32_e32 v5, 31, v4
	s_lshl_b64 s[2:3], s[2:3], 3
	s_mul_i32 s17, s17, s8
	s_mul_hi_u32 s1, s16, s8
	s_add_u32 s18, s18, s2
	v_cmp_le_i32_e64 s29, s9, v2
	s_mul_i32 s16, s16, s8
	s_addc_u32 s19, s19, s3
	s_add_i32 s17, s1, s17
	v_lshlrev_b64 v[2:3], 3, v[2:3]
	s_lshl_b64 s[2:3], s[16:17], 3
	v_lshlrev_b64 v[12:13], 3, v[4:5]
	s_add_u32 s1, s12, s2
	s_addc_u32 s2, s13, s3
	v_add_nc_u32_e32 v11, 0x800, v11
	v_add_co_u32 v9, vcc_lo, s1, v2
	v_add_co_ci_u32_e64 v10, null, s2, v3, vcc_lo
	v_cmp_gt_i32_e32 vcc_lo, s9, v4
	v_add_co_u32 v12, s1, s18, v12
	v_add_co_ci_u32_e64 v13, null, s19, v13, s1
	v_mov_b32_e32 v3, 0
	v_mov_b32_e32 v18, 0
	v_mov_b32_e32 v21, 0
	v_mov_b32_e32 v20, 0
	v_mov_b32_e32 v23, 0
	v_mov_b32_e32 v22, 0
	s_mov_b64 s[2:3], 0
	s_xor_b32 s1, vcc_lo, -1
                                        ; implicit-def: $vgpr4_vgpr5
	s_branch .LBB244_8
.LBB244_7:                              ;   in Loop: Header=BB244_8 Depth=1
	s_or_b32 exec_lo, exec_lo, s12
	s_waitcnt lgkmcnt(0)
	s_barrier
	buffer_gl0_inv
	ds_read_b128 v[24:27], v15
	ds_read2_b64 v[28:31], v14 offset1:16
	ds_read_b128 v[32:35], v15 offset:1024
	ds_read_b128 v[36:39], v15 offset:16
	;; [unrolled: 1-line block ×4, first 2 shown]
	ds_read2_b64 v[48:51], v14 offset0:32 offset1:48
	ds_read_b128 v[52:55], v15 offset:1040
	s_add_u32 s2, s2, 8
	s_addc_u32 s3, s3, 0
	v_cmp_gt_i64_e64 s12, s[20:21], s[2:3]
	s_and_b32 vcc_lo, exec_lo, s12
	s_waitcnt lgkmcnt(6)
	v_mul_f32_e32 v2, v25, v29
	v_mul_f32_e32 v56, v24, v29
	;; [unrolled: 1-line block ×4, first 2 shown]
	s_waitcnt lgkmcnt(5)
	v_mul_f32_e32 v59, v33, v29
	v_mul_f32_e32 v29, v32, v29
	;; [unrolled: 1-line block ×3, first 2 shown]
	v_fma_f32 v2, v24, v28, -v2
	v_fmac_f32_e32 v56, v25, v28
	v_fma_f32 v24, v24, v30, -v57
	v_fmac_f32_e32 v58, v25, v30
	;; [unrolled: 2-line block ×3, first 2 shown]
	v_mul_f32_e32 v31, v32, v31
	v_fma_f32 v28, v32, v30, -v60
	v_add_f32_e32 v2, v22, v2
	v_add_f32_e32 v22, v23, v56
	v_add_f32_e32 v23, v20, v24
	v_add_f32_e32 v24, v21, v58
	v_add_f32_e32 v25, v18, v25
	v_add_f32_e32 v29, v19, v29
	s_waitcnt lgkmcnt(1)
	v_mul_f32_e32 v32, v27, v49
	ds_read2_b64 v[18:21], v14 offset0:64 offset1:80
	v_fmac_f32_e32 v31, v33, v30
	v_add_f32_e32 v16, v16, v28
	v_mul_f32_e32 v28, v26, v49
	v_fma_f32 v30, v26, v48, -v32
	v_mul_f32_e32 v32, v27, v51
	v_add_f32_e32 v17, v17, v31
	v_mul_f32_e32 v31, v26, v51
	v_fmac_f32_e32 v28, v27, v48
	v_add_f32_e32 v2, v2, v30
	v_fma_f32 v26, v26, v50, -v32
	v_mul_f32_e32 v30, v35, v49
	v_fmac_f32_e32 v31, v27, v50
	v_add_f32_e32 v28, v22, v28
	v_mul_f32_e32 v22, v34, v49
	v_add_f32_e32 v26, v23, v26
	v_fma_f32 v23, v34, v48, -v30
	v_mul_f32_e32 v27, v35, v51
	v_add_f32_e32 v30, v24, v31
	v_fmac_f32_e32 v22, v35, v48
	v_mul_f32_e32 v31, v34, v51
	v_add_f32_e32 v32, v25, v23
	v_fma_f32 v23, v34, v50, -v27
	s_waitcnt lgkmcnt(0)
	v_mul_f32_e32 v24, v37, v19
	v_add_f32_e32 v27, v29, v22
	v_fmac_f32_e32 v31, v35, v50
	v_mul_f32_e32 v29, v36, v19
	v_add_f32_e32 v16, v16, v23
	v_fma_f32 v33, v36, v18, -v24
	v_mul_f32_e32 v34, v37, v21
	ds_read2_b64 v[22:25], v14 offset0:96 offset1:112
	v_fmac_f32_e32 v29, v37, v18
	v_add_f32_e32 v31, v17, v31
	v_add_f32_e32 v2, v2, v33
	v_mul_f32_e32 v17, v36, v21
	v_fma_f32 v33, v36, v20, -v34
	v_add_f32_e32 v28, v28, v29
	v_mul_f32_e32 v29, v53, v19
	v_mul_f32_e32 v19, v52, v19
	v_fmac_f32_e32 v17, v37, v20
	v_add_f32_e32 v26, v26, v33
	v_mul_f32_e32 v33, v53, v21
	v_mul_f32_e32 v21, v52, v21
	v_fmac_f32_e32 v19, v53, v18
	v_add_f32_e32 v30, v30, v17
	v_fma_f32 v29, v52, v18, -v29
	v_fma_f32 v17, v52, v20, -v33
	v_fmac_f32_e32 v21, v53, v20
	v_add_f32_e32 v33, v27, v19
	s_waitcnt lgkmcnt(0)
	v_mul_f32_e32 v20, v39, v23
	v_add_f32_e32 v34, v16, v17
	ds_read2_b64 v[16:19], v14 offset0:128 offset1:144
	v_add_f32_e32 v32, v32, v29
	v_mul_f32_e32 v27, v38, v23
	v_mul_f32_e32 v29, v39, v25
	v_fma_f32 v20, v38, v22, -v20
	v_add_f32_e32 v31, v31, v21
	v_mul_f32_e32 v21, v38, v25
	v_fmac_f32_e32 v27, v39, v22
	v_fma_f32 v29, v38, v24, -v29
	v_add_f32_e32 v2, v2, v20
	v_mul_f32_e32 v20, v55, v23
	v_fmac_f32_e32 v21, v39, v24
	v_add_f32_e32 v35, v28, v27
	v_add_f32_e32 v36, v26, v29
	v_mul_f32_e32 v23, v54, v23
	v_fma_f32 v20, v54, v22, -v20
	v_mul_f32_e32 v37, v55, v25
	ds_read_b128 v[26:29], v15 offset:1056
	v_add_f32_e32 v38, v30, v21
	v_fmac_f32_e32 v23, v55, v22
	v_mul_f32_e32 v25, v54, v25
	v_fma_f32 v21, v54, v24, -v37
	v_add_f32_e32 v37, v32, v20
	s_waitcnt lgkmcnt(1)
	v_mul_f32_e32 v20, v41, v17
	v_add_f32_e32 v39, v33, v23
	v_fmac_f32_e32 v25, v55, v24
	v_add_f32_e32 v24, v34, v21
	v_mul_f32_e32 v32, v41, v19
	v_fma_f32 v30, v40, v16, -v20
	ds_read2_b64 v[20:23], v14 offset0:160 offset1:176
	v_mul_f32_e32 v34, v40, v17
	v_add_f32_e32 v25, v31, v25
	v_fma_f32 v48, v40, v18, -v32
	v_mul_f32_e32 v40, v40, v19
	v_add_f32_e32 v2, v2, v30
	v_fmac_f32_e32 v34, v41, v16
	ds_read_b128 v[30:33], v15 offset:1072
	s_waitcnt lgkmcnt(2)
	v_mul_f32_e32 v49, v27, v17
	v_mul_f32_e32 v17, v26, v17
	v_fmac_f32_e32 v40, v41, v18
	v_mul_f32_e32 v41, v27, v19
	v_add_f32_e32 v34, v35, v34
	v_add_f32_e32 v35, v36, v48
	v_fma_f32 v36, v26, v16, -v49
	v_fmac_f32_e32 v17, v27, v16
	v_add_f32_e32 v38, v38, v40
	v_mul_f32_e32 v40, v26, v19
	v_fma_f32 v16, v26, v18, -v41
	v_add_f32_e32 v36, v37, v36
	v_add_f32_e32 v26, v39, v17
	s_waitcnt lgkmcnt(1)
	v_mul_f32_e32 v37, v43, v21
	v_fmac_f32_e32 v40, v27, v18
	v_add_f32_e32 v24, v24, v16
	ds_read2_b64 v[16:19], v14 offset0:192 offset1:208
	v_mul_f32_e32 v27, v42, v21
	v_fma_f32 v37, v42, v20, -v37
	v_mul_f32_e32 v39, v43, v23
	v_add_f32_e32 v40, v25, v40
	v_mul_f32_e32 v25, v42, v23
	v_fmac_f32_e32 v27, v43, v20
	v_add_f32_e32 v2, v2, v37
	v_fma_f32 v37, v42, v22, -v39
	v_fmac_f32_e32 v25, v43, v22
	v_add_f32_e32 v34, v34, v27
	v_mul_f32_e32 v27, v29, v21
	v_mul_f32_e32 v21, v28, v21
	v_add_f32_e32 v35, v35, v37
	v_mul_f32_e32 v37, v29, v23
	v_add_f32_e32 v38, v38, v25
	v_fma_f32 v27, v28, v20, -v27
	v_fmac_f32_e32 v21, v29, v20
	v_mul_f32_e32 v20, v28, v23
	v_fma_f32 v23, v28, v22, -v37
	s_waitcnt lgkmcnt(0)
	v_mul_f32_e32 v25, v45, v17
	v_add_f32_e32 v28, v36, v27
	v_add_f32_e32 v21, v26, v21
	v_fmac_f32_e32 v20, v29, v22
	v_add_f32_e32 v22, v24, v23
	v_fma_f32 v29, v44, v16, -v25
	ds_read2_b64 v[24:27], v14 offset0:224 offset1:240
	v_mul_f32_e32 v23, v44, v17
	v_mul_f32_e32 v37, v31, v17
	;; [unrolled: 1-line block ×4, first 2 shown]
	v_add_f32_e32 v2, v2, v29
	v_fmac_f32_e32 v23, v45, v16
	v_mul_f32_e32 v29, v44, v19
	v_fmac_f32_e32 v17, v31, v16
	v_fma_f32 v36, v44, v18, -v36
	v_add_f32_e32 v20, v40, v20
	v_add_f32_e32 v23, v34, v23
	v_fma_f32 v34, v30, v16, -v37
	v_mul_f32_e32 v16, v31, v19
	v_mul_f32_e32 v19, v30, v19
	v_fmac_f32_e32 v29, v45, v18
	v_add_f32_e32 v17, v21, v17
	v_add_f32_e32 v35, v35, v36
	v_fma_f32 v16, v30, v18, -v16
	v_fmac_f32_e32 v19, v31, v18
	s_waitcnt lgkmcnt(0)
	v_mul_f32_e32 v21, v47, v25
	v_mul_f32_e32 v18, v47, v27
	v_add_f32_e32 v28, v28, v34
	v_mul_f32_e32 v30, v46, v25
	v_add_f32_e32 v16, v22, v16
	v_fma_f32 v21, v46, v24, -v21
	v_fma_f32 v18, v46, v26, -v18
	v_mul_f32_e32 v31, v46, v27
	v_add_f32_e32 v34, v20, v19
	v_mul_f32_e32 v19, v32, v25
	v_add_f32_e32 v22, v2, v21
	v_add_f32_e32 v20, v35, v18
	v_mul_f32_e32 v2, v33, v25
	v_mul_f32_e32 v18, v33, v27
	;; [unrolled: 1-line block ×3, first 2 shown]
	v_add_f32_e32 v29, v38, v29
	v_fmac_f32_e32 v30, v47, v24
	v_fmac_f32_e32 v31, v47, v26
	v_fma_f32 v2, v32, v24, -v2
	v_fmac_f32_e32 v19, v33, v24
	v_fma_f32 v24, v32, v26, -v18
	v_fmac_f32_e32 v25, v33, v26
	v_add_f32_e32 v23, v23, v30
	v_add_f32_e32 v21, v29, v31
	;; [unrolled: 1-line block ×6, first 2 shown]
	s_barrier
	buffer_gl0_inv
	s_cbranch_vccz .LBB244_18
.LBB244_8:                              ; =>This Inner Loop Header: Depth=1
	s_mov_b32 s16, s29
	s_mov_b32 s12, 0
	s_and_saveexec_b32 s13, s0
	s_cbranch_execnz .LBB244_16
; %bb.9:                                ;   in Loop: Header=BB244_8 Depth=1
	s_or_b32 exec_lo, exec_lo, s13
	s_and_saveexec_b32 s13, s16
	s_xor_b32 s13, exec_lo, s13
	s_cbranch_execnz .LBB244_17
.LBB244_10:                             ;   in Loop: Header=BB244_8 Depth=1
	s_or_b32 exec_lo, exec_lo, s13
	s_and_saveexec_b32 s13, s12
	s_cbranch_execz .LBB244_12
.LBB244_11:                             ;   in Loop: Header=BB244_8 Depth=1
	v_mul_lo_u32 v2, s15, v4
	v_mul_lo_u32 v26, s14, v5
	v_mad_u64_u32 v[24:25], null, s14, v4, 0
	v_add3_u32 v25, v25, v26, v2
	v_lshlrev_b64 v[24:25], 3, v[24:25]
	v_add_co_u32 v24, vcc_lo, v9, v24
	v_add_co_ci_u32_e64 v25, null, v10, v25, vcc_lo
	global_load_dwordx2 v[24:25], v[24:25], off
	s_waitcnt vmcnt(0)
	ds_write_b64 v8, v[24:25]
.LBB244_12:                             ;   in Loop: Header=BB244_8 Depth=1
	s_or_b32 exec_lo, exec_lo, s13
	v_add_nc_u32_e32 v2, s2, v6
	v_cmp_le_u64_e32 vcc_lo, s[20:21], v[2:3]
	s_or_b32 s12, vcc_lo, s1
	s_and_saveexec_b32 s13, s12
	s_xor_b32 s12, exec_lo, s13
; %bb.13:                               ;   in Loop: Header=BB244_8 Depth=1
	v_mov_b32_e32 v2, v3
	ds_write_b64 v11, v[2:3]
; %bb.14:                               ;   in Loop: Header=BB244_8 Depth=1
	s_andn2_saveexec_b32 s12, s12
	s_cbranch_execz .LBB244_7
; %bb.15:                               ;   in Loop: Header=BB244_8 Depth=1
	v_mad_u64_u32 v[24:25], null, s24, v2, 0
	v_mad_u64_u32 v[25:26], null, s25, v2, v[25:26]
	v_lshlrev_b64 v[24:25], 3, v[24:25]
	v_add_co_u32 v24, vcc_lo, v12, v24
	v_add_co_ci_u32_e64 v25, null, v13, v25, vcc_lo
	global_load_dwordx2 v[24:25], v[24:25], off
	s_waitcnt vmcnt(0)
	ds_write_b64 v11, v[24:25]
	s_branch .LBB244_7
.LBB244_16:                             ;   in Loop: Header=BB244_8 Depth=1
	v_add_nc_u32_e32 v2, s2, v7
	v_mov_b32_e32 v5, v3
	s_andn2_b32 s16, s29, exec_lo
	s_mov_b32 s12, exec_lo
	v_cmp_le_u64_e32 vcc_lo, s[20:21], v[2:3]
	v_mov_b32_e32 v4, v2
	s_and_b32 s17, vcc_lo, exec_lo
	s_or_b32 s16, s16, s17
	s_or_b32 exec_lo, exec_lo, s13
	s_and_saveexec_b32 s13, s16
	s_xor_b32 s13, exec_lo, s13
	s_cbranch_execz .LBB244_10
.LBB244_17:                             ;   in Loop: Header=BB244_8 Depth=1
	v_mov_b32_e32 v2, v3
	s_andn2_b32 s12, s12, exec_lo
	ds_write_b64 v8, v[2:3]
	s_or_b32 exec_lo, exec_lo, s13
	s_and_saveexec_b32 s13, s12
	s_cbranch_execnz .LBB244_11
	s_branch .LBB244_12
.LBB244_18:
	s_clause 0x1
	s_load_dwordx4 s[12:15], s[4:5], 0x50
	s_load_dwordx2 s[0:1], s[4:5], 0x60
	v_add_nc_u32_e32 v9, s7, v1
	v_add_nc_u32_e32 v0, s6, v0
	v_cmp_neq_f32_e64 s6, s10, 0
	v_ashrrev_i32_e32 v1, 31, v9
	v_cmp_le_i32_e32 vcc_lo, v9, v0
	s_waitcnt lgkmcnt(0)
	v_mul_lo_u32 v3, s14, v1
	v_mul_lo_u32 v4, s15, v9
	v_mad_u64_u32 v[1:2], null, s14, v9, 0
	s_mul_i32 s1, s1, s8
	s_mul_hi_u32 s3, s0, s8
	s_mul_i32 s2, s0, s8
	s_add_i32 s3, s3, s1
	v_cmp_gt_i32_e64 s0, s9, v0
	s_lshl_b64 s[4:5], s[2:3], 3
	v_add3_u32 v2, v2, v3, v4
	s_add_u32 s3, s12, s4
	s_addc_u32 s4, s13, s5
	s_xor_b32 s2, s28, -1
	s_and_b32 s5, vcc_lo, s0
	v_lshlrev_b64 v[2:3], 3, v[1:2]
	s_or_b32 s2, s6, s2
	v_ashrrev_i32_e32 v1, 31, v0
	v_cndmask_b32_e64 v8, 0, 1, s2
	v_add_co_u32 v6, s1, s3, v2
	v_add_co_ci_u32_e64 v7, null, s4, v3, s1
	s_and_saveexec_b32 s1, s5
	s_cbranch_execz .LBB244_22
; %bb.19:
	v_lshlrev_b64 v[4:5], 3, v[0:1]
	v_mul_f32_e32 v2, s23, v23
	v_mul_f32_e32 v3, s22, v23
	v_fma_f32 v2, v22, s22, -v2
	v_add_co_u32 v4, vcc_lo, v6, v4
	v_fmac_f32_e32 v3, s23, v22
	v_add_co_ci_u32_e64 v5, null, v7, v5, vcc_lo
	s_andn2_b32 vcc_lo, exec_lo, s2
	s_cbranch_vccnz .LBB244_21
; %bb.20:
	global_load_dwordx2 v[10:11], v[4:5], off
	s_waitcnt vmcnt(0)
	v_mul_f32_e32 v12, s11, v11
	v_mul_f32_e32 v11, s10, v11
	v_fma_f32 v12, v10, s10, -v12
	v_fmac_f32_e32 v11, s11, v10
	v_add_f32_e32 v2, v2, v12
	v_add_f32_e32 v3, v3, v11
.LBB244_21:
	global_store_dwordx2 v[4:5], v[2:3], off
.LBB244_22:
	s_or_b32 exec_lo, exec_lo, s1
	v_add_nc_u32_e32 v2, 16, v0
	v_cmp_le_i32_e32 vcc_lo, v9, v2
	v_cmp_gt_i32_e64 s1, s9, v2
	v_ashrrev_i32_e32 v3, 31, v2
	s_and_b32 s2, vcc_lo, s1
	s_and_saveexec_b32 s5, s2
	s_cbranch_execz .LBB244_26
; %bb.23:
	v_lshlrev_b64 v[10:11], 3, v[2:3]
	v_mul_f32_e32 v4, s23, v21
	v_mul_f32_e32 v5, s22, v21
	v_cmp_ne_u32_e32 vcc_lo, 1, v8
	v_fma_f32 v4, v20, s22, -v4
	v_add_co_u32 v6, s2, v6, v10
	v_fmac_f32_e32 v5, s23, v20
	v_add_co_ci_u32_e64 v7, null, v7, v11, s2
	s_cbranch_vccnz .LBB244_25
; %bb.24:
	global_load_dwordx2 v[10:11], v[6:7], off
	s_waitcnt vmcnt(0)
	v_mul_f32_e32 v12, s11, v11
	v_mul_f32_e32 v11, s10, v11
	v_fma_f32 v12, v10, s10, -v12
	v_fmac_f32_e32 v11, s11, v10
	v_add_f32_e32 v4, v4, v12
	v_add_f32_e32 v5, v5, v11
.LBB244_25:
	global_store_dwordx2 v[6:7], v[4:5], off
.LBB244_26:
	s_or_b32 exec_lo, exec_lo, s5
	v_add_nc_u32_e32 v9, 16, v9
	v_ashrrev_i32_e32 v6, 31, v9
	v_mul_lo_u32 v7, s15, v9
	v_mad_u64_u32 v[4:5], null, s14, v9, 0
	v_cmp_le_i32_e32 vcc_lo, v9, v0
	v_mul_lo_u32 v6, s14, v6
	s_and_b32 s0, vcc_lo, s0
	v_add3_u32 v5, v5, v6, v7
	v_lshlrev_b64 v[4:5], 3, v[4:5]
	v_add_co_u32 v6, s2, s3, v4
	v_add_co_ci_u32_e64 v7, null, s4, v5, s2
	s_and_saveexec_b32 s2, s0
	s_cbranch_execz .LBB244_30
; %bb.27:
	v_lshlrev_b64 v[0:1], 3, v[0:1]
	v_mul_f32_e32 v4, s23, v19
	v_mul_f32_e32 v5, s22, v19
	v_cmp_ne_u32_e32 vcc_lo, 1, v8
	v_fma_f32 v4, v18, s22, -v4
	v_add_co_u32 v0, s0, v6, v0
	v_fmac_f32_e32 v5, s23, v18
	v_add_co_ci_u32_e64 v1, null, v7, v1, s0
	s_cbranch_vccnz .LBB244_29
; %bb.28:
	global_load_dwordx2 v[10:11], v[0:1], off
	s_waitcnt vmcnt(0)
	v_mul_f32_e32 v12, s11, v11
	v_mul_f32_e32 v11, s10, v11
	v_fma_f32 v12, v10, s10, -v12
	v_fmac_f32_e32 v11, s11, v10
	v_add_f32_e32 v4, v4, v12
	v_add_f32_e32 v5, v5, v11
.LBB244_29:
	global_store_dwordx2 v[0:1], v[4:5], off
.LBB244_30:
	s_or_b32 exec_lo, exec_lo, s2
	v_cmp_le_i32_e32 vcc_lo, v9, v2
	s_and_b32 s0, vcc_lo, s1
	s_and_saveexec_b32 s1, s0
	s_cbranch_execz .LBB244_34
; %bb.31:
	v_lshlrev_b64 v[2:3], 3, v[2:3]
	v_mul_f32_e32 v0, s23, v17
	v_mul_f32_e32 v1, s22, v17
	v_cmp_ne_u32_e32 vcc_lo, 1, v8
	v_fma_f32 v0, v16, s22, -v0
	v_add_co_u32 v2, s0, v6, v2
	v_fmac_f32_e32 v1, s23, v16
	v_add_co_ci_u32_e64 v3, null, v7, v3, s0
	s_cbranch_vccnz .LBB244_33
; %bb.32:
	global_load_dwordx2 v[4:5], v[2:3], off
	s_waitcnt vmcnt(0)
	v_mul_f32_e32 v6, s11, v5
	v_mul_f32_e32 v5, s10, v5
	v_fma_f32 v6, v4, s10, -v6
	v_fmac_f32_e32 v5, s11, v4
	v_add_f32_e32 v0, v0, v6
	v_add_f32_e32 v1, v1, v5
.LBB244_33:
	global_store_dwordx2 v[2:3], v[0:1], off
.LBB244_34:
	s_endpgm
	.section	.rodata,"a",@progbits
	.p2align	6, 0x0
	.amdhsa_kernel _ZL29rocblas_internal_gemmt_kernelIlLi16ELi32ELi8ELc78ELc84ELc76ELb0ELb0E19rocblas_complex_numIfES1_PKS1_PS1_EviT_T9_T10_S5_lS7_S5_lS6_T11_S5_li
		.amdhsa_group_segment_fixed_size 4096
		.amdhsa_private_segment_fixed_size 0
		.amdhsa_kernarg_size 108
		.amdhsa_user_sgpr_count 6
		.amdhsa_user_sgpr_private_segment_buffer 1
		.amdhsa_user_sgpr_dispatch_ptr 0
		.amdhsa_user_sgpr_queue_ptr 0
		.amdhsa_user_sgpr_kernarg_segment_ptr 1
		.amdhsa_user_sgpr_dispatch_id 0
		.amdhsa_user_sgpr_flat_scratch_init 0
		.amdhsa_user_sgpr_private_segment_size 0
		.amdhsa_wavefront_size32 1
		.amdhsa_uses_dynamic_stack 0
		.amdhsa_system_sgpr_private_segment_wavefront_offset 0
		.amdhsa_system_sgpr_workgroup_id_x 1
		.amdhsa_system_sgpr_workgroup_id_y 1
		.amdhsa_system_sgpr_workgroup_id_z 1
		.amdhsa_system_sgpr_workgroup_info 0
		.amdhsa_system_vgpr_workitem_id 1
		.amdhsa_next_free_vgpr 61
		.amdhsa_next_free_sgpr 30
		.amdhsa_reserve_vcc 1
		.amdhsa_reserve_flat_scratch 0
		.amdhsa_float_round_mode_32 0
		.amdhsa_float_round_mode_16_64 0
		.amdhsa_float_denorm_mode_32 3
		.amdhsa_float_denorm_mode_16_64 3
		.amdhsa_dx10_clamp 1
		.amdhsa_ieee_mode 1
		.amdhsa_fp16_overflow 0
		.amdhsa_workgroup_processor_mode 1
		.amdhsa_memory_ordered 1
		.amdhsa_forward_progress 1
		.amdhsa_shared_vgpr_count 0
		.amdhsa_exception_fp_ieee_invalid_op 0
		.amdhsa_exception_fp_denorm_src 0
		.amdhsa_exception_fp_ieee_div_zero 0
		.amdhsa_exception_fp_ieee_overflow 0
		.amdhsa_exception_fp_ieee_underflow 0
		.amdhsa_exception_fp_ieee_inexact 0
		.amdhsa_exception_int_div_zero 0
	.end_amdhsa_kernel
	.section	.text._ZL29rocblas_internal_gemmt_kernelIlLi16ELi32ELi8ELc78ELc84ELc76ELb0ELb0E19rocblas_complex_numIfES1_PKS1_PS1_EviT_T9_T10_S5_lS7_S5_lS6_T11_S5_li,"axG",@progbits,_ZL29rocblas_internal_gemmt_kernelIlLi16ELi32ELi8ELc78ELc84ELc76ELb0ELb0E19rocblas_complex_numIfES1_PKS1_PS1_EviT_T9_T10_S5_lS7_S5_lS6_T11_S5_li,comdat
.Lfunc_end244:
	.size	_ZL29rocblas_internal_gemmt_kernelIlLi16ELi32ELi8ELc78ELc84ELc76ELb0ELb0E19rocblas_complex_numIfES1_PKS1_PS1_EviT_T9_T10_S5_lS7_S5_lS6_T11_S5_li, .Lfunc_end244-_ZL29rocblas_internal_gemmt_kernelIlLi16ELi32ELi8ELc78ELc84ELc76ELb0ELb0E19rocblas_complex_numIfES1_PKS1_PS1_EviT_T9_T10_S5_lS7_S5_lS6_T11_S5_li
                                        ; -- End function
	.set _ZL29rocblas_internal_gemmt_kernelIlLi16ELi32ELi8ELc78ELc84ELc76ELb0ELb0E19rocblas_complex_numIfES1_PKS1_PS1_EviT_T9_T10_S5_lS7_S5_lS6_T11_S5_li.num_vgpr, 61
	.set _ZL29rocblas_internal_gemmt_kernelIlLi16ELi32ELi8ELc78ELc84ELc76ELb0ELb0E19rocblas_complex_numIfES1_PKS1_PS1_EviT_T9_T10_S5_lS7_S5_lS6_T11_S5_li.num_agpr, 0
	.set _ZL29rocblas_internal_gemmt_kernelIlLi16ELi32ELi8ELc78ELc84ELc76ELb0ELb0E19rocblas_complex_numIfES1_PKS1_PS1_EviT_T9_T10_S5_lS7_S5_lS6_T11_S5_li.numbered_sgpr, 30
	.set _ZL29rocblas_internal_gemmt_kernelIlLi16ELi32ELi8ELc78ELc84ELc76ELb0ELb0E19rocblas_complex_numIfES1_PKS1_PS1_EviT_T9_T10_S5_lS7_S5_lS6_T11_S5_li.num_named_barrier, 0
	.set _ZL29rocblas_internal_gemmt_kernelIlLi16ELi32ELi8ELc78ELc84ELc76ELb0ELb0E19rocblas_complex_numIfES1_PKS1_PS1_EviT_T9_T10_S5_lS7_S5_lS6_T11_S5_li.private_seg_size, 0
	.set _ZL29rocblas_internal_gemmt_kernelIlLi16ELi32ELi8ELc78ELc84ELc76ELb0ELb0E19rocblas_complex_numIfES1_PKS1_PS1_EviT_T9_T10_S5_lS7_S5_lS6_T11_S5_li.uses_vcc, 1
	.set _ZL29rocblas_internal_gemmt_kernelIlLi16ELi32ELi8ELc78ELc84ELc76ELb0ELb0E19rocblas_complex_numIfES1_PKS1_PS1_EviT_T9_T10_S5_lS7_S5_lS6_T11_S5_li.uses_flat_scratch, 0
	.set _ZL29rocblas_internal_gemmt_kernelIlLi16ELi32ELi8ELc78ELc84ELc76ELb0ELb0E19rocblas_complex_numIfES1_PKS1_PS1_EviT_T9_T10_S5_lS7_S5_lS6_T11_S5_li.has_dyn_sized_stack, 0
	.set _ZL29rocblas_internal_gemmt_kernelIlLi16ELi32ELi8ELc78ELc84ELc76ELb0ELb0E19rocblas_complex_numIfES1_PKS1_PS1_EviT_T9_T10_S5_lS7_S5_lS6_T11_S5_li.has_recursion, 0
	.set _ZL29rocblas_internal_gemmt_kernelIlLi16ELi32ELi8ELc78ELc84ELc76ELb0ELb0E19rocblas_complex_numIfES1_PKS1_PS1_EviT_T9_T10_S5_lS7_S5_lS6_T11_S5_li.has_indirect_call, 0
	.section	.AMDGPU.csdata,"",@progbits
; Kernel info:
; codeLenInByte = 2624
; TotalNumSgprs: 32
; NumVgprs: 61
; ScratchSize: 0
; MemoryBound: 0
; FloatMode: 240
; IeeeMode: 1
; LDSByteSize: 4096 bytes/workgroup (compile time only)
; SGPRBlocks: 0
; VGPRBlocks: 7
; NumSGPRsForWavesPerEU: 32
; NumVGPRsForWavesPerEU: 61
; Occupancy: 16
; WaveLimiterHint : 0
; COMPUTE_PGM_RSRC2:SCRATCH_EN: 0
; COMPUTE_PGM_RSRC2:USER_SGPR: 6
; COMPUTE_PGM_RSRC2:TRAP_HANDLER: 0
; COMPUTE_PGM_RSRC2:TGID_X_EN: 1
; COMPUTE_PGM_RSRC2:TGID_Y_EN: 1
; COMPUTE_PGM_RSRC2:TGID_Z_EN: 1
; COMPUTE_PGM_RSRC2:TIDIG_COMP_CNT: 1
	.section	.text._ZL29rocblas_internal_gemmt_kernelIlLi16ELi32ELi8ELc78ELc67ELc76ELb0ELb1E19rocblas_complex_numIfES1_PKS1_PS1_EviT_T9_T10_S5_lS7_S5_lS6_T11_S5_li,"axG",@progbits,_ZL29rocblas_internal_gemmt_kernelIlLi16ELi32ELi8ELc78ELc67ELc76ELb0ELb1E19rocblas_complex_numIfES1_PKS1_PS1_EviT_T9_T10_S5_lS7_S5_lS6_T11_S5_li,comdat
	.globl	_ZL29rocblas_internal_gemmt_kernelIlLi16ELi32ELi8ELc78ELc67ELc76ELb0ELb1E19rocblas_complex_numIfES1_PKS1_PS1_EviT_T9_T10_S5_lS7_S5_lS6_T11_S5_li ; -- Begin function _ZL29rocblas_internal_gemmt_kernelIlLi16ELi32ELi8ELc78ELc67ELc76ELb0ELb1E19rocblas_complex_numIfES1_PKS1_PS1_EviT_T9_T10_S5_lS7_S5_lS6_T11_S5_li
	.p2align	8
	.type	_ZL29rocblas_internal_gemmt_kernelIlLi16ELi32ELi8ELc78ELc67ELc76ELb0ELb1E19rocblas_complex_numIfES1_PKS1_PS1_EviT_T9_T10_S5_lS7_S5_lS6_T11_S5_li,@function
_ZL29rocblas_internal_gemmt_kernelIlLi16ELi32ELi8ELc78ELc67ELc76ELb0ELb1E19rocblas_complex_numIfES1_PKS1_PS1_EviT_T9_T10_S5_lS7_S5_lS6_T11_S5_li: ; @_ZL29rocblas_internal_gemmt_kernelIlLi16ELi32ELi8ELc78ELc67ELc76ELb0ELb1E19rocblas_complex_numIfES1_PKS1_PS1_EviT_T9_T10_S5_lS7_S5_lS6_T11_S5_li
; %bb.0:
	s_clause 0x1
	s_load_dwordx2 s[10:11], s[4:5], 0x48
	s_load_dwordx4 s[20:23], s[4:5], 0x8
	s_waitcnt lgkmcnt(0)
	s_and_b32 s0, s11, 0x7fffffff
	v_cmp_eq_f32_e64 s1, s10, 1.0
	s_cmp_eq_u32 s0, 0
	s_mov_b32 s0, 0
	s_cselect_b32 s28, -1, 0
	s_and_b32 s1, s1, s28
	s_andn2_b32 vcc_lo, exec_lo, s1
	s_mov_b32 s1, -1
	s_cbranch_vccnz .LBB245_4
; %bb.1:
	s_cmp_lg_u64 s[20:21], 0
	s_cbranch_scc0 .LBB245_3
; %bb.2:
	v_cmp_neq_f32_e64 s0, s22, 0
	v_cmp_neq_f32_e64 s1, s23, 0
	s_or_b32 s0, s0, s1
.LBB245_3:
	s_mov_b32 s1, s0
.LBB245_4:
	s_and_b32 vcc_lo, exec_lo, s1
	s_cbranch_vccz .LBB245_34
; %bb.5:
	s_load_dword s9, s[4:5], 0x0
	v_cmp_eq_f32_e64 s0, s22, 0
	v_cmp_eq_f32_e64 s1, s23, 0
	v_cmp_lt_i64_e64 s2, s[20:21], 1
	v_mov_b32_e32 v22, 0
	v_mov_b32_e32 v23, 0
	v_mov_b32_e32 v20, 0
	s_and_b32 s0, s0, s1
	v_mov_b32_e32 v21, 0
	v_mov_b32_e32 v18, 0
	;; [unrolled: 1-line block ×5, first 2 shown]
	s_or_b32 s0, s0, s2
	s_lshl_b32 s6, s6, 5
	s_and_b32 vcc_lo, exec_lo, s0
	s_lshl_b32 s7, s7, 5
	s_cbranch_vccnz .LBB245_18
; %bb.6:
	s_clause 0x1
	s_load_dwordx4 s[24:27], s[4:5], 0x38
	s_load_dwordx8 s[12:19], s[4:5], 0x18
	v_lshl_add_u32 v3, v1, 4, v0
	v_and_b32_e32 v6, 7, v0
	v_lshlrev_b32_e32 v14, 3, v0
	v_lshl_add_u32 v15, v1, 6, 0x800
	v_mov_b32_e32 v17, 0
	v_and_b32_e32 v4, 31, v3
	v_lshrrev_b32_e32 v5, 3, v3
	v_lshlrev_b32_e32 v8, 3, v6
	v_lshrrev_b32_e32 v7, 5, v3
	v_mov_b32_e32 v16, 0
	v_or_b32_e32 v2, s6, v4
	v_lshlrev_b32_e32 v3, 3, v4
	v_add_nc_u32_e32 v4, s7, v5
	v_lshl_or_b32 v11, v5, 6, v8
	v_mov_b32_e32 v19, 0
	s_waitcnt lgkmcnt(0)
	v_cmp_gt_i32_e64 s0, s9, v2
	v_lshl_or_b32 v8, v7, 8, v3
	v_ashrrev_i32_e32 v3, 31, v2
	s_mul_i32 s1, s27, s8
	s_mul_hi_u32 s3, s26, s8
	s_mul_i32 s2, s26, s8
	s_add_i32 s3, s3, s1
	v_ashrrev_i32_e32 v5, 31, v4
	s_lshl_b64 s[2:3], s[2:3], 3
	s_mul_i32 s17, s17, s8
	s_mul_hi_u32 s1, s16, s8
	s_add_u32 s18, s18, s2
	v_cmp_le_i32_e64 s29, s9, v2
	s_mul_i32 s16, s16, s8
	s_addc_u32 s19, s19, s3
	s_add_i32 s17, s1, s17
	v_lshlrev_b64 v[2:3], 3, v[2:3]
	s_lshl_b64 s[2:3], s[16:17], 3
	v_lshlrev_b64 v[12:13], 3, v[4:5]
	s_add_u32 s1, s12, s2
	s_addc_u32 s2, s13, s3
	v_add_nc_u32_e32 v11, 0x800, v11
	v_add_co_u32 v9, vcc_lo, s1, v2
	v_add_co_ci_u32_e64 v10, null, s2, v3, vcc_lo
	v_cmp_gt_i32_e32 vcc_lo, s9, v4
	v_add_co_u32 v12, s1, s18, v12
	v_add_co_ci_u32_e64 v13, null, s19, v13, s1
	v_mov_b32_e32 v3, 0
	v_mov_b32_e32 v18, 0
	;; [unrolled: 1-line block ×6, first 2 shown]
	s_mov_b64 s[2:3], 0
	s_xor_b32 s1, vcc_lo, -1
                                        ; implicit-def: $vgpr4_vgpr5
	s_branch .LBB245_8
.LBB245_7:                              ;   in Loop: Header=BB245_8 Depth=1
	s_or_b32 exec_lo, exec_lo, s12
	ds_write_b32 v11, v24 offset:4
	s_waitcnt lgkmcnt(0)
	s_barrier
	buffer_gl0_inv
	ds_read_b128 v[24:27], v15
	ds_read2_b64 v[28:31], v14 offset1:16
	ds_read_b128 v[32:35], v15 offset:1024
	ds_read_b128 v[36:39], v15 offset:16
	;; [unrolled: 1-line block ×4, first 2 shown]
	ds_read2_b64 v[48:51], v14 offset0:32 offset1:48
	ds_read_b128 v[52:55], v15 offset:1040
	s_add_u32 s2, s2, 8
	s_addc_u32 s3, s3, 0
	v_cmp_gt_i64_e64 s12, s[20:21], s[2:3]
	s_and_b32 vcc_lo, exec_lo, s12
	s_waitcnt lgkmcnt(6)
	v_mul_f32_e32 v2, v25, v29
	v_mul_f32_e32 v56, v24, v29
	;; [unrolled: 1-line block ×4, first 2 shown]
	s_waitcnt lgkmcnt(5)
	v_mul_f32_e32 v59, v33, v29
	v_mul_f32_e32 v29, v32, v29
	;; [unrolled: 1-line block ×3, first 2 shown]
	v_fma_f32 v2, v24, v28, -v2
	v_fmac_f32_e32 v56, v25, v28
	v_fma_f32 v24, v24, v30, -v57
	v_fmac_f32_e32 v58, v25, v30
	;; [unrolled: 2-line block ×3, first 2 shown]
	v_mul_f32_e32 v31, v32, v31
	v_fma_f32 v28, v32, v30, -v60
	v_add_f32_e32 v2, v22, v2
	v_add_f32_e32 v22, v23, v56
	;; [unrolled: 1-line block ×6, first 2 shown]
	s_waitcnt lgkmcnt(1)
	v_mul_f32_e32 v32, v27, v49
	ds_read2_b64 v[18:21], v14 offset0:64 offset1:80
	v_fmac_f32_e32 v31, v33, v30
	v_add_f32_e32 v16, v16, v28
	v_mul_f32_e32 v28, v26, v49
	v_fma_f32 v30, v26, v48, -v32
	v_mul_f32_e32 v32, v27, v51
	v_add_f32_e32 v17, v17, v31
	v_mul_f32_e32 v31, v26, v51
	v_fmac_f32_e32 v28, v27, v48
	v_add_f32_e32 v2, v2, v30
	v_fma_f32 v26, v26, v50, -v32
	v_mul_f32_e32 v30, v35, v49
	v_fmac_f32_e32 v31, v27, v50
	v_add_f32_e32 v28, v22, v28
	v_mul_f32_e32 v22, v34, v49
	v_add_f32_e32 v26, v23, v26
	v_fma_f32 v23, v34, v48, -v30
	v_mul_f32_e32 v27, v35, v51
	v_add_f32_e32 v30, v24, v31
	v_fmac_f32_e32 v22, v35, v48
	v_mul_f32_e32 v31, v34, v51
	v_add_f32_e32 v32, v25, v23
	v_fma_f32 v23, v34, v50, -v27
	s_waitcnt lgkmcnt(0)
	v_mul_f32_e32 v24, v37, v19
	v_add_f32_e32 v27, v29, v22
	v_fmac_f32_e32 v31, v35, v50
	v_mul_f32_e32 v29, v36, v19
	v_add_f32_e32 v16, v16, v23
	v_fma_f32 v33, v36, v18, -v24
	v_mul_f32_e32 v34, v37, v21
	ds_read2_b64 v[22:25], v14 offset0:96 offset1:112
	v_fmac_f32_e32 v29, v37, v18
	v_add_f32_e32 v31, v17, v31
	v_add_f32_e32 v2, v2, v33
	v_mul_f32_e32 v17, v36, v21
	v_fma_f32 v33, v36, v20, -v34
	v_add_f32_e32 v28, v28, v29
	v_mul_f32_e32 v29, v53, v19
	v_mul_f32_e32 v19, v52, v19
	v_fmac_f32_e32 v17, v37, v20
	v_add_f32_e32 v26, v26, v33
	v_mul_f32_e32 v33, v53, v21
	v_mul_f32_e32 v21, v52, v21
	v_fmac_f32_e32 v19, v53, v18
	v_add_f32_e32 v30, v30, v17
	v_fma_f32 v29, v52, v18, -v29
	v_fma_f32 v17, v52, v20, -v33
	v_fmac_f32_e32 v21, v53, v20
	v_add_f32_e32 v33, v27, v19
	s_waitcnt lgkmcnt(0)
	v_mul_f32_e32 v20, v39, v23
	v_add_f32_e32 v34, v16, v17
	ds_read2_b64 v[16:19], v14 offset0:128 offset1:144
	v_add_f32_e32 v32, v32, v29
	v_mul_f32_e32 v27, v38, v23
	v_mul_f32_e32 v29, v39, v25
	v_fma_f32 v20, v38, v22, -v20
	v_add_f32_e32 v31, v31, v21
	v_mul_f32_e32 v21, v38, v25
	v_fmac_f32_e32 v27, v39, v22
	v_fma_f32 v29, v38, v24, -v29
	v_add_f32_e32 v2, v2, v20
	v_mul_f32_e32 v20, v55, v23
	v_fmac_f32_e32 v21, v39, v24
	v_add_f32_e32 v35, v28, v27
	v_add_f32_e32 v36, v26, v29
	v_mul_f32_e32 v23, v54, v23
	v_fma_f32 v20, v54, v22, -v20
	v_mul_f32_e32 v37, v55, v25
	ds_read_b128 v[26:29], v15 offset:1056
	v_add_f32_e32 v38, v30, v21
	v_fmac_f32_e32 v23, v55, v22
	v_mul_f32_e32 v25, v54, v25
	v_fma_f32 v21, v54, v24, -v37
	v_add_f32_e32 v37, v32, v20
	s_waitcnt lgkmcnt(1)
	v_mul_f32_e32 v20, v41, v17
	v_add_f32_e32 v39, v33, v23
	v_fmac_f32_e32 v25, v55, v24
	v_add_f32_e32 v24, v34, v21
	v_mul_f32_e32 v32, v41, v19
	v_fma_f32 v30, v40, v16, -v20
	ds_read2_b64 v[20:23], v14 offset0:160 offset1:176
	v_mul_f32_e32 v34, v40, v17
	v_add_f32_e32 v25, v31, v25
	v_fma_f32 v48, v40, v18, -v32
	v_mul_f32_e32 v40, v40, v19
	v_add_f32_e32 v2, v2, v30
	v_fmac_f32_e32 v34, v41, v16
	ds_read_b128 v[30:33], v15 offset:1072
	s_waitcnt lgkmcnt(2)
	v_mul_f32_e32 v49, v27, v17
	v_mul_f32_e32 v17, v26, v17
	v_fmac_f32_e32 v40, v41, v18
	v_mul_f32_e32 v41, v27, v19
	v_add_f32_e32 v34, v35, v34
	v_add_f32_e32 v35, v36, v48
	v_fma_f32 v36, v26, v16, -v49
	v_fmac_f32_e32 v17, v27, v16
	v_add_f32_e32 v38, v38, v40
	v_mul_f32_e32 v40, v26, v19
	v_fma_f32 v16, v26, v18, -v41
	v_add_f32_e32 v36, v37, v36
	v_add_f32_e32 v26, v39, v17
	s_waitcnt lgkmcnt(1)
	v_mul_f32_e32 v37, v43, v21
	v_fmac_f32_e32 v40, v27, v18
	v_add_f32_e32 v24, v24, v16
	ds_read2_b64 v[16:19], v14 offset0:192 offset1:208
	v_mul_f32_e32 v27, v42, v21
	v_fma_f32 v37, v42, v20, -v37
	v_mul_f32_e32 v39, v43, v23
	v_add_f32_e32 v40, v25, v40
	v_mul_f32_e32 v25, v42, v23
	v_fmac_f32_e32 v27, v43, v20
	v_add_f32_e32 v2, v2, v37
	v_fma_f32 v37, v42, v22, -v39
	v_fmac_f32_e32 v25, v43, v22
	v_add_f32_e32 v34, v34, v27
	v_mul_f32_e32 v27, v29, v21
	v_mul_f32_e32 v21, v28, v21
	v_add_f32_e32 v35, v35, v37
	v_mul_f32_e32 v37, v29, v23
	v_add_f32_e32 v38, v38, v25
	v_fma_f32 v27, v28, v20, -v27
	v_fmac_f32_e32 v21, v29, v20
	v_mul_f32_e32 v20, v28, v23
	v_fma_f32 v23, v28, v22, -v37
	s_waitcnt lgkmcnt(0)
	v_mul_f32_e32 v25, v45, v17
	v_add_f32_e32 v28, v36, v27
	v_add_f32_e32 v21, v26, v21
	v_fmac_f32_e32 v20, v29, v22
	v_add_f32_e32 v22, v24, v23
	v_fma_f32 v29, v44, v16, -v25
	ds_read2_b64 v[24:27], v14 offset0:224 offset1:240
	v_mul_f32_e32 v23, v44, v17
	v_mul_f32_e32 v37, v31, v17
	v_mul_f32_e32 v17, v30, v17
	v_mul_f32_e32 v36, v45, v19
	v_add_f32_e32 v2, v2, v29
	v_fmac_f32_e32 v23, v45, v16
	v_mul_f32_e32 v29, v44, v19
	v_fmac_f32_e32 v17, v31, v16
	v_fma_f32 v36, v44, v18, -v36
	v_add_f32_e32 v20, v40, v20
	v_add_f32_e32 v23, v34, v23
	v_fma_f32 v34, v30, v16, -v37
	v_mul_f32_e32 v16, v31, v19
	v_mul_f32_e32 v19, v30, v19
	v_fmac_f32_e32 v29, v45, v18
	v_add_f32_e32 v17, v21, v17
	v_add_f32_e32 v35, v35, v36
	v_fma_f32 v16, v30, v18, -v16
	v_fmac_f32_e32 v19, v31, v18
	s_waitcnt lgkmcnt(0)
	v_mul_f32_e32 v21, v47, v25
	v_mul_f32_e32 v18, v47, v27
	v_add_f32_e32 v28, v28, v34
	v_mul_f32_e32 v30, v46, v25
	v_add_f32_e32 v16, v22, v16
	v_fma_f32 v21, v46, v24, -v21
	v_fma_f32 v18, v46, v26, -v18
	v_mul_f32_e32 v31, v46, v27
	v_add_f32_e32 v34, v20, v19
	v_mul_f32_e32 v19, v32, v25
	v_add_f32_e32 v22, v2, v21
	v_add_f32_e32 v20, v35, v18
	v_mul_f32_e32 v2, v33, v25
	v_mul_f32_e32 v18, v33, v27
	;; [unrolled: 1-line block ×3, first 2 shown]
	v_add_f32_e32 v29, v38, v29
	v_fmac_f32_e32 v30, v47, v24
	v_fmac_f32_e32 v31, v47, v26
	v_fma_f32 v2, v32, v24, -v2
	v_fmac_f32_e32 v19, v33, v24
	v_fma_f32 v24, v32, v26, -v18
	v_fmac_f32_e32 v25, v33, v26
	v_add_f32_e32 v23, v23, v30
	v_add_f32_e32 v21, v29, v31
	;; [unrolled: 1-line block ×6, first 2 shown]
	s_barrier
	buffer_gl0_inv
	s_cbranch_vccz .LBB245_18
.LBB245_8:                              ; =>This Inner Loop Header: Depth=1
	s_mov_b32 s16, s29
	s_mov_b32 s12, 0
	s_and_saveexec_b32 s13, s0
	s_cbranch_execnz .LBB245_16
; %bb.9:                                ;   in Loop: Header=BB245_8 Depth=1
	s_or_b32 exec_lo, exec_lo, s13
	s_and_saveexec_b32 s13, s16
	s_xor_b32 s13, exec_lo, s13
	s_cbranch_execnz .LBB245_17
.LBB245_10:                             ;   in Loop: Header=BB245_8 Depth=1
	s_or_b32 exec_lo, exec_lo, s13
	s_and_saveexec_b32 s13, s12
	s_cbranch_execz .LBB245_12
.LBB245_11:                             ;   in Loop: Header=BB245_8 Depth=1
	v_mul_lo_u32 v2, s15, v4
	v_mul_lo_u32 v26, s14, v5
	v_mad_u64_u32 v[24:25], null, s14, v4, 0
	v_add3_u32 v25, v25, v26, v2
	v_lshlrev_b64 v[24:25], 3, v[24:25]
	v_add_co_u32 v24, vcc_lo, v9, v24
	v_add_co_ci_u32_e64 v25, null, v10, v25, vcc_lo
	global_load_dwordx2 v[24:25], v[24:25], off
	s_waitcnt vmcnt(0)
	ds_write_b64 v8, v[24:25]
.LBB245_12:                             ;   in Loop: Header=BB245_8 Depth=1
	s_or_b32 exec_lo, exec_lo, s13
	v_add_nc_u32_e32 v2, s2, v6
	v_cmp_le_u64_e32 vcc_lo, s[20:21], v[2:3]
	s_or_b32 s12, vcc_lo, s1
	s_and_saveexec_b32 s13, s12
	s_xor_b32 s12, exec_lo, s13
; %bb.13:                               ;   in Loop: Header=BB245_8 Depth=1
	ds_write_b32 v11, v3
; %bb.14:                               ;   in Loop: Header=BB245_8 Depth=1
	s_or_saveexec_b32 s12, s12
	v_mov_b32_e32 v24, 0
	s_xor_b32 exec_lo, exec_lo, s12
	s_cbranch_execz .LBB245_7
; %bb.15:                               ;   in Loop: Header=BB245_8 Depth=1
	v_mad_u64_u32 v[24:25], null, s24, v2, 0
	v_mad_u64_u32 v[25:26], null, s25, v2, v[25:26]
	v_lshlrev_b64 v[24:25], 3, v[24:25]
	v_add_co_u32 v24, vcc_lo, v12, v24
	v_add_co_ci_u32_e64 v25, null, v13, v25, vcc_lo
	global_load_dwordx2 v[25:26], v[24:25], off
	s_waitcnt vmcnt(0)
	v_xor_b32_e32 v24, 0x80000000, v26
	ds_write_b32 v11, v25
	s_branch .LBB245_7
.LBB245_16:                             ;   in Loop: Header=BB245_8 Depth=1
	v_add_nc_u32_e32 v2, s2, v7
	v_mov_b32_e32 v5, v3
	s_andn2_b32 s16, s29, exec_lo
	s_mov_b32 s12, exec_lo
	v_cmp_le_u64_e32 vcc_lo, s[20:21], v[2:3]
	v_mov_b32_e32 v4, v2
	s_and_b32 s17, vcc_lo, exec_lo
	s_or_b32 s16, s16, s17
	s_or_b32 exec_lo, exec_lo, s13
	s_and_saveexec_b32 s13, s16
	s_xor_b32 s13, exec_lo, s13
	s_cbranch_execz .LBB245_10
.LBB245_17:                             ;   in Loop: Header=BB245_8 Depth=1
	v_mov_b32_e32 v2, v3
	s_andn2_b32 s12, s12, exec_lo
	ds_write_b64 v8, v[2:3]
	s_or_b32 exec_lo, exec_lo, s13
	s_and_saveexec_b32 s13, s12
	s_cbranch_execnz .LBB245_11
	s_branch .LBB245_12
.LBB245_18:
	s_clause 0x1
	s_load_dwordx4 s[12:15], s[4:5], 0x50
	s_load_dwordx2 s[0:1], s[4:5], 0x60
	v_add_nc_u32_e32 v9, s7, v1
	v_add_nc_u32_e32 v0, s6, v0
	v_cmp_neq_f32_e64 s6, s10, 0
	v_ashrrev_i32_e32 v1, 31, v9
	v_cmp_le_i32_e32 vcc_lo, v9, v0
	s_waitcnt lgkmcnt(0)
	v_mul_lo_u32 v3, s14, v1
	v_mul_lo_u32 v4, s15, v9
	v_mad_u64_u32 v[1:2], null, s14, v9, 0
	s_mul_i32 s1, s1, s8
	s_mul_hi_u32 s3, s0, s8
	s_mul_i32 s2, s0, s8
	s_add_i32 s3, s3, s1
	v_cmp_gt_i32_e64 s0, s9, v0
	s_lshl_b64 s[4:5], s[2:3], 3
	v_add3_u32 v2, v2, v3, v4
	s_add_u32 s3, s12, s4
	s_addc_u32 s4, s13, s5
	s_xor_b32 s2, s28, -1
	s_and_b32 s5, vcc_lo, s0
	v_lshlrev_b64 v[2:3], 3, v[1:2]
	s_or_b32 s2, s6, s2
	v_ashrrev_i32_e32 v1, 31, v0
	v_cndmask_b32_e64 v8, 0, 1, s2
	v_add_co_u32 v6, s1, s3, v2
	v_add_co_ci_u32_e64 v7, null, s4, v3, s1
	s_and_saveexec_b32 s1, s5
	s_cbranch_execz .LBB245_22
; %bb.19:
	v_lshlrev_b64 v[4:5], 3, v[0:1]
	v_mul_f32_e32 v2, s23, v23
	v_mul_f32_e32 v3, s22, v23
	v_fma_f32 v2, v22, s22, -v2
	v_add_co_u32 v4, vcc_lo, v6, v4
	v_fmac_f32_e32 v3, s23, v22
	v_add_co_ci_u32_e64 v5, null, v7, v5, vcc_lo
	s_andn2_b32 vcc_lo, exec_lo, s2
	s_cbranch_vccnz .LBB245_21
; %bb.20:
	global_load_dwordx2 v[10:11], v[4:5], off
	s_waitcnt vmcnt(0)
	v_mul_f32_e32 v12, s11, v11
	v_mul_f32_e32 v11, s10, v11
	v_fma_f32 v12, v10, s10, -v12
	v_fmac_f32_e32 v11, s11, v10
	v_add_f32_e32 v2, v2, v12
	v_add_f32_e32 v3, v3, v11
.LBB245_21:
	global_store_dwordx2 v[4:5], v[2:3], off
.LBB245_22:
	s_or_b32 exec_lo, exec_lo, s1
	v_add_nc_u32_e32 v2, 16, v0
	v_cmp_le_i32_e32 vcc_lo, v9, v2
	v_cmp_gt_i32_e64 s1, s9, v2
	v_ashrrev_i32_e32 v3, 31, v2
	s_and_b32 s2, vcc_lo, s1
	s_and_saveexec_b32 s5, s2
	s_cbranch_execz .LBB245_26
; %bb.23:
	v_lshlrev_b64 v[10:11], 3, v[2:3]
	v_mul_f32_e32 v4, s23, v21
	v_mul_f32_e32 v5, s22, v21
	v_cmp_ne_u32_e32 vcc_lo, 1, v8
	v_fma_f32 v4, v20, s22, -v4
	v_add_co_u32 v6, s2, v6, v10
	v_fmac_f32_e32 v5, s23, v20
	v_add_co_ci_u32_e64 v7, null, v7, v11, s2
	s_cbranch_vccnz .LBB245_25
; %bb.24:
	global_load_dwordx2 v[10:11], v[6:7], off
	s_waitcnt vmcnt(0)
	v_mul_f32_e32 v12, s11, v11
	v_mul_f32_e32 v11, s10, v11
	v_fma_f32 v12, v10, s10, -v12
	v_fmac_f32_e32 v11, s11, v10
	v_add_f32_e32 v4, v4, v12
	v_add_f32_e32 v5, v5, v11
.LBB245_25:
	global_store_dwordx2 v[6:7], v[4:5], off
.LBB245_26:
	s_or_b32 exec_lo, exec_lo, s5
	v_add_nc_u32_e32 v9, 16, v9
	v_ashrrev_i32_e32 v6, 31, v9
	v_mul_lo_u32 v7, s15, v9
	v_mad_u64_u32 v[4:5], null, s14, v9, 0
	v_cmp_le_i32_e32 vcc_lo, v9, v0
	v_mul_lo_u32 v6, s14, v6
	s_and_b32 s0, vcc_lo, s0
	v_add3_u32 v5, v5, v6, v7
	v_lshlrev_b64 v[4:5], 3, v[4:5]
	v_add_co_u32 v6, s2, s3, v4
	v_add_co_ci_u32_e64 v7, null, s4, v5, s2
	s_and_saveexec_b32 s2, s0
	s_cbranch_execz .LBB245_30
; %bb.27:
	v_lshlrev_b64 v[0:1], 3, v[0:1]
	v_mul_f32_e32 v4, s23, v19
	v_mul_f32_e32 v5, s22, v19
	v_cmp_ne_u32_e32 vcc_lo, 1, v8
	v_fma_f32 v4, v18, s22, -v4
	v_add_co_u32 v0, s0, v6, v0
	v_fmac_f32_e32 v5, s23, v18
	v_add_co_ci_u32_e64 v1, null, v7, v1, s0
	s_cbranch_vccnz .LBB245_29
; %bb.28:
	global_load_dwordx2 v[10:11], v[0:1], off
	s_waitcnt vmcnt(0)
	v_mul_f32_e32 v12, s11, v11
	v_mul_f32_e32 v11, s10, v11
	v_fma_f32 v12, v10, s10, -v12
	v_fmac_f32_e32 v11, s11, v10
	v_add_f32_e32 v4, v4, v12
	v_add_f32_e32 v5, v5, v11
.LBB245_29:
	global_store_dwordx2 v[0:1], v[4:5], off
.LBB245_30:
	s_or_b32 exec_lo, exec_lo, s2
	v_cmp_le_i32_e32 vcc_lo, v9, v2
	s_and_b32 s0, vcc_lo, s1
	s_and_saveexec_b32 s1, s0
	s_cbranch_execz .LBB245_34
; %bb.31:
	v_lshlrev_b64 v[2:3], 3, v[2:3]
	v_mul_f32_e32 v0, s23, v17
	v_mul_f32_e32 v1, s22, v17
	v_cmp_ne_u32_e32 vcc_lo, 1, v8
	v_fma_f32 v0, v16, s22, -v0
	v_add_co_u32 v2, s0, v6, v2
	v_fmac_f32_e32 v1, s23, v16
	v_add_co_ci_u32_e64 v3, null, v7, v3, s0
	s_cbranch_vccnz .LBB245_33
; %bb.32:
	global_load_dwordx2 v[4:5], v[2:3], off
	s_waitcnt vmcnt(0)
	v_mul_f32_e32 v6, s11, v5
	v_mul_f32_e32 v5, s10, v5
	v_fma_f32 v6, v4, s10, -v6
	v_fmac_f32_e32 v5, s11, v4
	v_add_f32_e32 v0, v0, v6
	v_add_f32_e32 v1, v1, v5
.LBB245_33:
	global_store_dwordx2 v[2:3], v[0:1], off
.LBB245_34:
	s_endpgm
	.section	.rodata,"a",@progbits
	.p2align	6, 0x0
	.amdhsa_kernel _ZL29rocblas_internal_gemmt_kernelIlLi16ELi32ELi8ELc78ELc67ELc76ELb0ELb1E19rocblas_complex_numIfES1_PKS1_PS1_EviT_T9_T10_S5_lS7_S5_lS6_T11_S5_li
		.amdhsa_group_segment_fixed_size 4096
		.amdhsa_private_segment_fixed_size 0
		.amdhsa_kernarg_size 108
		.amdhsa_user_sgpr_count 6
		.amdhsa_user_sgpr_private_segment_buffer 1
		.amdhsa_user_sgpr_dispatch_ptr 0
		.amdhsa_user_sgpr_queue_ptr 0
		.amdhsa_user_sgpr_kernarg_segment_ptr 1
		.amdhsa_user_sgpr_dispatch_id 0
		.amdhsa_user_sgpr_flat_scratch_init 0
		.amdhsa_user_sgpr_private_segment_size 0
		.amdhsa_wavefront_size32 1
		.amdhsa_uses_dynamic_stack 0
		.amdhsa_system_sgpr_private_segment_wavefront_offset 0
		.amdhsa_system_sgpr_workgroup_id_x 1
		.amdhsa_system_sgpr_workgroup_id_y 1
		.amdhsa_system_sgpr_workgroup_id_z 1
		.amdhsa_system_sgpr_workgroup_info 0
		.amdhsa_system_vgpr_workitem_id 1
		.amdhsa_next_free_vgpr 61
		.amdhsa_next_free_sgpr 30
		.amdhsa_reserve_vcc 1
		.amdhsa_reserve_flat_scratch 0
		.amdhsa_float_round_mode_32 0
		.amdhsa_float_round_mode_16_64 0
		.amdhsa_float_denorm_mode_32 3
		.amdhsa_float_denorm_mode_16_64 3
		.amdhsa_dx10_clamp 1
		.amdhsa_ieee_mode 1
		.amdhsa_fp16_overflow 0
		.amdhsa_workgroup_processor_mode 1
		.amdhsa_memory_ordered 1
		.amdhsa_forward_progress 1
		.amdhsa_shared_vgpr_count 0
		.amdhsa_exception_fp_ieee_invalid_op 0
		.amdhsa_exception_fp_denorm_src 0
		.amdhsa_exception_fp_ieee_div_zero 0
		.amdhsa_exception_fp_ieee_overflow 0
		.amdhsa_exception_fp_ieee_underflow 0
		.amdhsa_exception_fp_ieee_inexact 0
		.amdhsa_exception_int_div_zero 0
	.end_amdhsa_kernel
	.section	.text._ZL29rocblas_internal_gemmt_kernelIlLi16ELi32ELi8ELc78ELc67ELc76ELb0ELb1E19rocblas_complex_numIfES1_PKS1_PS1_EviT_T9_T10_S5_lS7_S5_lS6_T11_S5_li,"axG",@progbits,_ZL29rocblas_internal_gemmt_kernelIlLi16ELi32ELi8ELc78ELc67ELc76ELb0ELb1E19rocblas_complex_numIfES1_PKS1_PS1_EviT_T9_T10_S5_lS7_S5_lS6_T11_S5_li,comdat
.Lfunc_end245:
	.size	_ZL29rocblas_internal_gemmt_kernelIlLi16ELi32ELi8ELc78ELc67ELc76ELb0ELb1E19rocblas_complex_numIfES1_PKS1_PS1_EviT_T9_T10_S5_lS7_S5_lS6_T11_S5_li, .Lfunc_end245-_ZL29rocblas_internal_gemmt_kernelIlLi16ELi32ELi8ELc78ELc67ELc76ELb0ELb1E19rocblas_complex_numIfES1_PKS1_PS1_EviT_T9_T10_S5_lS7_S5_lS6_T11_S5_li
                                        ; -- End function
	.set _ZL29rocblas_internal_gemmt_kernelIlLi16ELi32ELi8ELc78ELc67ELc76ELb0ELb1E19rocblas_complex_numIfES1_PKS1_PS1_EviT_T9_T10_S5_lS7_S5_lS6_T11_S5_li.num_vgpr, 61
	.set _ZL29rocblas_internal_gemmt_kernelIlLi16ELi32ELi8ELc78ELc67ELc76ELb0ELb1E19rocblas_complex_numIfES1_PKS1_PS1_EviT_T9_T10_S5_lS7_S5_lS6_T11_S5_li.num_agpr, 0
	.set _ZL29rocblas_internal_gemmt_kernelIlLi16ELi32ELi8ELc78ELc67ELc76ELb0ELb1E19rocblas_complex_numIfES1_PKS1_PS1_EviT_T9_T10_S5_lS7_S5_lS6_T11_S5_li.numbered_sgpr, 30
	.set _ZL29rocblas_internal_gemmt_kernelIlLi16ELi32ELi8ELc78ELc67ELc76ELb0ELb1E19rocblas_complex_numIfES1_PKS1_PS1_EviT_T9_T10_S5_lS7_S5_lS6_T11_S5_li.num_named_barrier, 0
	.set _ZL29rocblas_internal_gemmt_kernelIlLi16ELi32ELi8ELc78ELc67ELc76ELb0ELb1E19rocblas_complex_numIfES1_PKS1_PS1_EviT_T9_T10_S5_lS7_S5_lS6_T11_S5_li.private_seg_size, 0
	.set _ZL29rocblas_internal_gemmt_kernelIlLi16ELi32ELi8ELc78ELc67ELc76ELb0ELb1E19rocblas_complex_numIfES1_PKS1_PS1_EviT_T9_T10_S5_lS7_S5_lS6_T11_S5_li.uses_vcc, 1
	.set _ZL29rocblas_internal_gemmt_kernelIlLi16ELi32ELi8ELc78ELc67ELc76ELb0ELb1E19rocblas_complex_numIfES1_PKS1_PS1_EviT_T9_T10_S5_lS7_S5_lS6_T11_S5_li.uses_flat_scratch, 0
	.set _ZL29rocblas_internal_gemmt_kernelIlLi16ELi32ELi8ELc78ELc67ELc76ELb0ELb1E19rocblas_complex_numIfES1_PKS1_PS1_EviT_T9_T10_S5_lS7_S5_lS6_T11_S5_li.has_dyn_sized_stack, 0
	.set _ZL29rocblas_internal_gemmt_kernelIlLi16ELi32ELi8ELc78ELc67ELc76ELb0ELb1E19rocblas_complex_numIfES1_PKS1_PS1_EviT_T9_T10_S5_lS7_S5_lS6_T11_S5_li.has_recursion, 0
	.set _ZL29rocblas_internal_gemmt_kernelIlLi16ELi32ELi8ELc78ELc67ELc76ELb0ELb1E19rocblas_complex_numIfES1_PKS1_PS1_EviT_T9_T10_S5_lS7_S5_lS6_T11_S5_li.has_indirect_call, 0
	.section	.AMDGPU.csdata,"",@progbits
; Kernel info:
; codeLenInByte = 2644
; TotalNumSgprs: 32
; NumVgprs: 61
; ScratchSize: 0
; MemoryBound: 0
; FloatMode: 240
; IeeeMode: 1
; LDSByteSize: 4096 bytes/workgroup (compile time only)
; SGPRBlocks: 0
; VGPRBlocks: 7
; NumSGPRsForWavesPerEU: 32
; NumVGPRsForWavesPerEU: 61
; Occupancy: 16
; WaveLimiterHint : 0
; COMPUTE_PGM_RSRC2:SCRATCH_EN: 0
; COMPUTE_PGM_RSRC2:USER_SGPR: 6
; COMPUTE_PGM_RSRC2:TRAP_HANDLER: 0
; COMPUTE_PGM_RSRC2:TGID_X_EN: 1
; COMPUTE_PGM_RSRC2:TGID_Y_EN: 1
; COMPUTE_PGM_RSRC2:TGID_Z_EN: 1
; COMPUTE_PGM_RSRC2:TIDIG_COMP_CNT: 1
	.section	.text._ZL29rocblas_internal_gemmt_kernelIlLi16ELi32ELi8ELc84ELc78ELc76ELb0ELb0E19rocblas_complex_numIfES1_PKS1_PS1_EviT_T9_T10_S5_lS7_S5_lS6_T11_S5_li,"axG",@progbits,_ZL29rocblas_internal_gemmt_kernelIlLi16ELi32ELi8ELc84ELc78ELc76ELb0ELb0E19rocblas_complex_numIfES1_PKS1_PS1_EviT_T9_T10_S5_lS7_S5_lS6_T11_S5_li,comdat
	.globl	_ZL29rocblas_internal_gemmt_kernelIlLi16ELi32ELi8ELc84ELc78ELc76ELb0ELb0E19rocblas_complex_numIfES1_PKS1_PS1_EviT_T9_T10_S5_lS7_S5_lS6_T11_S5_li ; -- Begin function _ZL29rocblas_internal_gemmt_kernelIlLi16ELi32ELi8ELc84ELc78ELc76ELb0ELb0E19rocblas_complex_numIfES1_PKS1_PS1_EviT_T9_T10_S5_lS7_S5_lS6_T11_S5_li
	.p2align	8
	.type	_ZL29rocblas_internal_gemmt_kernelIlLi16ELi32ELi8ELc84ELc78ELc76ELb0ELb0E19rocblas_complex_numIfES1_PKS1_PS1_EviT_T9_T10_S5_lS7_S5_lS6_T11_S5_li,@function
_ZL29rocblas_internal_gemmt_kernelIlLi16ELi32ELi8ELc84ELc78ELc76ELb0ELb0E19rocblas_complex_numIfES1_PKS1_PS1_EviT_T9_T10_S5_lS7_S5_lS6_T11_S5_li: ; @_ZL29rocblas_internal_gemmt_kernelIlLi16ELi32ELi8ELc84ELc78ELc76ELb0ELb0E19rocblas_complex_numIfES1_PKS1_PS1_EviT_T9_T10_S5_lS7_S5_lS6_T11_S5_li
; %bb.0:
	s_clause 0x1
	s_load_dwordx2 s[10:11], s[4:5], 0x48
	s_load_dwordx4 s[20:23], s[4:5], 0x8
	s_waitcnt lgkmcnt(0)
	s_and_b32 s0, s11, 0x7fffffff
	v_cmp_eq_f32_e64 s1, s10, 1.0
	s_cmp_eq_u32 s0, 0
	s_mov_b32 s0, 0
	s_cselect_b32 s24, -1, 0
	s_and_b32 s1, s1, s24
	s_andn2_b32 vcc_lo, exec_lo, s1
	s_mov_b32 s1, -1
	s_cbranch_vccnz .LBB246_4
; %bb.1:
	s_cmp_lg_u64 s[20:21], 0
	s_cbranch_scc0 .LBB246_3
; %bb.2:
	v_cmp_neq_f32_e64 s0, s22, 0
	v_cmp_neq_f32_e64 s1, s23, 0
	s_or_b32 s0, s0, s1
.LBB246_3:
	s_mov_b32 s1, s0
.LBB246_4:
	s_and_b32 vcc_lo, exec_lo, s1
	s_cbranch_vccz .LBB246_34
; %bb.5:
	s_load_dword s9, s[4:5], 0x0
	v_cmp_eq_f32_e64 s0, s22, 0
	v_cmp_eq_f32_e64 s1, s23, 0
	v_cmp_lt_i64_e64 s2, s[20:21], 1
	v_mov_b32_e32 v22, 0
	v_mov_b32_e32 v23, 0
	;; [unrolled: 1-line block ×3, first 2 shown]
	s_and_b32 s0, s0, s1
	v_mov_b32_e32 v21, 0
	v_mov_b32_e32 v18, 0
	;; [unrolled: 1-line block ×5, first 2 shown]
	s_or_b32 s0, s0, s2
	s_lshl_b32 s6, s6, 5
	s_and_b32 vcc_lo, exec_lo, s0
	s_lshl_b32 s7, s7, 5
	s_cbranch_vccnz .LBB246_18
; %bb.6:
	s_clause 0x1
	s_load_dwordx4 s[0:3], s[4:5], 0x38
	s_load_dwordx8 s[12:19], s[4:5], 0x18
	v_lshl_add_u32 v7, v1, 4, v0
	v_and_b32_e32 v6, 7, v0
	v_mov_b32_e32 v17, 0
	v_mov_b32_e32 v16, 0
	;; [unrolled: 1-line block ×3, first 2 shown]
	v_lshrrev_b32_e32 v8, 3, v7
	v_and_b32_e32 v9, 31, v7
	v_lshlrev_b32_e32 v15, 3, v6
	v_lshrrev_b32_e32 v7, 5, v7
	v_mov_b32_e32 v18, 0
	v_add_nc_u32_e32 v10, s7, v8
	v_or_b32_e32 v11, s6, v9
	v_lshlrev_b32_e32 v9, 3, v9
	v_mov_b32_e32 v21, 0
	v_mov_b32_e32 v20, 0
	v_ashrrev_i32_e32 v4, 31, v10
	s_waitcnt lgkmcnt(0)
	v_cmp_gt_i32_e32 vcc_lo, s9, v10
	v_mov_b32_e32 v23, 0
	s_mul_i32 s3, s3, s8
	s_mul_hi_u32 s25, s2, s8
	s_mul_i32 s2, s2, s8
	s_add_i32 s3, s25, s3
	s_mul_i32 s17, s17, s8
	s_lshl_b64 s[2:3], s[2:3], 3
	s_mul_hi_u32 s26, s16, s8
	v_mul_lo_u32 v12, s15, v11
	s_add_u32 s15, s18, s2
	s_mul_i32 s16, s16, s8
	s_addc_u32 s18, s19, s3
	s_add_i32 s17, s26, s17
	v_mad_u64_u32 v[2:3], null, s14, v11, 0
	s_lshl_b64 s[2:3], s[16:17], 3
	v_mul_lo_u32 v13, s0, v4
	v_mul_lo_u32 v14, s1, v10
	v_mad_u64_u32 v[4:5], null, s0, v10, 0
	s_add_u32 s1, s12, s2
	s_addc_u32 s2, s13, s3
	s_ashr_i32 s0, s6, 31
	v_cmp_le_i32_e64 s12, s9, v11
	s_mul_i32 s0, s14, s0
	v_mov_b32_e32 v22, 0
	v_add3_u32 v3, v3, s0, v12
	v_add3_u32 v5, v5, v13, v14
	v_lshl_or_b32 v12, v8, 6, v15
	v_lshl_or_b32 v8, v7, 8, v9
	v_cmp_gt_i32_e64 s0, s9, v11
	v_lshlrev_b64 v[2:3], 3, v[2:3]
	v_lshlrev_b64 v[4:5], 3, v[4:5]
	v_add_nc_u32_e32 v11, 0x800, v12
	v_lshlrev_b32_e32 v14, 3, v0
	v_lshl_add_u32 v15, v1, 6, 0x800
	v_add_co_u32 v9, s1, s1, v2
	v_add_co_ci_u32_e64 v10, null, s2, v3, s1
	v_add_co_u32 v12, s1, s15, v4
	v_add_co_ci_u32_e64 v13, null, s18, v5, s1
	v_mov_b32_e32 v3, 0
	s_mov_b64 s[2:3], 0
	s_xor_b32 s1, vcc_lo, -1
                                        ; implicit-def: $vgpr4_vgpr5
	s_branch .LBB246_8
.LBB246_7:                              ;   in Loop: Header=BB246_8 Depth=1
	s_or_b32 exec_lo, exec_lo, s13
	s_waitcnt lgkmcnt(0)
	s_barrier
	buffer_gl0_inv
	ds_read_b128 v[24:27], v15
	ds_read2_b64 v[28:31], v14 offset1:16
	ds_read_b128 v[32:35], v15 offset:1024
	ds_read_b128 v[36:39], v15 offset:16
	ds_read_b128 v[40:43], v15 offset:32
	ds_read_b128 v[44:47], v15 offset:48
	ds_read2_b64 v[48:51], v14 offset0:32 offset1:48
	ds_read_b128 v[52:55], v15 offset:1040
	s_add_u32 s2, s2, 8
	s_addc_u32 s3, s3, 0
	v_cmp_gt_i64_e64 s13, s[20:21], s[2:3]
	s_and_b32 vcc_lo, exec_lo, s13
	s_waitcnt lgkmcnt(6)
	v_mul_f32_e32 v2, v25, v29
	v_mul_f32_e32 v56, v24, v29
	;; [unrolled: 1-line block ×4, first 2 shown]
	s_waitcnt lgkmcnt(5)
	v_mul_f32_e32 v59, v33, v29
	v_mul_f32_e32 v29, v32, v29
	;; [unrolled: 1-line block ×3, first 2 shown]
	v_fma_f32 v2, v24, v28, -v2
	v_fmac_f32_e32 v56, v25, v28
	v_fma_f32 v24, v24, v30, -v57
	v_fmac_f32_e32 v58, v25, v30
	;; [unrolled: 2-line block ×3, first 2 shown]
	v_mul_f32_e32 v31, v32, v31
	v_fma_f32 v28, v32, v30, -v60
	v_add_f32_e32 v2, v22, v2
	v_add_f32_e32 v22, v23, v56
	;; [unrolled: 1-line block ×6, first 2 shown]
	s_waitcnt lgkmcnt(1)
	v_mul_f32_e32 v32, v27, v49
	ds_read2_b64 v[18:21], v14 offset0:64 offset1:80
	v_fmac_f32_e32 v31, v33, v30
	v_add_f32_e32 v16, v16, v28
	v_mul_f32_e32 v28, v26, v49
	v_fma_f32 v30, v26, v48, -v32
	v_mul_f32_e32 v32, v27, v51
	v_add_f32_e32 v17, v17, v31
	v_mul_f32_e32 v31, v26, v51
	v_fmac_f32_e32 v28, v27, v48
	v_add_f32_e32 v2, v2, v30
	v_fma_f32 v26, v26, v50, -v32
	v_mul_f32_e32 v30, v35, v49
	v_fmac_f32_e32 v31, v27, v50
	v_add_f32_e32 v28, v22, v28
	v_mul_f32_e32 v22, v34, v49
	v_add_f32_e32 v26, v23, v26
	v_fma_f32 v23, v34, v48, -v30
	v_mul_f32_e32 v27, v35, v51
	v_add_f32_e32 v30, v24, v31
	v_fmac_f32_e32 v22, v35, v48
	v_mul_f32_e32 v31, v34, v51
	v_add_f32_e32 v32, v25, v23
	v_fma_f32 v23, v34, v50, -v27
	s_waitcnt lgkmcnt(0)
	v_mul_f32_e32 v24, v37, v19
	v_add_f32_e32 v27, v29, v22
	v_fmac_f32_e32 v31, v35, v50
	v_mul_f32_e32 v29, v36, v19
	v_add_f32_e32 v16, v16, v23
	v_fma_f32 v33, v36, v18, -v24
	v_mul_f32_e32 v34, v37, v21
	ds_read2_b64 v[22:25], v14 offset0:96 offset1:112
	v_fmac_f32_e32 v29, v37, v18
	v_add_f32_e32 v31, v17, v31
	v_add_f32_e32 v2, v2, v33
	v_mul_f32_e32 v17, v36, v21
	v_fma_f32 v33, v36, v20, -v34
	v_add_f32_e32 v28, v28, v29
	v_mul_f32_e32 v29, v53, v19
	v_mul_f32_e32 v19, v52, v19
	v_fmac_f32_e32 v17, v37, v20
	v_add_f32_e32 v26, v26, v33
	v_mul_f32_e32 v33, v53, v21
	v_mul_f32_e32 v21, v52, v21
	v_fmac_f32_e32 v19, v53, v18
	v_add_f32_e32 v30, v30, v17
	v_fma_f32 v29, v52, v18, -v29
	v_fma_f32 v17, v52, v20, -v33
	v_fmac_f32_e32 v21, v53, v20
	v_add_f32_e32 v33, v27, v19
	s_waitcnt lgkmcnt(0)
	v_mul_f32_e32 v20, v39, v23
	v_add_f32_e32 v34, v16, v17
	ds_read2_b64 v[16:19], v14 offset0:128 offset1:144
	v_add_f32_e32 v32, v32, v29
	v_mul_f32_e32 v27, v38, v23
	v_mul_f32_e32 v29, v39, v25
	v_fma_f32 v20, v38, v22, -v20
	v_add_f32_e32 v31, v31, v21
	v_mul_f32_e32 v21, v38, v25
	v_fmac_f32_e32 v27, v39, v22
	v_fma_f32 v29, v38, v24, -v29
	v_add_f32_e32 v2, v2, v20
	v_mul_f32_e32 v20, v55, v23
	v_fmac_f32_e32 v21, v39, v24
	v_add_f32_e32 v35, v28, v27
	v_add_f32_e32 v36, v26, v29
	v_mul_f32_e32 v23, v54, v23
	v_fma_f32 v20, v54, v22, -v20
	v_mul_f32_e32 v37, v55, v25
	ds_read_b128 v[26:29], v15 offset:1056
	v_add_f32_e32 v38, v30, v21
	v_fmac_f32_e32 v23, v55, v22
	v_mul_f32_e32 v25, v54, v25
	v_fma_f32 v21, v54, v24, -v37
	v_add_f32_e32 v37, v32, v20
	s_waitcnt lgkmcnt(1)
	v_mul_f32_e32 v20, v41, v17
	v_add_f32_e32 v39, v33, v23
	v_fmac_f32_e32 v25, v55, v24
	v_add_f32_e32 v24, v34, v21
	v_mul_f32_e32 v32, v41, v19
	v_fma_f32 v30, v40, v16, -v20
	ds_read2_b64 v[20:23], v14 offset0:160 offset1:176
	v_mul_f32_e32 v34, v40, v17
	v_add_f32_e32 v25, v31, v25
	v_fma_f32 v48, v40, v18, -v32
	v_mul_f32_e32 v40, v40, v19
	v_add_f32_e32 v2, v2, v30
	v_fmac_f32_e32 v34, v41, v16
	ds_read_b128 v[30:33], v15 offset:1072
	s_waitcnt lgkmcnt(2)
	v_mul_f32_e32 v49, v27, v17
	v_mul_f32_e32 v17, v26, v17
	v_fmac_f32_e32 v40, v41, v18
	v_mul_f32_e32 v41, v27, v19
	v_add_f32_e32 v34, v35, v34
	v_add_f32_e32 v35, v36, v48
	v_fma_f32 v36, v26, v16, -v49
	v_fmac_f32_e32 v17, v27, v16
	v_add_f32_e32 v38, v38, v40
	v_mul_f32_e32 v40, v26, v19
	v_fma_f32 v16, v26, v18, -v41
	v_add_f32_e32 v36, v37, v36
	v_add_f32_e32 v26, v39, v17
	s_waitcnt lgkmcnt(1)
	v_mul_f32_e32 v37, v43, v21
	v_fmac_f32_e32 v40, v27, v18
	v_add_f32_e32 v24, v24, v16
	ds_read2_b64 v[16:19], v14 offset0:192 offset1:208
	v_mul_f32_e32 v27, v42, v21
	v_fma_f32 v37, v42, v20, -v37
	v_mul_f32_e32 v39, v43, v23
	v_add_f32_e32 v40, v25, v40
	v_mul_f32_e32 v25, v42, v23
	v_fmac_f32_e32 v27, v43, v20
	v_add_f32_e32 v2, v2, v37
	v_fma_f32 v37, v42, v22, -v39
	v_fmac_f32_e32 v25, v43, v22
	v_add_f32_e32 v34, v34, v27
	v_mul_f32_e32 v27, v29, v21
	v_mul_f32_e32 v21, v28, v21
	v_add_f32_e32 v35, v35, v37
	v_mul_f32_e32 v37, v29, v23
	v_add_f32_e32 v38, v38, v25
	v_fma_f32 v27, v28, v20, -v27
	v_fmac_f32_e32 v21, v29, v20
	v_mul_f32_e32 v20, v28, v23
	v_fma_f32 v23, v28, v22, -v37
	s_waitcnt lgkmcnt(0)
	v_mul_f32_e32 v25, v45, v17
	v_add_f32_e32 v28, v36, v27
	v_add_f32_e32 v21, v26, v21
	v_fmac_f32_e32 v20, v29, v22
	v_add_f32_e32 v22, v24, v23
	v_fma_f32 v29, v44, v16, -v25
	ds_read2_b64 v[24:27], v14 offset0:224 offset1:240
	v_mul_f32_e32 v23, v44, v17
	v_mul_f32_e32 v37, v31, v17
	;; [unrolled: 1-line block ×4, first 2 shown]
	v_add_f32_e32 v2, v2, v29
	v_fmac_f32_e32 v23, v45, v16
	v_mul_f32_e32 v29, v44, v19
	v_fmac_f32_e32 v17, v31, v16
	v_fma_f32 v36, v44, v18, -v36
	v_add_f32_e32 v20, v40, v20
	v_add_f32_e32 v23, v34, v23
	v_fma_f32 v34, v30, v16, -v37
	v_mul_f32_e32 v16, v31, v19
	v_mul_f32_e32 v19, v30, v19
	v_fmac_f32_e32 v29, v45, v18
	v_add_f32_e32 v17, v21, v17
	v_add_f32_e32 v35, v35, v36
	v_fma_f32 v16, v30, v18, -v16
	v_fmac_f32_e32 v19, v31, v18
	s_waitcnt lgkmcnt(0)
	v_mul_f32_e32 v21, v47, v25
	v_mul_f32_e32 v18, v47, v27
	v_add_f32_e32 v28, v28, v34
	v_mul_f32_e32 v30, v46, v25
	v_add_f32_e32 v16, v22, v16
	v_fma_f32 v21, v46, v24, -v21
	v_fma_f32 v18, v46, v26, -v18
	v_mul_f32_e32 v31, v46, v27
	v_add_f32_e32 v34, v20, v19
	v_mul_f32_e32 v19, v32, v25
	v_add_f32_e32 v22, v2, v21
	v_add_f32_e32 v20, v35, v18
	v_mul_f32_e32 v2, v33, v25
	v_mul_f32_e32 v18, v33, v27
	;; [unrolled: 1-line block ×3, first 2 shown]
	v_add_f32_e32 v29, v38, v29
	v_fmac_f32_e32 v30, v47, v24
	v_fmac_f32_e32 v31, v47, v26
	v_fma_f32 v2, v32, v24, -v2
	v_fmac_f32_e32 v19, v33, v24
	v_fma_f32 v24, v32, v26, -v18
	v_fmac_f32_e32 v25, v33, v26
	v_add_f32_e32 v23, v23, v30
	v_add_f32_e32 v21, v29, v31
	;; [unrolled: 1-line block ×6, first 2 shown]
	s_barrier
	buffer_gl0_inv
	s_cbranch_vccz .LBB246_18
.LBB246_8:                              ; =>This Inner Loop Header: Depth=1
	s_mov_b32 s15, s12
	s_mov_b32 s13, 0
	s_and_saveexec_b32 s14, s0
	s_cbranch_execnz .LBB246_16
; %bb.9:                                ;   in Loop: Header=BB246_8 Depth=1
	s_or_b32 exec_lo, exec_lo, s14
	s_and_saveexec_b32 s14, s15
	s_xor_b32 s14, exec_lo, s14
	s_cbranch_execnz .LBB246_17
.LBB246_10:                             ;   in Loop: Header=BB246_8 Depth=1
	s_or_b32 exec_lo, exec_lo, s14
	s_and_saveexec_b32 s14, s13
	s_cbranch_execz .LBB246_12
.LBB246_11:                             ;   in Loop: Header=BB246_8 Depth=1
	v_lshlrev_b64 v[24:25], 3, v[4:5]
	v_add_co_u32 v24, vcc_lo, v9, v24
	v_add_co_ci_u32_e64 v25, null, v10, v25, vcc_lo
	global_load_dwordx2 v[24:25], v[24:25], off
	s_waitcnt vmcnt(0)
	ds_write_b64 v8, v[24:25]
.LBB246_12:                             ;   in Loop: Header=BB246_8 Depth=1
	s_or_b32 exec_lo, exec_lo, s14
	v_add_nc_u32_e32 v2, s2, v6
	v_cmp_le_u64_e32 vcc_lo, s[20:21], v[2:3]
	s_or_b32 s13, vcc_lo, s1
	s_and_saveexec_b32 s14, s13
	s_xor_b32 s13, exec_lo, s14
; %bb.13:                               ;   in Loop: Header=BB246_8 Depth=1
	v_mov_b32_e32 v2, v3
	ds_write_b64 v11, v[2:3]
; %bb.14:                               ;   in Loop: Header=BB246_8 Depth=1
	s_andn2_saveexec_b32 s13, s13
	s_cbranch_execz .LBB246_7
; %bb.15:                               ;   in Loop: Header=BB246_8 Depth=1
	v_lshlrev_b64 v[24:25], 3, v[2:3]
	v_add_co_u32 v24, vcc_lo, v12, v24
	v_add_co_ci_u32_e64 v25, null, v13, v25, vcc_lo
	global_load_dwordx2 v[24:25], v[24:25], off
	s_waitcnt vmcnt(0)
	ds_write_b64 v11, v[24:25]
	s_branch .LBB246_7
.LBB246_16:                             ;   in Loop: Header=BB246_8 Depth=1
	v_add_nc_u32_e32 v2, s2, v7
	v_mov_b32_e32 v5, v3
	s_andn2_b32 s15, s12, exec_lo
	s_mov_b32 s13, exec_lo
	v_cmp_le_u64_e32 vcc_lo, s[20:21], v[2:3]
	v_mov_b32_e32 v4, v2
	s_and_b32 s16, vcc_lo, exec_lo
	s_or_b32 s15, s15, s16
	s_or_b32 exec_lo, exec_lo, s14
	s_and_saveexec_b32 s14, s15
	s_xor_b32 s14, exec_lo, s14
	s_cbranch_execz .LBB246_10
.LBB246_17:                             ;   in Loop: Header=BB246_8 Depth=1
	v_mov_b32_e32 v2, v3
	s_andn2_b32 s13, s13, exec_lo
	ds_write_b64 v8, v[2:3]
	s_or_b32 exec_lo, exec_lo, s14
	s_and_saveexec_b32 s14, s13
	s_cbranch_execnz .LBB246_11
	s_branch .LBB246_12
.LBB246_18:
	s_clause 0x1
	s_load_dwordx4 s[12:15], s[4:5], 0x50
	s_load_dwordx2 s[0:1], s[4:5], 0x60
	v_add_nc_u32_e32 v9, s7, v1
	v_add_nc_u32_e32 v0, s6, v0
	v_cmp_neq_f32_e64 s6, s10, 0
	v_ashrrev_i32_e32 v1, 31, v9
	v_cmp_le_i32_e32 vcc_lo, v9, v0
	s_waitcnt lgkmcnt(0)
	v_mul_lo_u32 v3, s14, v1
	v_mul_lo_u32 v4, s15, v9
	v_mad_u64_u32 v[1:2], null, s14, v9, 0
	s_mul_i32 s1, s1, s8
	s_mul_hi_u32 s3, s0, s8
	s_mul_i32 s2, s0, s8
	s_add_i32 s3, s3, s1
	v_cmp_gt_i32_e64 s0, s9, v0
	s_lshl_b64 s[4:5], s[2:3], 3
	v_add3_u32 v2, v2, v3, v4
	s_add_u32 s3, s12, s4
	s_addc_u32 s4, s13, s5
	s_xor_b32 s2, s24, -1
	s_and_b32 s5, vcc_lo, s0
	v_lshlrev_b64 v[2:3], 3, v[1:2]
	s_or_b32 s2, s6, s2
	v_ashrrev_i32_e32 v1, 31, v0
	v_cndmask_b32_e64 v8, 0, 1, s2
	v_add_co_u32 v6, s1, s3, v2
	v_add_co_ci_u32_e64 v7, null, s4, v3, s1
	s_and_saveexec_b32 s1, s5
	s_cbranch_execz .LBB246_22
; %bb.19:
	v_lshlrev_b64 v[4:5], 3, v[0:1]
	v_mul_f32_e32 v2, s23, v23
	v_mul_f32_e32 v3, s22, v23
	v_fma_f32 v2, v22, s22, -v2
	v_add_co_u32 v4, vcc_lo, v6, v4
	v_fmac_f32_e32 v3, s23, v22
	v_add_co_ci_u32_e64 v5, null, v7, v5, vcc_lo
	s_andn2_b32 vcc_lo, exec_lo, s2
	s_cbranch_vccnz .LBB246_21
; %bb.20:
	global_load_dwordx2 v[10:11], v[4:5], off
	s_waitcnt vmcnt(0)
	v_mul_f32_e32 v12, s11, v11
	v_mul_f32_e32 v11, s10, v11
	v_fma_f32 v12, v10, s10, -v12
	v_fmac_f32_e32 v11, s11, v10
	v_add_f32_e32 v2, v2, v12
	v_add_f32_e32 v3, v3, v11
.LBB246_21:
	global_store_dwordx2 v[4:5], v[2:3], off
.LBB246_22:
	s_or_b32 exec_lo, exec_lo, s1
	v_add_nc_u32_e32 v2, 16, v0
	v_cmp_le_i32_e32 vcc_lo, v9, v2
	v_cmp_gt_i32_e64 s1, s9, v2
	v_ashrrev_i32_e32 v3, 31, v2
	s_and_b32 s2, vcc_lo, s1
	s_and_saveexec_b32 s5, s2
	s_cbranch_execz .LBB246_26
; %bb.23:
	v_lshlrev_b64 v[10:11], 3, v[2:3]
	v_mul_f32_e32 v4, s23, v21
	v_mul_f32_e32 v5, s22, v21
	v_cmp_ne_u32_e32 vcc_lo, 1, v8
	v_fma_f32 v4, v20, s22, -v4
	v_add_co_u32 v6, s2, v6, v10
	v_fmac_f32_e32 v5, s23, v20
	v_add_co_ci_u32_e64 v7, null, v7, v11, s2
	s_cbranch_vccnz .LBB246_25
; %bb.24:
	global_load_dwordx2 v[10:11], v[6:7], off
	s_waitcnt vmcnt(0)
	v_mul_f32_e32 v12, s11, v11
	v_mul_f32_e32 v11, s10, v11
	v_fma_f32 v12, v10, s10, -v12
	v_fmac_f32_e32 v11, s11, v10
	v_add_f32_e32 v4, v4, v12
	v_add_f32_e32 v5, v5, v11
.LBB246_25:
	global_store_dwordx2 v[6:7], v[4:5], off
.LBB246_26:
	s_or_b32 exec_lo, exec_lo, s5
	v_add_nc_u32_e32 v9, 16, v9
	v_ashrrev_i32_e32 v6, 31, v9
	v_mul_lo_u32 v7, s15, v9
	v_mad_u64_u32 v[4:5], null, s14, v9, 0
	v_cmp_le_i32_e32 vcc_lo, v9, v0
	v_mul_lo_u32 v6, s14, v6
	s_and_b32 s0, vcc_lo, s0
	v_add3_u32 v5, v5, v6, v7
	v_lshlrev_b64 v[4:5], 3, v[4:5]
	v_add_co_u32 v6, s2, s3, v4
	v_add_co_ci_u32_e64 v7, null, s4, v5, s2
	s_and_saveexec_b32 s2, s0
	s_cbranch_execz .LBB246_30
; %bb.27:
	v_lshlrev_b64 v[0:1], 3, v[0:1]
	v_mul_f32_e32 v4, s23, v19
	v_mul_f32_e32 v5, s22, v19
	v_cmp_ne_u32_e32 vcc_lo, 1, v8
	v_fma_f32 v4, v18, s22, -v4
	v_add_co_u32 v0, s0, v6, v0
	v_fmac_f32_e32 v5, s23, v18
	v_add_co_ci_u32_e64 v1, null, v7, v1, s0
	s_cbranch_vccnz .LBB246_29
; %bb.28:
	global_load_dwordx2 v[10:11], v[0:1], off
	s_waitcnt vmcnt(0)
	v_mul_f32_e32 v12, s11, v11
	v_mul_f32_e32 v11, s10, v11
	v_fma_f32 v12, v10, s10, -v12
	v_fmac_f32_e32 v11, s11, v10
	v_add_f32_e32 v4, v4, v12
	v_add_f32_e32 v5, v5, v11
.LBB246_29:
	global_store_dwordx2 v[0:1], v[4:5], off
.LBB246_30:
	s_or_b32 exec_lo, exec_lo, s2
	v_cmp_le_i32_e32 vcc_lo, v9, v2
	s_and_b32 s0, vcc_lo, s1
	s_and_saveexec_b32 s1, s0
	s_cbranch_execz .LBB246_34
; %bb.31:
	v_lshlrev_b64 v[2:3], 3, v[2:3]
	v_mul_f32_e32 v0, s23, v17
	v_mul_f32_e32 v1, s22, v17
	v_cmp_ne_u32_e32 vcc_lo, 1, v8
	v_fma_f32 v0, v16, s22, -v0
	v_add_co_u32 v2, s0, v6, v2
	v_fmac_f32_e32 v1, s23, v16
	v_add_co_ci_u32_e64 v3, null, v7, v3, s0
	s_cbranch_vccnz .LBB246_33
; %bb.32:
	global_load_dwordx2 v[4:5], v[2:3], off
	s_waitcnt vmcnt(0)
	v_mul_f32_e32 v6, s11, v5
	v_mul_f32_e32 v5, s10, v5
	v_fma_f32 v6, v4, s10, -v6
	v_fmac_f32_e32 v5, s11, v4
	v_add_f32_e32 v0, v0, v6
	v_add_f32_e32 v1, v1, v5
.LBB246_33:
	global_store_dwordx2 v[2:3], v[0:1], off
.LBB246_34:
	s_endpgm
	.section	.rodata,"a",@progbits
	.p2align	6, 0x0
	.amdhsa_kernel _ZL29rocblas_internal_gemmt_kernelIlLi16ELi32ELi8ELc84ELc78ELc76ELb0ELb0E19rocblas_complex_numIfES1_PKS1_PS1_EviT_T9_T10_S5_lS7_S5_lS6_T11_S5_li
		.amdhsa_group_segment_fixed_size 4096
		.amdhsa_private_segment_fixed_size 0
		.amdhsa_kernarg_size 108
		.amdhsa_user_sgpr_count 6
		.amdhsa_user_sgpr_private_segment_buffer 1
		.amdhsa_user_sgpr_dispatch_ptr 0
		.amdhsa_user_sgpr_queue_ptr 0
		.amdhsa_user_sgpr_kernarg_segment_ptr 1
		.amdhsa_user_sgpr_dispatch_id 0
		.amdhsa_user_sgpr_flat_scratch_init 0
		.amdhsa_user_sgpr_private_segment_size 0
		.amdhsa_wavefront_size32 1
		.amdhsa_uses_dynamic_stack 0
		.amdhsa_system_sgpr_private_segment_wavefront_offset 0
		.amdhsa_system_sgpr_workgroup_id_x 1
		.amdhsa_system_sgpr_workgroup_id_y 1
		.amdhsa_system_sgpr_workgroup_id_z 1
		.amdhsa_system_sgpr_workgroup_info 0
		.amdhsa_system_vgpr_workitem_id 1
		.amdhsa_next_free_vgpr 61
		.amdhsa_next_free_sgpr 27
		.amdhsa_reserve_vcc 1
		.amdhsa_reserve_flat_scratch 0
		.amdhsa_float_round_mode_32 0
		.amdhsa_float_round_mode_16_64 0
		.amdhsa_float_denorm_mode_32 3
		.amdhsa_float_denorm_mode_16_64 3
		.amdhsa_dx10_clamp 1
		.amdhsa_ieee_mode 1
		.amdhsa_fp16_overflow 0
		.amdhsa_workgroup_processor_mode 1
		.amdhsa_memory_ordered 1
		.amdhsa_forward_progress 1
		.amdhsa_shared_vgpr_count 0
		.amdhsa_exception_fp_ieee_invalid_op 0
		.amdhsa_exception_fp_denorm_src 0
		.amdhsa_exception_fp_ieee_div_zero 0
		.amdhsa_exception_fp_ieee_overflow 0
		.amdhsa_exception_fp_ieee_underflow 0
		.amdhsa_exception_fp_ieee_inexact 0
		.amdhsa_exception_int_div_zero 0
	.end_amdhsa_kernel
	.section	.text._ZL29rocblas_internal_gemmt_kernelIlLi16ELi32ELi8ELc84ELc78ELc76ELb0ELb0E19rocblas_complex_numIfES1_PKS1_PS1_EviT_T9_T10_S5_lS7_S5_lS6_T11_S5_li,"axG",@progbits,_ZL29rocblas_internal_gemmt_kernelIlLi16ELi32ELi8ELc84ELc78ELc76ELb0ELb0E19rocblas_complex_numIfES1_PKS1_PS1_EviT_T9_T10_S5_lS7_S5_lS6_T11_S5_li,comdat
.Lfunc_end246:
	.size	_ZL29rocblas_internal_gemmt_kernelIlLi16ELi32ELi8ELc84ELc78ELc76ELb0ELb0E19rocblas_complex_numIfES1_PKS1_PS1_EviT_T9_T10_S5_lS7_S5_lS6_T11_S5_li, .Lfunc_end246-_ZL29rocblas_internal_gemmt_kernelIlLi16ELi32ELi8ELc84ELc78ELc76ELb0ELb0E19rocblas_complex_numIfES1_PKS1_PS1_EviT_T9_T10_S5_lS7_S5_lS6_T11_S5_li
                                        ; -- End function
	.set _ZL29rocblas_internal_gemmt_kernelIlLi16ELi32ELi8ELc84ELc78ELc76ELb0ELb0E19rocblas_complex_numIfES1_PKS1_PS1_EviT_T9_T10_S5_lS7_S5_lS6_T11_S5_li.num_vgpr, 61
	.set _ZL29rocblas_internal_gemmt_kernelIlLi16ELi32ELi8ELc84ELc78ELc76ELb0ELb0E19rocblas_complex_numIfES1_PKS1_PS1_EviT_T9_T10_S5_lS7_S5_lS6_T11_S5_li.num_agpr, 0
	.set _ZL29rocblas_internal_gemmt_kernelIlLi16ELi32ELi8ELc84ELc78ELc76ELb0ELb0E19rocblas_complex_numIfES1_PKS1_PS1_EviT_T9_T10_S5_lS7_S5_lS6_T11_S5_li.numbered_sgpr, 27
	.set _ZL29rocblas_internal_gemmt_kernelIlLi16ELi32ELi8ELc84ELc78ELc76ELb0ELb0E19rocblas_complex_numIfES1_PKS1_PS1_EviT_T9_T10_S5_lS7_S5_lS6_T11_S5_li.num_named_barrier, 0
	.set _ZL29rocblas_internal_gemmt_kernelIlLi16ELi32ELi8ELc84ELc78ELc76ELb0ELb0E19rocblas_complex_numIfES1_PKS1_PS1_EviT_T9_T10_S5_lS7_S5_lS6_T11_S5_li.private_seg_size, 0
	.set _ZL29rocblas_internal_gemmt_kernelIlLi16ELi32ELi8ELc84ELc78ELc76ELb0ELb0E19rocblas_complex_numIfES1_PKS1_PS1_EviT_T9_T10_S5_lS7_S5_lS6_T11_S5_li.uses_vcc, 1
	.set _ZL29rocblas_internal_gemmt_kernelIlLi16ELi32ELi8ELc84ELc78ELc76ELb0ELb0E19rocblas_complex_numIfES1_PKS1_PS1_EviT_T9_T10_S5_lS7_S5_lS6_T11_S5_li.uses_flat_scratch, 0
	.set _ZL29rocblas_internal_gemmt_kernelIlLi16ELi32ELi8ELc84ELc78ELc76ELb0ELb0E19rocblas_complex_numIfES1_PKS1_PS1_EviT_T9_T10_S5_lS7_S5_lS6_T11_S5_li.has_dyn_sized_stack, 0
	.set _ZL29rocblas_internal_gemmt_kernelIlLi16ELi32ELi8ELc84ELc78ELc76ELb0ELb0E19rocblas_complex_numIfES1_PKS1_PS1_EviT_T9_T10_S5_lS7_S5_lS6_T11_S5_li.has_recursion, 0
	.set _ZL29rocblas_internal_gemmt_kernelIlLi16ELi32ELi8ELc84ELc78ELc76ELb0ELb0E19rocblas_complex_numIfES1_PKS1_PS1_EviT_T9_T10_S5_lS7_S5_lS6_T11_S5_li.has_indirect_call, 0
	.section	.AMDGPU.csdata,"",@progbits
; Kernel info:
; codeLenInByte = 2636
; TotalNumSgprs: 29
; NumVgprs: 61
; ScratchSize: 0
; MemoryBound: 0
; FloatMode: 240
; IeeeMode: 1
; LDSByteSize: 4096 bytes/workgroup (compile time only)
; SGPRBlocks: 0
; VGPRBlocks: 7
; NumSGPRsForWavesPerEU: 29
; NumVGPRsForWavesPerEU: 61
; Occupancy: 16
; WaveLimiterHint : 0
; COMPUTE_PGM_RSRC2:SCRATCH_EN: 0
; COMPUTE_PGM_RSRC2:USER_SGPR: 6
; COMPUTE_PGM_RSRC2:TRAP_HANDLER: 0
; COMPUTE_PGM_RSRC2:TGID_X_EN: 1
; COMPUTE_PGM_RSRC2:TGID_Y_EN: 1
; COMPUTE_PGM_RSRC2:TGID_Z_EN: 1
; COMPUTE_PGM_RSRC2:TIDIG_COMP_CNT: 1
	.section	.text._ZL29rocblas_internal_gemmt_kernelIlLi16ELi32ELi8ELc84ELc84ELc76ELb0ELb0E19rocblas_complex_numIfES1_PKS1_PS1_EviT_T9_T10_S5_lS7_S5_lS6_T11_S5_li,"axG",@progbits,_ZL29rocblas_internal_gemmt_kernelIlLi16ELi32ELi8ELc84ELc84ELc76ELb0ELb0E19rocblas_complex_numIfES1_PKS1_PS1_EviT_T9_T10_S5_lS7_S5_lS6_T11_S5_li,comdat
	.globl	_ZL29rocblas_internal_gemmt_kernelIlLi16ELi32ELi8ELc84ELc84ELc76ELb0ELb0E19rocblas_complex_numIfES1_PKS1_PS1_EviT_T9_T10_S5_lS7_S5_lS6_T11_S5_li ; -- Begin function _ZL29rocblas_internal_gemmt_kernelIlLi16ELi32ELi8ELc84ELc84ELc76ELb0ELb0E19rocblas_complex_numIfES1_PKS1_PS1_EviT_T9_T10_S5_lS7_S5_lS6_T11_S5_li
	.p2align	8
	.type	_ZL29rocblas_internal_gemmt_kernelIlLi16ELi32ELi8ELc84ELc84ELc76ELb0ELb0E19rocblas_complex_numIfES1_PKS1_PS1_EviT_T9_T10_S5_lS7_S5_lS6_T11_S5_li,@function
_ZL29rocblas_internal_gemmt_kernelIlLi16ELi32ELi8ELc84ELc84ELc76ELb0ELb0E19rocblas_complex_numIfES1_PKS1_PS1_EviT_T9_T10_S5_lS7_S5_lS6_T11_S5_li: ; @_ZL29rocblas_internal_gemmt_kernelIlLi16ELi32ELi8ELc84ELc84ELc76ELb0ELb0E19rocblas_complex_numIfES1_PKS1_PS1_EviT_T9_T10_S5_lS7_S5_lS6_T11_S5_li
; %bb.0:
	s_clause 0x1
	s_load_dwordx2 s[10:11], s[4:5], 0x48
	s_load_dwordx4 s[20:23], s[4:5], 0x8
	s_waitcnt lgkmcnt(0)
	s_and_b32 s0, s11, 0x7fffffff
	v_cmp_eq_f32_e64 s1, s10, 1.0
	s_cmp_eq_u32 s0, 0
	s_mov_b32 s0, 0
	s_cselect_b32 s28, -1, 0
	s_and_b32 s1, s1, s28
	s_andn2_b32 vcc_lo, exec_lo, s1
	s_mov_b32 s1, -1
	s_cbranch_vccnz .LBB247_4
; %bb.1:
	s_cmp_lg_u64 s[20:21], 0
	s_cbranch_scc0 .LBB247_3
; %bb.2:
	v_cmp_neq_f32_e64 s0, s22, 0
	v_cmp_neq_f32_e64 s1, s23, 0
	s_or_b32 s0, s0, s1
.LBB247_3:
	s_mov_b32 s1, s0
.LBB247_4:
	s_and_b32 vcc_lo, exec_lo, s1
	s_cbranch_vccz .LBB247_34
; %bb.5:
	s_load_dword s9, s[4:5], 0x0
	v_cmp_eq_f32_e64 s0, s22, 0
	v_cmp_eq_f32_e64 s1, s23, 0
	v_cmp_lt_i64_e64 s2, s[20:21], 1
	v_mov_b32_e32 v22, 0
	v_mov_b32_e32 v23, 0
	;; [unrolled: 1-line block ×3, first 2 shown]
	s_and_b32 s0, s0, s1
	v_mov_b32_e32 v21, 0
	v_mov_b32_e32 v18, 0
	;; [unrolled: 1-line block ×5, first 2 shown]
	s_or_b32 s0, s0, s2
	s_lshl_b32 s6, s6, 5
	s_and_b32 vcc_lo, exec_lo, s0
	s_lshl_b32 s7, s7, 5
	s_cbranch_vccnz .LBB247_18
; %bb.6:
	s_clause 0x1
	s_load_dwordx4 s[24:27], s[4:5], 0x38
	s_load_dwordx8 s[12:19], s[4:5], 0x18
	v_lshl_add_u32 v2, v1, 4, v0
	v_and_b32_e32 v6, 7, v0
	v_lshlrev_b32_e32 v14, 3, v0
	v_lshl_add_u32 v15, v1, 6, 0x800
	v_mov_b32_e32 v17, 0
	v_and_b32_e32 v4, 31, v2
	v_lshrrev_b32_e32 v3, 3, v2
	v_lshlrev_b32_e32 v5, 3, v6
	v_lshrrev_b32_e32 v7, 5, v2
	v_mov_b32_e32 v16, 0
	v_or_b32_e32 v8, s6, v4
	v_lshlrev_b32_e32 v9, 3, v4
	v_lshl_or_b32 v12, v3, 6, v5
	v_add_nc_u32_e32 v2, s7, v3
	v_mov_b32_e32 v19, 0
	v_mov_b32_e32 v18, 0
	;; [unrolled: 1-line block ×4, first 2 shown]
	s_waitcnt lgkmcnt(0)
	s_mul_i32 s1, s27, s8
	s_mul_hi_u32 s2, s26, s8
	s_mul_i32 s0, s26, s8
	s_add_i32 s1, s2, s1
	s_mul_i32 s3, s17, s8
	s_lshl_b64 s[0:1], s[0:1], 3
	s_mul_hi_u32 s17, s16, s8
	v_mul_lo_u32 v10, s15, v8
	s_add_u32 s15, s18, s0
	s_mul_i32 s2, s16, s8
	s_addc_u32 s16, s19, s1
	s_add_i32 s3, s17, s3
	v_mad_u64_u32 v[4:5], null, s14, v8, 0
	s_lshl_b64 s[0:1], s[2:3], 3
	v_ashrrev_i32_e32 v3, 31, v2
	s_add_u32 s2, s12, s0
	s_addc_u32 s3, s13, s1
	s_ashr_i32 s1, s6, 31
	v_cmp_gt_i32_e32 vcc_lo, s9, v2
	s_mul_i32 s1, s14, s1
	v_cmp_gt_i32_e64 s0, s9, v8
	v_add3_u32 v5, v5, s1, v10
	v_lshlrev_b64 v[10:11], 3, v[2:3]
	v_cmp_le_i32_e64 s12, s9, v8
	v_lshl_or_b32 v8, v7, 8, v9
	v_add_nc_u32_e32 v9, 0x800, v12
	v_lshlrev_b64 v[2:3], 3, v[4:5]
	v_mov_b32_e32 v23, 0
	v_add_co_u32 v10, s1, s15, v10
	v_add_co_ci_u32_e64 v11, null, s16, v11, s1
	v_add_co_u32 v12, s1, s2, v2
	v_add_co_ci_u32_e64 v13, null, s3, v3, s1
	v_mov_b32_e32 v3, 0
	v_mov_b32_e32 v22, 0
	s_mov_b64 s[2:3], 0
	s_xor_b32 s1, vcc_lo, -1
                                        ; implicit-def: $vgpr4_vgpr5
	s_branch .LBB247_8
.LBB247_7:                              ;   in Loop: Header=BB247_8 Depth=1
	s_or_b32 exec_lo, exec_lo, s13
	s_waitcnt lgkmcnt(0)
	s_barrier
	buffer_gl0_inv
	ds_read_b128 v[24:27], v15
	ds_read2_b64 v[28:31], v14 offset1:16
	ds_read_b128 v[32:35], v15 offset:1024
	ds_read_b128 v[36:39], v15 offset:16
	;; [unrolled: 1-line block ×4, first 2 shown]
	ds_read2_b64 v[48:51], v14 offset0:32 offset1:48
	ds_read_b128 v[52:55], v15 offset:1040
	s_add_u32 s2, s2, 8
	s_addc_u32 s3, s3, 0
	v_cmp_gt_i64_e64 s13, s[20:21], s[2:3]
	s_and_b32 vcc_lo, exec_lo, s13
	s_waitcnt lgkmcnt(6)
	v_mul_f32_e32 v2, v25, v29
	v_mul_f32_e32 v56, v24, v29
	;; [unrolled: 1-line block ×4, first 2 shown]
	s_waitcnt lgkmcnt(5)
	v_mul_f32_e32 v59, v33, v29
	v_mul_f32_e32 v29, v32, v29
	;; [unrolled: 1-line block ×3, first 2 shown]
	v_fma_f32 v2, v24, v28, -v2
	v_fmac_f32_e32 v56, v25, v28
	v_fma_f32 v24, v24, v30, -v57
	v_fmac_f32_e32 v58, v25, v30
	v_fma_f32 v25, v32, v28, -v59
	v_fmac_f32_e32 v29, v33, v28
	v_mul_f32_e32 v31, v32, v31
	v_fma_f32 v28, v32, v30, -v60
	v_add_f32_e32 v2, v22, v2
	v_add_f32_e32 v22, v23, v56
	;; [unrolled: 1-line block ×6, first 2 shown]
	s_waitcnt lgkmcnt(1)
	v_mul_f32_e32 v32, v27, v49
	ds_read2_b64 v[18:21], v14 offset0:64 offset1:80
	v_fmac_f32_e32 v31, v33, v30
	v_add_f32_e32 v16, v16, v28
	v_mul_f32_e32 v28, v26, v49
	v_fma_f32 v30, v26, v48, -v32
	v_mul_f32_e32 v32, v27, v51
	v_add_f32_e32 v17, v17, v31
	v_mul_f32_e32 v31, v26, v51
	v_fmac_f32_e32 v28, v27, v48
	v_add_f32_e32 v2, v2, v30
	v_fma_f32 v26, v26, v50, -v32
	v_mul_f32_e32 v30, v35, v49
	v_fmac_f32_e32 v31, v27, v50
	v_add_f32_e32 v28, v22, v28
	v_mul_f32_e32 v22, v34, v49
	v_add_f32_e32 v26, v23, v26
	v_fma_f32 v23, v34, v48, -v30
	v_mul_f32_e32 v27, v35, v51
	v_add_f32_e32 v30, v24, v31
	v_fmac_f32_e32 v22, v35, v48
	v_mul_f32_e32 v31, v34, v51
	v_add_f32_e32 v32, v25, v23
	v_fma_f32 v23, v34, v50, -v27
	s_waitcnt lgkmcnt(0)
	v_mul_f32_e32 v24, v37, v19
	v_add_f32_e32 v27, v29, v22
	v_fmac_f32_e32 v31, v35, v50
	v_mul_f32_e32 v29, v36, v19
	v_add_f32_e32 v16, v16, v23
	v_fma_f32 v33, v36, v18, -v24
	v_mul_f32_e32 v34, v37, v21
	ds_read2_b64 v[22:25], v14 offset0:96 offset1:112
	v_fmac_f32_e32 v29, v37, v18
	v_add_f32_e32 v31, v17, v31
	v_add_f32_e32 v2, v2, v33
	v_mul_f32_e32 v17, v36, v21
	v_fma_f32 v33, v36, v20, -v34
	v_add_f32_e32 v28, v28, v29
	v_mul_f32_e32 v29, v53, v19
	v_mul_f32_e32 v19, v52, v19
	v_fmac_f32_e32 v17, v37, v20
	v_add_f32_e32 v26, v26, v33
	v_mul_f32_e32 v33, v53, v21
	v_mul_f32_e32 v21, v52, v21
	v_fmac_f32_e32 v19, v53, v18
	v_add_f32_e32 v30, v30, v17
	v_fma_f32 v29, v52, v18, -v29
	v_fma_f32 v17, v52, v20, -v33
	v_fmac_f32_e32 v21, v53, v20
	v_add_f32_e32 v33, v27, v19
	s_waitcnt lgkmcnt(0)
	v_mul_f32_e32 v20, v39, v23
	v_add_f32_e32 v34, v16, v17
	ds_read2_b64 v[16:19], v14 offset0:128 offset1:144
	v_add_f32_e32 v32, v32, v29
	v_mul_f32_e32 v27, v38, v23
	v_mul_f32_e32 v29, v39, v25
	v_fma_f32 v20, v38, v22, -v20
	v_add_f32_e32 v31, v31, v21
	v_mul_f32_e32 v21, v38, v25
	v_fmac_f32_e32 v27, v39, v22
	v_fma_f32 v29, v38, v24, -v29
	v_add_f32_e32 v2, v2, v20
	v_mul_f32_e32 v20, v55, v23
	v_fmac_f32_e32 v21, v39, v24
	v_add_f32_e32 v35, v28, v27
	v_add_f32_e32 v36, v26, v29
	v_mul_f32_e32 v23, v54, v23
	v_fma_f32 v20, v54, v22, -v20
	v_mul_f32_e32 v37, v55, v25
	ds_read_b128 v[26:29], v15 offset:1056
	v_add_f32_e32 v38, v30, v21
	v_fmac_f32_e32 v23, v55, v22
	v_mul_f32_e32 v25, v54, v25
	v_fma_f32 v21, v54, v24, -v37
	v_add_f32_e32 v37, v32, v20
	s_waitcnt lgkmcnt(1)
	v_mul_f32_e32 v20, v41, v17
	v_add_f32_e32 v39, v33, v23
	v_fmac_f32_e32 v25, v55, v24
	v_add_f32_e32 v24, v34, v21
	v_mul_f32_e32 v32, v41, v19
	v_fma_f32 v30, v40, v16, -v20
	ds_read2_b64 v[20:23], v14 offset0:160 offset1:176
	v_mul_f32_e32 v34, v40, v17
	v_add_f32_e32 v25, v31, v25
	v_fma_f32 v48, v40, v18, -v32
	v_mul_f32_e32 v40, v40, v19
	v_add_f32_e32 v2, v2, v30
	v_fmac_f32_e32 v34, v41, v16
	ds_read_b128 v[30:33], v15 offset:1072
	s_waitcnt lgkmcnt(2)
	v_mul_f32_e32 v49, v27, v17
	v_mul_f32_e32 v17, v26, v17
	v_fmac_f32_e32 v40, v41, v18
	v_mul_f32_e32 v41, v27, v19
	v_add_f32_e32 v34, v35, v34
	v_add_f32_e32 v35, v36, v48
	v_fma_f32 v36, v26, v16, -v49
	v_fmac_f32_e32 v17, v27, v16
	v_add_f32_e32 v38, v38, v40
	v_mul_f32_e32 v40, v26, v19
	v_fma_f32 v16, v26, v18, -v41
	v_add_f32_e32 v36, v37, v36
	v_add_f32_e32 v26, v39, v17
	s_waitcnt lgkmcnt(1)
	v_mul_f32_e32 v37, v43, v21
	v_fmac_f32_e32 v40, v27, v18
	v_add_f32_e32 v24, v24, v16
	ds_read2_b64 v[16:19], v14 offset0:192 offset1:208
	v_mul_f32_e32 v27, v42, v21
	v_fma_f32 v37, v42, v20, -v37
	v_mul_f32_e32 v39, v43, v23
	v_add_f32_e32 v40, v25, v40
	v_mul_f32_e32 v25, v42, v23
	v_fmac_f32_e32 v27, v43, v20
	v_add_f32_e32 v2, v2, v37
	v_fma_f32 v37, v42, v22, -v39
	v_fmac_f32_e32 v25, v43, v22
	v_add_f32_e32 v34, v34, v27
	v_mul_f32_e32 v27, v29, v21
	v_mul_f32_e32 v21, v28, v21
	v_add_f32_e32 v35, v35, v37
	v_mul_f32_e32 v37, v29, v23
	v_add_f32_e32 v38, v38, v25
	v_fma_f32 v27, v28, v20, -v27
	v_fmac_f32_e32 v21, v29, v20
	v_mul_f32_e32 v20, v28, v23
	v_fma_f32 v23, v28, v22, -v37
	s_waitcnt lgkmcnt(0)
	v_mul_f32_e32 v25, v45, v17
	v_add_f32_e32 v28, v36, v27
	v_add_f32_e32 v21, v26, v21
	v_fmac_f32_e32 v20, v29, v22
	v_add_f32_e32 v22, v24, v23
	v_fma_f32 v29, v44, v16, -v25
	ds_read2_b64 v[24:27], v14 offset0:224 offset1:240
	v_mul_f32_e32 v23, v44, v17
	v_mul_f32_e32 v37, v31, v17
	;; [unrolled: 1-line block ×4, first 2 shown]
	v_add_f32_e32 v2, v2, v29
	v_fmac_f32_e32 v23, v45, v16
	v_mul_f32_e32 v29, v44, v19
	v_fmac_f32_e32 v17, v31, v16
	v_fma_f32 v36, v44, v18, -v36
	v_add_f32_e32 v20, v40, v20
	v_add_f32_e32 v23, v34, v23
	v_fma_f32 v34, v30, v16, -v37
	v_mul_f32_e32 v16, v31, v19
	v_mul_f32_e32 v19, v30, v19
	v_fmac_f32_e32 v29, v45, v18
	v_add_f32_e32 v17, v21, v17
	v_add_f32_e32 v35, v35, v36
	v_fma_f32 v16, v30, v18, -v16
	v_fmac_f32_e32 v19, v31, v18
	s_waitcnt lgkmcnt(0)
	v_mul_f32_e32 v21, v47, v25
	v_mul_f32_e32 v18, v47, v27
	v_add_f32_e32 v28, v28, v34
	v_mul_f32_e32 v30, v46, v25
	v_add_f32_e32 v16, v22, v16
	v_fma_f32 v21, v46, v24, -v21
	v_fma_f32 v18, v46, v26, -v18
	v_mul_f32_e32 v31, v46, v27
	v_add_f32_e32 v34, v20, v19
	v_mul_f32_e32 v19, v32, v25
	v_add_f32_e32 v22, v2, v21
	v_add_f32_e32 v20, v35, v18
	v_mul_f32_e32 v2, v33, v25
	v_mul_f32_e32 v18, v33, v27
	;; [unrolled: 1-line block ×3, first 2 shown]
	v_add_f32_e32 v29, v38, v29
	v_fmac_f32_e32 v30, v47, v24
	v_fmac_f32_e32 v31, v47, v26
	v_fma_f32 v2, v32, v24, -v2
	v_fmac_f32_e32 v19, v33, v24
	v_fma_f32 v24, v32, v26, -v18
	v_fmac_f32_e32 v25, v33, v26
	v_add_f32_e32 v23, v23, v30
	v_add_f32_e32 v21, v29, v31
	;; [unrolled: 1-line block ×6, first 2 shown]
	s_barrier
	buffer_gl0_inv
	s_cbranch_vccz .LBB247_18
.LBB247_8:                              ; =>This Inner Loop Header: Depth=1
	s_mov_b32 s15, s12
	s_mov_b32 s13, 0
	s_and_saveexec_b32 s14, s0
	s_cbranch_execnz .LBB247_16
; %bb.9:                                ;   in Loop: Header=BB247_8 Depth=1
	s_or_b32 exec_lo, exec_lo, s14
	s_and_saveexec_b32 s14, s15
	s_xor_b32 s14, exec_lo, s14
	s_cbranch_execnz .LBB247_17
.LBB247_10:                             ;   in Loop: Header=BB247_8 Depth=1
	s_or_b32 exec_lo, exec_lo, s14
	s_and_saveexec_b32 s14, s13
	s_cbranch_execz .LBB247_12
.LBB247_11:                             ;   in Loop: Header=BB247_8 Depth=1
	v_lshlrev_b64 v[24:25], 3, v[4:5]
	v_add_co_u32 v24, vcc_lo, v12, v24
	v_add_co_ci_u32_e64 v25, null, v13, v25, vcc_lo
	global_load_dwordx2 v[24:25], v[24:25], off
	s_waitcnt vmcnt(0)
	ds_write_b64 v8, v[24:25]
.LBB247_12:                             ;   in Loop: Header=BB247_8 Depth=1
	s_or_b32 exec_lo, exec_lo, s14
	v_add_nc_u32_e32 v2, s2, v6
	v_cmp_le_u64_e32 vcc_lo, s[20:21], v[2:3]
	s_or_b32 s13, vcc_lo, s1
	s_and_saveexec_b32 s14, s13
	s_xor_b32 s13, exec_lo, s14
; %bb.13:                               ;   in Loop: Header=BB247_8 Depth=1
	v_mov_b32_e32 v2, v3
	ds_write_b64 v9, v[2:3]
; %bb.14:                               ;   in Loop: Header=BB247_8 Depth=1
	s_andn2_saveexec_b32 s13, s13
	s_cbranch_execz .LBB247_7
; %bb.15:                               ;   in Loop: Header=BB247_8 Depth=1
	v_mad_u64_u32 v[24:25], null, s24, v2, 0
	v_mad_u64_u32 v[25:26], null, s25, v2, v[25:26]
	v_lshlrev_b64 v[24:25], 3, v[24:25]
	v_add_co_u32 v24, vcc_lo, v10, v24
	v_add_co_ci_u32_e64 v25, null, v11, v25, vcc_lo
	global_load_dwordx2 v[24:25], v[24:25], off
	s_waitcnt vmcnt(0)
	ds_write_b64 v9, v[24:25]
	s_branch .LBB247_7
.LBB247_16:                             ;   in Loop: Header=BB247_8 Depth=1
	v_add_nc_u32_e32 v2, s2, v7
	v_mov_b32_e32 v5, v3
	s_andn2_b32 s15, s12, exec_lo
	s_mov_b32 s13, exec_lo
	v_cmp_le_u64_e32 vcc_lo, s[20:21], v[2:3]
	v_mov_b32_e32 v4, v2
	s_and_b32 s16, vcc_lo, exec_lo
	s_or_b32 s15, s15, s16
	s_or_b32 exec_lo, exec_lo, s14
	s_and_saveexec_b32 s14, s15
	s_xor_b32 s14, exec_lo, s14
	s_cbranch_execz .LBB247_10
.LBB247_17:                             ;   in Loop: Header=BB247_8 Depth=1
	v_mov_b32_e32 v2, v3
	s_andn2_b32 s13, s13, exec_lo
	ds_write_b64 v8, v[2:3]
	s_or_b32 exec_lo, exec_lo, s14
	s_and_saveexec_b32 s14, s13
	s_cbranch_execnz .LBB247_11
	s_branch .LBB247_12
.LBB247_18:
	s_clause 0x1
	s_load_dwordx4 s[12:15], s[4:5], 0x50
	s_load_dwordx2 s[0:1], s[4:5], 0x60
	v_add_nc_u32_e32 v9, s7, v1
	v_add_nc_u32_e32 v0, s6, v0
	v_cmp_neq_f32_e64 s6, s10, 0
	v_ashrrev_i32_e32 v1, 31, v9
	v_cmp_le_i32_e32 vcc_lo, v9, v0
	s_waitcnt lgkmcnt(0)
	v_mul_lo_u32 v3, s14, v1
	v_mul_lo_u32 v4, s15, v9
	v_mad_u64_u32 v[1:2], null, s14, v9, 0
	s_mul_i32 s1, s1, s8
	s_mul_hi_u32 s3, s0, s8
	s_mul_i32 s2, s0, s8
	s_add_i32 s3, s3, s1
	v_cmp_gt_i32_e64 s0, s9, v0
	s_lshl_b64 s[4:5], s[2:3], 3
	v_add3_u32 v2, v2, v3, v4
	s_add_u32 s3, s12, s4
	s_addc_u32 s4, s13, s5
	s_xor_b32 s2, s28, -1
	s_and_b32 s5, vcc_lo, s0
	v_lshlrev_b64 v[2:3], 3, v[1:2]
	s_or_b32 s2, s6, s2
	v_ashrrev_i32_e32 v1, 31, v0
	v_cndmask_b32_e64 v8, 0, 1, s2
	v_add_co_u32 v6, s1, s3, v2
	v_add_co_ci_u32_e64 v7, null, s4, v3, s1
	s_and_saveexec_b32 s1, s5
	s_cbranch_execz .LBB247_22
; %bb.19:
	v_lshlrev_b64 v[4:5], 3, v[0:1]
	v_mul_f32_e32 v2, s23, v23
	v_mul_f32_e32 v3, s22, v23
	v_fma_f32 v2, v22, s22, -v2
	v_add_co_u32 v4, vcc_lo, v6, v4
	v_fmac_f32_e32 v3, s23, v22
	v_add_co_ci_u32_e64 v5, null, v7, v5, vcc_lo
	s_andn2_b32 vcc_lo, exec_lo, s2
	s_cbranch_vccnz .LBB247_21
; %bb.20:
	global_load_dwordx2 v[10:11], v[4:5], off
	s_waitcnt vmcnt(0)
	v_mul_f32_e32 v12, s11, v11
	v_mul_f32_e32 v11, s10, v11
	v_fma_f32 v12, v10, s10, -v12
	v_fmac_f32_e32 v11, s11, v10
	v_add_f32_e32 v2, v2, v12
	v_add_f32_e32 v3, v3, v11
.LBB247_21:
	global_store_dwordx2 v[4:5], v[2:3], off
.LBB247_22:
	s_or_b32 exec_lo, exec_lo, s1
	v_add_nc_u32_e32 v2, 16, v0
	v_cmp_le_i32_e32 vcc_lo, v9, v2
	v_cmp_gt_i32_e64 s1, s9, v2
	v_ashrrev_i32_e32 v3, 31, v2
	s_and_b32 s2, vcc_lo, s1
	s_and_saveexec_b32 s5, s2
	s_cbranch_execz .LBB247_26
; %bb.23:
	v_lshlrev_b64 v[10:11], 3, v[2:3]
	v_mul_f32_e32 v4, s23, v21
	v_mul_f32_e32 v5, s22, v21
	v_cmp_ne_u32_e32 vcc_lo, 1, v8
	v_fma_f32 v4, v20, s22, -v4
	v_add_co_u32 v6, s2, v6, v10
	v_fmac_f32_e32 v5, s23, v20
	v_add_co_ci_u32_e64 v7, null, v7, v11, s2
	s_cbranch_vccnz .LBB247_25
; %bb.24:
	global_load_dwordx2 v[10:11], v[6:7], off
	s_waitcnt vmcnt(0)
	v_mul_f32_e32 v12, s11, v11
	v_mul_f32_e32 v11, s10, v11
	v_fma_f32 v12, v10, s10, -v12
	v_fmac_f32_e32 v11, s11, v10
	v_add_f32_e32 v4, v4, v12
	v_add_f32_e32 v5, v5, v11
.LBB247_25:
	global_store_dwordx2 v[6:7], v[4:5], off
.LBB247_26:
	s_or_b32 exec_lo, exec_lo, s5
	v_add_nc_u32_e32 v9, 16, v9
	v_ashrrev_i32_e32 v6, 31, v9
	v_mul_lo_u32 v7, s15, v9
	v_mad_u64_u32 v[4:5], null, s14, v9, 0
	v_cmp_le_i32_e32 vcc_lo, v9, v0
	v_mul_lo_u32 v6, s14, v6
	s_and_b32 s0, vcc_lo, s0
	v_add3_u32 v5, v5, v6, v7
	v_lshlrev_b64 v[4:5], 3, v[4:5]
	v_add_co_u32 v6, s2, s3, v4
	v_add_co_ci_u32_e64 v7, null, s4, v5, s2
	s_and_saveexec_b32 s2, s0
	s_cbranch_execz .LBB247_30
; %bb.27:
	v_lshlrev_b64 v[0:1], 3, v[0:1]
	v_mul_f32_e32 v4, s23, v19
	v_mul_f32_e32 v5, s22, v19
	v_cmp_ne_u32_e32 vcc_lo, 1, v8
	v_fma_f32 v4, v18, s22, -v4
	v_add_co_u32 v0, s0, v6, v0
	v_fmac_f32_e32 v5, s23, v18
	v_add_co_ci_u32_e64 v1, null, v7, v1, s0
	s_cbranch_vccnz .LBB247_29
; %bb.28:
	global_load_dwordx2 v[10:11], v[0:1], off
	s_waitcnt vmcnt(0)
	v_mul_f32_e32 v12, s11, v11
	v_mul_f32_e32 v11, s10, v11
	v_fma_f32 v12, v10, s10, -v12
	v_fmac_f32_e32 v11, s11, v10
	v_add_f32_e32 v4, v4, v12
	v_add_f32_e32 v5, v5, v11
.LBB247_29:
	global_store_dwordx2 v[0:1], v[4:5], off
.LBB247_30:
	s_or_b32 exec_lo, exec_lo, s2
	v_cmp_le_i32_e32 vcc_lo, v9, v2
	s_and_b32 s0, vcc_lo, s1
	s_and_saveexec_b32 s1, s0
	s_cbranch_execz .LBB247_34
; %bb.31:
	v_lshlrev_b64 v[2:3], 3, v[2:3]
	v_mul_f32_e32 v0, s23, v17
	v_mul_f32_e32 v1, s22, v17
	v_cmp_ne_u32_e32 vcc_lo, 1, v8
	v_fma_f32 v0, v16, s22, -v0
	v_add_co_u32 v2, s0, v6, v2
	v_fmac_f32_e32 v1, s23, v16
	v_add_co_ci_u32_e64 v3, null, v7, v3, s0
	s_cbranch_vccnz .LBB247_33
; %bb.32:
	global_load_dwordx2 v[4:5], v[2:3], off
	s_waitcnt vmcnt(0)
	v_mul_f32_e32 v6, s11, v5
	v_mul_f32_e32 v5, s10, v5
	v_fma_f32 v6, v4, s10, -v6
	v_fmac_f32_e32 v5, s11, v4
	v_add_f32_e32 v0, v0, v6
	v_add_f32_e32 v1, v1, v5
.LBB247_33:
	global_store_dwordx2 v[2:3], v[0:1], off
.LBB247_34:
	s_endpgm
	.section	.rodata,"a",@progbits
	.p2align	6, 0x0
	.amdhsa_kernel _ZL29rocblas_internal_gemmt_kernelIlLi16ELi32ELi8ELc84ELc84ELc76ELb0ELb0E19rocblas_complex_numIfES1_PKS1_PS1_EviT_T9_T10_S5_lS7_S5_lS6_T11_S5_li
		.amdhsa_group_segment_fixed_size 4096
		.amdhsa_private_segment_fixed_size 0
		.amdhsa_kernarg_size 108
		.amdhsa_user_sgpr_count 6
		.amdhsa_user_sgpr_private_segment_buffer 1
		.amdhsa_user_sgpr_dispatch_ptr 0
		.amdhsa_user_sgpr_queue_ptr 0
		.amdhsa_user_sgpr_kernarg_segment_ptr 1
		.amdhsa_user_sgpr_dispatch_id 0
		.amdhsa_user_sgpr_flat_scratch_init 0
		.amdhsa_user_sgpr_private_segment_size 0
		.amdhsa_wavefront_size32 1
		.amdhsa_uses_dynamic_stack 0
		.amdhsa_system_sgpr_private_segment_wavefront_offset 0
		.amdhsa_system_sgpr_workgroup_id_x 1
		.amdhsa_system_sgpr_workgroup_id_y 1
		.amdhsa_system_sgpr_workgroup_id_z 1
		.amdhsa_system_sgpr_workgroup_info 0
		.amdhsa_system_vgpr_workitem_id 1
		.amdhsa_next_free_vgpr 61
		.amdhsa_next_free_sgpr 29
		.amdhsa_reserve_vcc 1
		.amdhsa_reserve_flat_scratch 0
		.amdhsa_float_round_mode_32 0
		.amdhsa_float_round_mode_16_64 0
		.amdhsa_float_denorm_mode_32 3
		.amdhsa_float_denorm_mode_16_64 3
		.amdhsa_dx10_clamp 1
		.amdhsa_ieee_mode 1
		.amdhsa_fp16_overflow 0
		.amdhsa_workgroup_processor_mode 1
		.amdhsa_memory_ordered 1
		.amdhsa_forward_progress 1
		.amdhsa_shared_vgpr_count 0
		.amdhsa_exception_fp_ieee_invalid_op 0
		.amdhsa_exception_fp_denorm_src 0
		.amdhsa_exception_fp_ieee_div_zero 0
		.amdhsa_exception_fp_ieee_overflow 0
		.amdhsa_exception_fp_ieee_underflow 0
		.amdhsa_exception_fp_ieee_inexact 0
		.amdhsa_exception_int_div_zero 0
	.end_amdhsa_kernel
	.section	.text._ZL29rocblas_internal_gemmt_kernelIlLi16ELi32ELi8ELc84ELc84ELc76ELb0ELb0E19rocblas_complex_numIfES1_PKS1_PS1_EviT_T9_T10_S5_lS7_S5_lS6_T11_S5_li,"axG",@progbits,_ZL29rocblas_internal_gemmt_kernelIlLi16ELi32ELi8ELc84ELc84ELc76ELb0ELb0E19rocblas_complex_numIfES1_PKS1_PS1_EviT_T9_T10_S5_lS7_S5_lS6_T11_S5_li,comdat
.Lfunc_end247:
	.size	_ZL29rocblas_internal_gemmt_kernelIlLi16ELi32ELi8ELc84ELc84ELc76ELb0ELb0E19rocblas_complex_numIfES1_PKS1_PS1_EviT_T9_T10_S5_lS7_S5_lS6_T11_S5_li, .Lfunc_end247-_ZL29rocblas_internal_gemmt_kernelIlLi16ELi32ELi8ELc84ELc84ELc76ELb0ELb0E19rocblas_complex_numIfES1_PKS1_PS1_EviT_T9_T10_S5_lS7_S5_lS6_T11_S5_li
                                        ; -- End function
	.set _ZL29rocblas_internal_gemmt_kernelIlLi16ELi32ELi8ELc84ELc84ELc76ELb0ELb0E19rocblas_complex_numIfES1_PKS1_PS1_EviT_T9_T10_S5_lS7_S5_lS6_T11_S5_li.num_vgpr, 61
	.set _ZL29rocblas_internal_gemmt_kernelIlLi16ELi32ELi8ELc84ELc84ELc76ELb0ELb0E19rocblas_complex_numIfES1_PKS1_PS1_EviT_T9_T10_S5_lS7_S5_lS6_T11_S5_li.num_agpr, 0
	.set _ZL29rocblas_internal_gemmt_kernelIlLi16ELi32ELi8ELc84ELc84ELc76ELb0ELb0E19rocblas_complex_numIfES1_PKS1_PS1_EviT_T9_T10_S5_lS7_S5_lS6_T11_S5_li.numbered_sgpr, 29
	.set _ZL29rocblas_internal_gemmt_kernelIlLi16ELi32ELi8ELc84ELc84ELc76ELb0ELb0E19rocblas_complex_numIfES1_PKS1_PS1_EviT_T9_T10_S5_lS7_S5_lS6_T11_S5_li.num_named_barrier, 0
	.set _ZL29rocblas_internal_gemmt_kernelIlLi16ELi32ELi8ELc84ELc84ELc76ELb0ELb0E19rocblas_complex_numIfES1_PKS1_PS1_EviT_T9_T10_S5_lS7_S5_lS6_T11_S5_li.private_seg_size, 0
	.set _ZL29rocblas_internal_gemmt_kernelIlLi16ELi32ELi8ELc84ELc84ELc76ELb0ELb0E19rocblas_complex_numIfES1_PKS1_PS1_EviT_T9_T10_S5_lS7_S5_lS6_T11_S5_li.uses_vcc, 1
	.set _ZL29rocblas_internal_gemmt_kernelIlLi16ELi32ELi8ELc84ELc84ELc76ELb0ELb0E19rocblas_complex_numIfES1_PKS1_PS1_EviT_T9_T10_S5_lS7_S5_lS6_T11_S5_li.uses_flat_scratch, 0
	.set _ZL29rocblas_internal_gemmt_kernelIlLi16ELi32ELi8ELc84ELc84ELc76ELb0ELb0E19rocblas_complex_numIfES1_PKS1_PS1_EviT_T9_T10_S5_lS7_S5_lS6_T11_S5_li.has_dyn_sized_stack, 0
	.set _ZL29rocblas_internal_gemmt_kernelIlLi16ELi32ELi8ELc84ELc84ELc76ELb0ELb0E19rocblas_complex_numIfES1_PKS1_PS1_EviT_T9_T10_S5_lS7_S5_lS6_T11_S5_li.has_recursion, 0
	.set _ZL29rocblas_internal_gemmt_kernelIlLi16ELi32ELi8ELc84ELc84ELc76ELb0ELb0E19rocblas_complex_numIfES1_PKS1_PS1_EviT_T9_T10_S5_lS7_S5_lS6_T11_S5_li.has_indirect_call, 0
	.section	.AMDGPU.csdata,"",@progbits
; Kernel info:
; codeLenInByte = 2620
; TotalNumSgprs: 31
; NumVgprs: 61
; ScratchSize: 0
; MemoryBound: 0
; FloatMode: 240
; IeeeMode: 1
; LDSByteSize: 4096 bytes/workgroup (compile time only)
; SGPRBlocks: 0
; VGPRBlocks: 7
; NumSGPRsForWavesPerEU: 31
; NumVGPRsForWavesPerEU: 61
; Occupancy: 16
; WaveLimiterHint : 0
; COMPUTE_PGM_RSRC2:SCRATCH_EN: 0
; COMPUTE_PGM_RSRC2:USER_SGPR: 6
; COMPUTE_PGM_RSRC2:TRAP_HANDLER: 0
; COMPUTE_PGM_RSRC2:TGID_X_EN: 1
; COMPUTE_PGM_RSRC2:TGID_Y_EN: 1
; COMPUTE_PGM_RSRC2:TGID_Z_EN: 1
; COMPUTE_PGM_RSRC2:TIDIG_COMP_CNT: 1
	.section	.text._ZL29rocblas_internal_gemmt_kernelIlLi16ELi32ELi8ELc84ELc67ELc76ELb0ELb1E19rocblas_complex_numIfES1_PKS1_PS1_EviT_T9_T10_S5_lS7_S5_lS6_T11_S5_li,"axG",@progbits,_ZL29rocblas_internal_gemmt_kernelIlLi16ELi32ELi8ELc84ELc67ELc76ELb0ELb1E19rocblas_complex_numIfES1_PKS1_PS1_EviT_T9_T10_S5_lS7_S5_lS6_T11_S5_li,comdat
	.globl	_ZL29rocblas_internal_gemmt_kernelIlLi16ELi32ELi8ELc84ELc67ELc76ELb0ELb1E19rocblas_complex_numIfES1_PKS1_PS1_EviT_T9_T10_S5_lS7_S5_lS6_T11_S5_li ; -- Begin function _ZL29rocblas_internal_gemmt_kernelIlLi16ELi32ELi8ELc84ELc67ELc76ELb0ELb1E19rocblas_complex_numIfES1_PKS1_PS1_EviT_T9_T10_S5_lS7_S5_lS6_T11_S5_li
	.p2align	8
	.type	_ZL29rocblas_internal_gemmt_kernelIlLi16ELi32ELi8ELc84ELc67ELc76ELb0ELb1E19rocblas_complex_numIfES1_PKS1_PS1_EviT_T9_T10_S5_lS7_S5_lS6_T11_S5_li,@function
_ZL29rocblas_internal_gemmt_kernelIlLi16ELi32ELi8ELc84ELc67ELc76ELb0ELb1E19rocblas_complex_numIfES1_PKS1_PS1_EviT_T9_T10_S5_lS7_S5_lS6_T11_S5_li: ; @_ZL29rocblas_internal_gemmt_kernelIlLi16ELi32ELi8ELc84ELc67ELc76ELb0ELb1E19rocblas_complex_numIfES1_PKS1_PS1_EviT_T9_T10_S5_lS7_S5_lS6_T11_S5_li
; %bb.0:
	s_clause 0x1
	s_load_dwordx2 s[10:11], s[4:5], 0x48
	s_load_dwordx4 s[20:23], s[4:5], 0x8
	s_waitcnt lgkmcnt(0)
	s_and_b32 s0, s11, 0x7fffffff
	v_cmp_eq_f32_e64 s1, s10, 1.0
	s_cmp_eq_u32 s0, 0
	s_mov_b32 s0, 0
	s_cselect_b32 s28, -1, 0
	s_and_b32 s1, s1, s28
	s_andn2_b32 vcc_lo, exec_lo, s1
	s_mov_b32 s1, -1
	s_cbranch_vccnz .LBB248_4
; %bb.1:
	s_cmp_lg_u64 s[20:21], 0
	s_cbranch_scc0 .LBB248_3
; %bb.2:
	v_cmp_neq_f32_e64 s0, s22, 0
	v_cmp_neq_f32_e64 s1, s23, 0
	s_or_b32 s0, s0, s1
.LBB248_3:
	s_mov_b32 s1, s0
.LBB248_4:
	s_and_b32 vcc_lo, exec_lo, s1
	s_cbranch_vccz .LBB248_34
; %bb.5:
	s_load_dword s9, s[4:5], 0x0
	v_cmp_eq_f32_e64 s0, s22, 0
	v_cmp_eq_f32_e64 s1, s23, 0
	v_cmp_lt_i64_e64 s2, s[20:21], 1
	v_mov_b32_e32 v22, 0
	v_mov_b32_e32 v23, 0
	;; [unrolled: 1-line block ×3, first 2 shown]
	s_and_b32 s0, s0, s1
	v_mov_b32_e32 v21, 0
	v_mov_b32_e32 v18, 0
	;; [unrolled: 1-line block ×5, first 2 shown]
	s_or_b32 s0, s0, s2
	s_lshl_b32 s6, s6, 5
	s_and_b32 vcc_lo, exec_lo, s0
	s_lshl_b32 s7, s7, 5
	s_cbranch_vccnz .LBB248_18
; %bb.6:
	s_clause 0x1
	s_load_dwordx4 s[24:27], s[4:5], 0x38
	s_load_dwordx8 s[12:19], s[4:5], 0x18
	v_lshl_add_u32 v2, v1, 4, v0
	v_and_b32_e32 v6, 7, v0
	v_lshlrev_b32_e32 v14, 3, v0
	v_lshl_add_u32 v15, v1, 6, 0x800
	v_mov_b32_e32 v17, 0
	v_and_b32_e32 v4, 31, v2
	v_lshrrev_b32_e32 v3, 3, v2
	v_lshlrev_b32_e32 v5, 3, v6
	v_lshrrev_b32_e32 v7, 5, v2
	v_mov_b32_e32 v16, 0
	v_or_b32_e32 v8, s6, v4
	v_lshlrev_b32_e32 v9, 3, v4
	v_lshl_or_b32 v12, v3, 6, v5
	v_add_nc_u32_e32 v2, s7, v3
	v_mov_b32_e32 v19, 0
	v_mov_b32_e32 v18, 0
	;; [unrolled: 1-line block ×4, first 2 shown]
	s_waitcnt lgkmcnt(0)
	s_mul_i32 s1, s27, s8
	s_mul_hi_u32 s2, s26, s8
	s_mul_i32 s0, s26, s8
	s_add_i32 s1, s2, s1
	s_mul_i32 s3, s17, s8
	s_lshl_b64 s[0:1], s[0:1], 3
	s_mul_hi_u32 s17, s16, s8
	v_mul_lo_u32 v10, s15, v8
	s_add_u32 s15, s18, s0
	s_mul_i32 s2, s16, s8
	s_addc_u32 s16, s19, s1
	s_add_i32 s3, s17, s3
	v_mad_u64_u32 v[4:5], null, s14, v8, 0
	s_lshl_b64 s[0:1], s[2:3], 3
	v_ashrrev_i32_e32 v3, 31, v2
	s_add_u32 s2, s12, s0
	s_addc_u32 s3, s13, s1
	s_ashr_i32 s1, s6, 31
	v_cmp_gt_i32_e32 vcc_lo, s9, v2
	s_mul_i32 s1, s14, s1
	v_cmp_gt_i32_e64 s0, s9, v8
	v_add3_u32 v5, v5, s1, v10
	v_lshlrev_b64 v[10:11], 3, v[2:3]
	v_cmp_le_i32_e64 s12, s9, v8
	v_lshl_or_b32 v8, v7, 8, v9
	v_add_nc_u32_e32 v9, 0x800, v12
	v_lshlrev_b64 v[2:3], 3, v[4:5]
	v_mov_b32_e32 v23, 0
	v_add_co_u32 v10, s1, s15, v10
	v_add_co_ci_u32_e64 v11, null, s16, v11, s1
	v_add_co_u32 v12, s1, s2, v2
	v_add_co_ci_u32_e64 v13, null, s3, v3, s1
	v_mov_b32_e32 v3, 0
	v_mov_b32_e32 v22, 0
	s_mov_b64 s[2:3], 0
	s_xor_b32 s1, vcc_lo, -1
                                        ; implicit-def: $vgpr4_vgpr5
	s_branch .LBB248_8
.LBB248_7:                              ;   in Loop: Header=BB248_8 Depth=1
	s_or_b32 exec_lo, exec_lo, s13
	ds_write_b32 v9, v24 offset:4
	s_waitcnt lgkmcnt(0)
	s_barrier
	buffer_gl0_inv
	ds_read_b128 v[24:27], v15
	ds_read2_b64 v[28:31], v14 offset1:16
	ds_read_b128 v[32:35], v15 offset:1024
	ds_read_b128 v[36:39], v15 offset:16
	;; [unrolled: 1-line block ×4, first 2 shown]
	ds_read2_b64 v[48:51], v14 offset0:32 offset1:48
	ds_read_b128 v[52:55], v15 offset:1040
	s_add_u32 s2, s2, 8
	s_addc_u32 s3, s3, 0
	v_cmp_gt_i64_e64 s13, s[20:21], s[2:3]
	s_and_b32 vcc_lo, exec_lo, s13
	s_waitcnt lgkmcnt(6)
	v_mul_f32_e32 v2, v25, v29
	v_mul_f32_e32 v56, v24, v29
	;; [unrolled: 1-line block ×4, first 2 shown]
	s_waitcnt lgkmcnt(5)
	v_mul_f32_e32 v59, v33, v29
	v_mul_f32_e32 v29, v32, v29
	;; [unrolled: 1-line block ×3, first 2 shown]
	v_fma_f32 v2, v24, v28, -v2
	v_fmac_f32_e32 v56, v25, v28
	v_fma_f32 v24, v24, v30, -v57
	v_fmac_f32_e32 v58, v25, v30
	;; [unrolled: 2-line block ×3, first 2 shown]
	v_mul_f32_e32 v31, v32, v31
	v_fma_f32 v28, v32, v30, -v60
	v_add_f32_e32 v2, v22, v2
	v_add_f32_e32 v22, v23, v56
	v_add_f32_e32 v23, v20, v24
	v_add_f32_e32 v24, v21, v58
	v_add_f32_e32 v25, v18, v25
	v_add_f32_e32 v29, v19, v29
	s_waitcnt lgkmcnt(1)
	v_mul_f32_e32 v32, v27, v49
	ds_read2_b64 v[18:21], v14 offset0:64 offset1:80
	v_fmac_f32_e32 v31, v33, v30
	v_add_f32_e32 v16, v16, v28
	v_mul_f32_e32 v28, v26, v49
	v_fma_f32 v30, v26, v48, -v32
	v_mul_f32_e32 v32, v27, v51
	v_add_f32_e32 v17, v17, v31
	v_mul_f32_e32 v31, v26, v51
	v_fmac_f32_e32 v28, v27, v48
	v_add_f32_e32 v2, v2, v30
	v_fma_f32 v26, v26, v50, -v32
	v_mul_f32_e32 v30, v35, v49
	v_fmac_f32_e32 v31, v27, v50
	v_add_f32_e32 v28, v22, v28
	v_mul_f32_e32 v22, v34, v49
	v_add_f32_e32 v26, v23, v26
	v_fma_f32 v23, v34, v48, -v30
	v_mul_f32_e32 v27, v35, v51
	v_add_f32_e32 v30, v24, v31
	v_fmac_f32_e32 v22, v35, v48
	v_mul_f32_e32 v31, v34, v51
	v_add_f32_e32 v32, v25, v23
	v_fma_f32 v23, v34, v50, -v27
	s_waitcnt lgkmcnt(0)
	v_mul_f32_e32 v24, v37, v19
	v_add_f32_e32 v27, v29, v22
	v_fmac_f32_e32 v31, v35, v50
	v_mul_f32_e32 v29, v36, v19
	v_add_f32_e32 v16, v16, v23
	v_fma_f32 v33, v36, v18, -v24
	v_mul_f32_e32 v34, v37, v21
	ds_read2_b64 v[22:25], v14 offset0:96 offset1:112
	v_fmac_f32_e32 v29, v37, v18
	v_add_f32_e32 v31, v17, v31
	v_add_f32_e32 v2, v2, v33
	v_mul_f32_e32 v17, v36, v21
	v_fma_f32 v33, v36, v20, -v34
	v_add_f32_e32 v28, v28, v29
	v_mul_f32_e32 v29, v53, v19
	v_mul_f32_e32 v19, v52, v19
	v_fmac_f32_e32 v17, v37, v20
	v_add_f32_e32 v26, v26, v33
	v_mul_f32_e32 v33, v53, v21
	v_mul_f32_e32 v21, v52, v21
	v_fmac_f32_e32 v19, v53, v18
	v_add_f32_e32 v30, v30, v17
	v_fma_f32 v29, v52, v18, -v29
	v_fma_f32 v17, v52, v20, -v33
	v_fmac_f32_e32 v21, v53, v20
	v_add_f32_e32 v33, v27, v19
	s_waitcnt lgkmcnt(0)
	v_mul_f32_e32 v20, v39, v23
	v_add_f32_e32 v34, v16, v17
	ds_read2_b64 v[16:19], v14 offset0:128 offset1:144
	v_add_f32_e32 v32, v32, v29
	v_mul_f32_e32 v27, v38, v23
	v_mul_f32_e32 v29, v39, v25
	v_fma_f32 v20, v38, v22, -v20
	v_add_f32_e32 v31, v31, v21
	v_mul_f32_e32 v21, v38, v25
	v_fmac_f32_e32 v27, v39, v22
	v_fma_f32 v29, v38, v24, -v29
	v_add_f32_e32 v2, v2, v20
	v_mul_f32_e32 v20, v55, v23
	v_fmac_f32_e32 v21, v39, v24
	v_add_f32_e32 v35, v28, v27
	v_add_f32_e32 v36, v26, v29
	v_mul_f32_e32 v23, v54, v23
	v_fma_f32 v20, v54, v22, -v20
	v_mul_f32_e32 v37, v55, v25
	ds_read_b128 v[26:29], v15 offset:1056
	v_add_f32_e32 v38, v30, v21
	v_fmac_f32_e32 v23, v55, v22
	v_mul_f32_e32 v25, v54, v25
	v_fma_f32 v21, v54, v24, -v37
	v_add_f32_e32 v37, v32, v20
	s_waitcnt lgkmcnt(1)
	v_mul_f32_e32 v20, v41, v17
	v_add_f32_e32 v39, v33, v23
	v_fmac_f32_e32 v25, v55, v24
	v_add_f32_e32 v24, v34, v21
	v_mul_f32_e32 v32, v41, v19
	v_fma_f32 v30, v40, v16, -v20
	ds_read2_b64 v[20:23], v14 offset0:160 offset1:176
	v_mul_f32_e32 v34, v40, v17
	v_add_f32_e32 v25, v31, v25
	v_fma_f32 v48, v40, v18, -v32
	v_mul_f32_e32 v40, v40, v19
	v_add_f32_e32 v2, v2, v30
	v_fmac_f32_e32 v34, v41, v16
	ds_read_b128 v[30:33], v15 offset:1072
	s_waitcnt lgkmcnt(2)
	v_mul_f32_e32 v49, v27, v17
	v_mul_f32_e32 v17, v26, v17
	v_fmac_f32_e32 v40, v41, v18
	v_mul_f32_e32 v41, v27, v19
	v_add_f32_e32 v34, v35, v34
	v_add_f32_e32 v35, v36, v48
	v_fma_f32 v36, v26, v16, -v49
	v_fmac_f32_e32 v17, v27, v16
	v_add_f32_e32 v38, v38, v40
	v_mul_f32_e32 v40, v26, v19
	v_fma_f32 v16, v26, v18, -v41
	v_add_f32_e32 v36, v37, v36
	v_add_f32_e32 v26, v39, v17
	s_waitcnt lgkmcnt(1)
	v_mul_f32_e32 v37, v43, v21
	v_fmac_f32_e32 v40, v27, v18
	v_add_f32_e32 v24, v24, v16
	ds_read2_b64 v[16:19], v14 offset0:192 offset1:208
	v_mul_f32_e32 v27, v42, v21
	v_fma_f32 v37, v42, v20, -v37
	v_mul_f32_e32 v39, v43, v23
	v_add_f32_e32 v40, v25, v40
	v_mul_f32_e32 v25, v42, v23
	v_fmac_f32_e32 v27, v43, v20
	v_add_f32_e32 v2, v2, v37
	v_fma_f32 v37, v42, v22, -v39
	v_fmac_f32_e32 v25, v43, v22
	v_add_f32_e32 v34, v34, v27
	v_mul_f32_e32 v27, v29, v21
	v_mul_f32_e32 v21, v28, v21
	v_add_f32_e32 v35, v35, v37
	v_mul_f32_e32 v37, v29, v23
	v_add_f32_e32 v38, v38, v25
	v_fma_f32 v27, v28, v20, -v27
	v_fmac_f32_e32 v21, v29, v20
	v_mul_f32_e32 v20, v28, v23
	v_fma_f32 v23, v28, v22, -v37
	s_waitcnt lgkmcnt(0)
	v_mul_f32_e32 v25, v45, v17
	v_add_f32_e32 v28, v36, v27
	v_add_f32_e32 v21, v26, v21
	v_fmac_f32_e32 v20, v29, v22
	v_add_f32_e32 v22, v24, v23
	v_fma_f32 v29, v44, v16, -v25
	ds_read2_b64 v[24:27], v14 offset0:224 offset1:240
	v_mul_f32_e32 v23, v44, v17
	v_mul_f32_e32 v37, v31, v17
	v_mul_f32_e32 v17, v30, v17
	v_mul_f32_e32 v36, v45, v19
	v_add_f32_e32 v2, v2, v29
	v_fmac_f32_e32 v23, v45, v16
	v_mul_f32_e32 v29, v44, v19
	v_fmac_f32_e32 v17, v31, v16
	v_fma_f32 v36, v44, v18, -v36
	v_add_f32_e32 v20, v40, v20
	v_add_f32_e32 v23, v34, v23
	v_fma_f32 v34, v30, v16, -v37
	v_mul_f32_e32 v16, v31, v19
	v_mul_f32_e32 v19, v30, v19
	v_fmac_f32_e32 v29, v45, v18
	v_add_f32_e32 v17, v21, v17
	v_add_f32_e32 v35, v35, v36
	v_fma_f32 v16, v30, v18, -v16
	v_fmac_f32_e32 v19, v31, v18
	s_waitcnt lgkmcnt(0)
	v_mul_f32_e32 v21, v47, v25
	v_mul_f32_e32 v18, v47, v27
	v_add_f32_e32 v28, v28, v34
	v_mul_f32_e32 v30, v46, v25
	v_add_f32_e32 v16, v22, v16
	v_fma_f32 v21, v46, v24, -v21
	v_fma_f32 v18, v46, v26, -v18
	v_mul_f32_e32 v31, v46, v27
	v_add_f32_e32 v34, v20, v19
	v_mul_f32_e32 v19, v32, v25
	v_add_f32_e32 v22, v2, v21
	v_add_f32_e32 v20, v35, v18
	v_mul_f32_e32 v2, v33, v25
	v_mul_f32_e32 v18, v33, v27
	;; [unrolled: 1-line block ×3, first 2 shown]
	v_add_f32_e32 v29, v38, v29
	v_fmac_f32_e32 v30, v47, v24
	v_fmac_f32_e32 v31, v47, v26
	v_fma_f32 v2, v32, v24, -v2
	v_fmac_f32_e32 v19, v33, v24
	v_fma_f32 v24, v32, v26, -v18
	v_fmac_f32_e32 v25, v33, v26
	v_add_f32_e32 v23, v23, v30
	v_add_f32_e32 v21, v29, v31
	;; [unrolled: 1-line block ×6, first 2 shown]
	s_barrier
	buffer_gl0_inv
	s_cbranch_vccz .LBB248_18
.LBB248_8:                              ; =>This Inner Loop Header: Depth=1
	s_mov_b32 s15, s12
	s_mov_b32 s13, 0
	s_and_saveexec_b32 s14, s0
	s_cbranch_execnz .LBB248_16
; %bb.9:                                ;   in Loop: Header=BB248_8 Depth=1
	s_or_b32 exec_lo, exec_lo, s14
	s_and_saveexec_b32 s14, s15
	s_xor_b32 s14, exec_lo, s14
	s_cbranch_execnz .LBB248_17
.LBB248_10:                             ;   in Loop: Header=BB248_8 Depth=1
	s_or_b32 exec_lo, exec_lo, s14
	s_and_saveexec_b32 s14, s13
	s_cbranch_execz .LBB248_12
.LBB248_11:                             ;   in Loop: Header=BB248_8 Depth=1
	v_lshlrev_b64 v[24:25], 3, v[4:5]
	v_add_co_u32 v24, vcc_lo, v12, v24
	v_add_co_ci_u32_e64 v25, null, v13, v25, vcc_lo
	global_load_dwordx2 v[24:25], v[24:25], off
	s_waitcnt vmcnt(0)
	ds_write_b64 v8, v[24:25]
.LBB248_12:                             ;   in Loop: Header=BB248_8 Depth=1
	s_or_b32 exec_lo, exec_lo, s14
	v_add_nc_u32_e32 v2, s2, v6
	v_cmp_le_u64_e32 vcc_lo, s[20:21], v[2:3]
	s_or_b32 s13, vcc_lo, s1
	s_and_saveexec_b32 s14, s13
	s_xor_b32 s13, exec_lo, s14
; %bb.13:                               ;   in Loop: Header=BB248_8 Depth=1
	ds_write_b32 v9, v3
; %bb.14:                               ;   in Loop: Header=BB248_8 Depth=1
	s_or_saveexec_b32 s13, s13
	v_mov_b32_e32 v24, 0
	s_xor_b32 exec_lo, exec_lo, s13
	s_cbranch_execz .LBB248_7
; %bb.15:                               ;   in Loop: Header=BB248_8 Depth=1
	v_mad_u64_u32 v[24:25], null, s24, v2, 0
	v_mad_u64_u32 v[25:26], null, s25, v2, v[25:26]
	v_lshlrev_b64 v[24:25], 3, v[24:25]
	v_add_co_u32 v24, vcc_lo, v10, v24
	v_add_co_ci_u32_e64 v25, null, v11, v25, vcc_lo
	global_load_dwordx2 v[25:26], v[24:25], off
	s_waitcnt vmcnt(0)
	v_xor_b32_e32 v24, 0x80000000, v26
	ds_write_b32 v9, v25
	s_branch .LBB248_7
.LBB248_16:                             ;   in Loop: Header=BB248_8 Depth=1
	v_add_nc_u32_e32 v2, s2, v7
	v_mov_b32_e32 v5, v3
	s_andn2_b32 s15, s12, exec_lo
	s_mov_b32 s13, exec_lo
	v_cmp_le_u64_e32 vcc_lo, s[20:21], v[2:3]
	v_mov_b32_e32 v4, v2
	s_and_b32 s16, vcc_lo, exec_lo
	s_or_b32 s15, s15, s16
	s_or_b32 exec_lo, exec_lo, s14
	s_and_saveexec_b32 s14, s15
	s_xor_b32 s14, exec_lo, s14
	s_cbranch_execz .LBB248_10
.LBB248_17:                             ;   in Loop: Header=BB248_8 Depth=1
	v_mov_b32_e32 v2, v3
	s_andn2_b32 s13, s13, exec_lo
	ds_write_b64 v8, v[2:3]
	s_or_b32 exec_lo, exec_lo, s14
	s_and_saveexec_b32 s14, s13
	s_cbranch_execnz .LBB248_11
	s_branch .LBB248_12
.LBB248_18:
	s_clause 0x1
	s_load_dwordx4 s[12:15], s[4:5], 0x50
	s_load_dwordx2 s[0:1], s[4:5], 0x60
	v_add_nc_u32_e32 v9, s7, v1
	v_add_nc_u32_e32 v0, s6, v0
	v_cmp_neq_f32_e64 s6, s10, 0
	v_ashrrev_i32_e32 v1, 31, v9
	v_cmp_le_i32_e32 vcc_lo, v9, v0
	s_waitcnt lgkmcnt(0)
	v_mul_lo_u32 v3, s14, v1
	v_mul_lo_u32 v4, s15, v9
	v_mad_u64_u32 v[1:2], null, s14, v9, 0
	s_mul_i32 s1, s1, s8
	s_mul_hi_u32 s3, s0, s8
	s_mul_i32 s2, s0, s8
	s_add_i32 s3, s3, s1
	v_cmp_gt_i32_e64 s0, s9, v0
	s_lshl_b64 s[4:5], s[2:3], 3
	v_add3_u32 v2, v2, v3, v4
	s_add_u32 s3, s12, s4
	s_addc_u32 s4, s13, s5
	s_xor_b32 s2, s28, -1
	s_and_b32 s5, vcc_lo, s0
	v_lshlrev_b64 v[2:3], 3, v[1:2]
	s_or_b32 s2, s6, s2
	v_ashrrev_i32_e32 v1, 31, v0
	v_cndmask_b32_e64 v8, 0, 1, s2
	v_add_co_u32 v6, s1, s3, v2
	v_add_co_ci_u32_e64 v7, null, s4, v3, s1
	s_and_saveexec_b32 s1, s5
	s_cbranch_execz .LBB248_22
; %bb.19:
	v_lshlrev_b64 v[4:5], 3, v[0:1]
	v_mul_f32_e32 v2, s23, v23
	v_mul_f32_e32 v3, s22, v23
	v_fma_f32 v2, v22, s22, -v2
	v_add_co_u32 v4, vcc_lo, v6, v4
	v_fmac_f32_e32 v3, s23, v22
	v_add_co_ci_u32_e64 v5, null, v7, v5, vcc_lo
	s_andn2_b32 vcc_lo, exec_lo, s2
	s_cbranch_vccnz .LBB248_21
; %bb.20:
	global_load_dwordx2 v[10:11], v[4:5], off
	s_waitcnt vmcnt(0)
	v_mul_f32_e32 v12, s11, v11
	v_mul_f32_e32 v11, s10, v11
	v_fma_f32 v12, v10, s10, -v12
	v_fmac_f32_e32 v11, s11, v10
	v_add_f32_e32 v2, v2, v12
	v_add_f32_e32 v3, v3, v11
.LBB248_21:
	global_store_dwordx2 v[4:5], v[2:3], off
.LBB248_22:
	s_or_b32 exec_lo, exec_lo, s1
	v_add_nc_u32_e32 v2, 16, v0
	v_cmp_le_i32_e32 vcc_lo, v9, v2
	v_cmp_gt_i32_e64 s1, s9, v2
	v_ashrrev_i32_e32 v3, 31, v2
	s_and_b32 s2, vcc_lo, s1
	s_and_saveexec_b32 s5, s2
	s_cbranch_execz .LBB248_26
; %bb.23:
	v_lshlrev_b64 v[10:11], 3, v[2:3]
	v_mul_f32_e32 v4, s23, v21
	v_mul_f32_e32 v5, s22, v21
	v_cmp_ne_u32_e32 vcc_lo, 1, v8
	v_fma_f32 v4, v20, s22, -v4
	v_add_co_u32 v6, s2, v6, v10
	v_fmac_f32_e32 v5, s23, v20
	v_add_co_ci_u32_e64 v7, null, v7, v11, s2
	s_cbranch_vccnz .LBB248_25
; %bb.24:
	global_load_dwordx2 v[10:11], v[6:7], off
	s_waitcnt vmcnt(0)
	v_mul_f32_e32 v12, s11, v11
	v_mul_f32_e32 v11, s10, v11
	v_fma_f32 v12, v10, s10, -v12
	v_fmac_f32_e32 v11, s11, v10
	v_add_f32_e32 v4, v4, v12
	v_add_f32_e32 v5, v5, v11
.LBB248_25:
	global_store_dwordx2 v[6:7], v[4:5], off
.LBB248_26:
	s_or_b32 exec_lo, exec_lo, s5
	v_add_nc_u32_e32 v9, 16, v9
	v_ashrrev_i32_e32 v6, 31, v9
	v_mul_lo_u32 v7, s15, v9
	v_mad_u64_u32 v[4:5], null, s14, v9, 0
	v_cmp_le_i32_e32 vcc_lo, v9, v0
	v_mul_lo_u32 v6, s14, v6
	s_and_b32 s0, vcc_lo, s0
	v_add3_u32 v5, v5, v6, v7
	v_lshlrev_b64 v[4:5], 3, v[4:5]
	v_add_co_u32 v6, s2, s3, v4
	v_add_co_ci_u32_e64 v7, null, s4, v5, s2
	s_and_saveexec_b32 s2, s0
	s_cbranch_execz .LBB248_30
; %bb.27:
	v_lshlrev_b64 v[0:1], 3, v[0:1]
	v_mul_f32_e32 v4, s23, v19
	v_mul_f32_e32 v5, s22, v19
	v_cmp_ne_u32_e32 vcc_lo, 1, v8
	v_fma_f32 v4, v18, s22, -v4
	v_add_co_u32 v0, s0, v6, v0
	v_fmac_f32_e32 v5, s23, v18
	v_add_co_ci_u32_e64 v1, null, v7, v1, s0
	s_cbranch_vccnz .LBB248_29
; %bb.28:
	global_load_dwordx2 v[10:11], v[0:1], off
	s_waitcnt vmcnt(0)
	v_mul_f32_e32 v12, s11, v11
	v_mul_f32_e32 v11, s10, v11
	v_fma_f32 v12, v10, s10, -v12
	v_fmac_f32_e32 v11, s11, v10
	v_add_f32_e32 v4, v4, v12
	v_add_f32_e32 v5, v5, v11
.LBB248_29:
	global_store_dwordx2 v[0:1], v[4:5], off
.LBB248_30:
	s_or_b32 exec_lo, exec_lo, s2
	v_cmp_le_i32_e32 vcc_lo, v9, v2
	s_and_b32 s0, vcc_lo, s1
	s_and_saveexec_b32 s1, s0
	s_cbranch_execz .LBB248_34
; %bb.31:
	v_lshlrev_b64 v[2:3], 3, v[2:3]
	v_mul_f32_e32 v0, s23, v17
	v_mul_f32_e32 v1, s22, v17
	v_cmp_ne_u32_e32 vcc_lo, 1, v8
	v_fma_f32 v0, v16, s22, -v0
	v_add_co_u32 v2, s0, v6, v2
	v_fmac_f32_e32 v1, s23, v16
	v_add_co_ci_u32_e64 v3, null, v7, v3, s0
	s_cbranch_vccnz .LBB248_33
; %bb.32:
	global_load_dwordx2 v[4:5], v[2:3], off
	s_waitcnt vmcnt(0)
	v_mul_f32_e32 v6, s11, v5
	v_mul_f32_e32 v5, s10, v5
	v_fma_f32 v6, v4, s10, -v6
	v_fmac_f32_e32 v5, s11, v4
	v_add_f32_e32 v0, v0, v6
	v_add_f32_e32 v1, v1, v5
.LBB248_33:
	global_store_dwordx2 v[2:3], v[0:1], off
.LBB248_34:
	s_endpgm
	.section	.rodata,"a",@progbits
	.p2align	6, 0x0
	.amdhsa_kernel _ZL29rocblas_internal_gemmt_kernelIlLi16ELi32ELi8ELc84ELc67ELc76ELb0ELb1E19rocblas_complex_numIfES1_PKS1_PS1_EviT_T9_T10_S5_lS7_S5_lS6_T11_S5_li
		.amdhsa_group_segment_fixed_size 4096
		.amdhsa_private_segment_fixed_size 0
		.amdhsa_kernarg_size 108
		.amdhsa_user_sgpr_count 6
		.amdhsa_user_sgpr_private_segment_buffer 1
		.amdhsa_user_sgpr_dispatch_ptr 0
		.amdhsa_user_sgpr_queue_ptr 0
		.amdhsa_user_sgpr_kernarg_segment_ptr 1
		.amdhsa_user_sgpr_dispatch_id 0
		.amdhsa_user_sgpr_flat_scratch_init 0
		.amdhsa_user_sgpr_private_segment_size 0
		.amdhsa_wavefront_size32 1
		.amdhsa_uses_dynamic_stack 0
		.amdhsa_system_sgpr_private_segment_wavefront_offset 0
		.amdhsa_system_sgpr_workgroup_id_x 1
		.amdhsa_system_sgpr_workgroup_id_y 1
		.amdhsa_system_sgpr_workgroup_id_z 1
		.amdhsa_system_sgpr_workgroup_info 0
		.amdhsa_system_vgpr_workitem_id 1
		.amdhsa_next_free_vgpr 61
		.amdhsa_next_free_sgpr 29
		.amdhsa_reserve_vcc 1
		.amdhsa_reserve_flat_scratch 0
		.amdhsa_float_round_mode_32 0
		.amdhsa_float_round_mode_16_64 0
		.amdhsa_float_denorm_mode_32 3
		.amdhsa_float_denorm_mode_16_64 3
		.amdhsa_dx10_clamp 1
		.amdhsa_ieee_mode 1
		.amdhsa_fp16_overflow 0
		.amdhsa_workgroup_processor_mode 1
		.amdhsa_memory_ordered 1
		.amdhsa_forward_progress 1
		.amdhsa_shared_vgpr_count 0
		.amdhsa_exception_fp_ieee_invalid_op 0
		.amdhsa_exception_fp_denorm_src 0
		.amdhsa_exception_fp_ieee_div_zero 0
		.amdhsa_exception_fp_ieee_overflow 0
		.amdhsa_exception_fp_ieee_underflow 0
		.amdhsa_exception_fp_ieee_inexact 0
		.amdhsa_exception_int_div_zero 0
	.end_amdhsa_kernel
	.section	.text._ZL29rocblas_internal_gemmt_kernelIlLi16ELi32ELi8ELc84ELc67ELc76ELb0ELb1E19rocblas_complex_numIfES1_PKS1_PS1_EviT_T9_T10_S5_lS7_S5_lS6_T11_S5_li,"axG",@progbits,_ZL29rocblas_internal_gemmt_kernelIlLi16ELi32ELi8ELc84ELc67ELc76ELb0ELb1E19rocblas_complex_numIfES1_PKS1_PS1_EviT_T9_T10_S5_lS7_S5_lS6_T11_S5_li,comdat
.Lfunc_end248:
	.size	_ZL29rocblas_internal_gemmt_kernelIlLi16ELi32ELi8ELc84ELc67ELc76ELb0ELb1E19rocblas_complex_numIfES1_PKS1_PS1_EviT_T9_T10_S5_lS7_S5_lS6_T11_S5_li, .Lfunc_end248-_ZL29rocblas_internal_gemmt_kernelIlLi16ELi32ELi8ELc84ELc67ELc76ELb0ELb1E19rocblas_complex_numIfES1_PKS1_PS1_EviT_T9_T10_S5_lS7_S5_lS6_T11_S5_li
                                        ; -- End function
	.set _ZL29rocblas_internal_gemmt_kernelIlLi16ELi32ELi8ELc84ELc67ELc76ELb0ELb1E19rocblas_complex_numIfES1_PKS1_PS1_EviT_T9_T10_S5_lS7_S5_lS6_T11_S5_li.num_vgpr, 61
	.set _ZL29rocblas_internal_gemmt_kernelIlLi16ELi32ELi8ELc84ELc67ELc76ELb0ELb1E19rocblas_complex_numIfES1_PKS1_PS1_EviT_T9_T10_S5_lS7_S5_lS6_T11_S5_li.num_agpr, 0
	.set _ZL29rocblas_internal_gemmt_kernelIlLi16ELi32ELi8ELc84ELc67ELc76ELb0ELb1E19rocblas_complex_numIfES1_PKS1_PS1_EviT_T9_T10_S5_lS7_S5_lS6_T11_S5_li.numbered_sgpr, 29
	.set _ZL29rocblas_internal_gemmt_kernelIlLi16ELi32ELi8ELc84ELc67ELc76ELb0ELb1E19rocblas_complex_numIfES1_PKS1_PS1_EviT_T9_T10_S5_lS7_S5_lS6_T11_S5_li.num_named_barrier, 0
	.set _ZL29rocblas_internal_gemmt_kernelIlLi16ELi32ELi8ELc84ELc67ELc76ELb0ELb1E19rocblas_complex_numIfES1_PKS1_PS1_EviT_T9_T10_S5_lS7_S5_lS6_T11_S5_li.private_seg_size, 0
	.set _ZL29rocblas_internal_gemmt_kernelIlLi16ELi32ELi8ELc84ELc67ELc76ELb0ELb1E19rocblas_complex_numIfES1_PKS1_PS1_EviT_T9_T10_S5_lS7_S5_lS6_T11_S5_li.uses_vcc, 1
	.set _ZL29rocblas_internal_gemmt_kernelIlLi16ELi32ELi8ELc84ELc67ELc76ELb0ELb1E19rocblas_complex_numIfES1_PKS1_PS1_EviT_T9_T10_S5_lS7_S5_lS6_T11_S5_li.uses_flat_scratch, 0
	.set _ZL29rocblas_internal_gemmt_kernelIlLi16ELi32ELi8ELc84ELc67ELc76ELb0ELb1E19rocblas_complex_numIfES1_PKS1_PS1_EviT_T9_T10_S5_lS7_S5_lS6_T11_S5_li.has_dyn_sized_stack, 0
	.set _ZL29rocblas_internal_gemmt_kernelIlLi16ELi32ELi8ELc84ELc67ELc76ELb0ELb1E19rocblas_complex_numIfES1_PKS1_PS1_EviT_T9_T10_S5_lS7_S5_lS6_T11_S5_li.has_recursion, 0
	.set _ZL29rocblas_internal_gemmt_kernelIlLi16ELi32ELi8ELc84ELc67ELc76ELb0ELb1E19rocblas_complex_numIfES1_PKS1_PS1_EviT_T9_T10_S5_lS7_S5_lS6_T11_S5_li.has_indirect_call, 0
	.section	.AMDGPU.csdata,"",@progbits
; Kernel info:
; codeLenInByte = 2640
; TotalNumSgprs: 31
; NumVgprs: 61
; ScratchSize: 0
; MemoryBound: 0
; FloatMode: 240
; IeeeMode: 1
; LDSByteSize: 4096 bytes/workgroup (compile time only)
; SGPRBlocks: 0
; VGPRBlocks: 7
; NumSGPRsForWavesPerEU: 31
; NumVGPRsForWavesPerEU: 61
; Occupancy: 16
; WaveLimiterHint : 0
; COMPUTE_PGM_RSRC2:SCRATCH_EN: 0
; COMPUTE_PGM_RSRC2:USER_SGPR: 6
; COMPUTE_PGM_RSRC2:TRAP_HANDLER: 0
; COMPUTE_PGM_RSRC2:TGID_X_EN: 1
; COMPUTE_PGM_RSRC2:TGID_Y_EN: 1
; COMPUTE_PGM_RSRC2:TGID_Z_EN: 1
; COMPUTE_PGM_RSRC2:TIDIG_COMP_CNT: 1
	.section	.text._ZL29rocblas_internal_gemmt_kernelIlLi16ELi32ELi8ELc67ELc78ELc76ELb1ELb0E19rocblas_complex_numIfES1_PKS1_PS1_EviT_T9_T10_S5_lS7_S5_lS6_T11_S5_li,"axG",@progbits,_ZL29rocblas_internal_gemmt_kernelIlLi16ELi32ELi8ELc67ELc78ELc76ELb1ELb0E19rocblas_complex_numIfES1_PKS1_PS1_EviT_T9_T10_S5_lS7_S5_lS6_T11_S5_li,comdat
	.globl	_ZL29rocblas_internal_gemmt_kernelIlLi16ELi32ELi8ELc67ELc78ELc76ELb1ELb0E19rocblas_complex_numIfES1_PKS1_PS1_EviT_T9_T10_S5_lS7_S5_lS6_T11_S5_li ; -- Begin function _ZL29rocblas_internal_gemmt_kernelIlLi16ELi32ELi8ELc67ELc78ELc76ELb1ELb0E19rocblas_complex_numIfES1_PKS1_PS1_EviT_T9_T10_S5_lS7_S5_lS6_T11_S5_li
	.p2align	8
	.type	_ZL29rocblas_internal_gemmt_kernelIlLi16ELi32ELi8ELc67ELc78ELc76ELb1ELb0E19rocblas_complex_numIfES1_PKS1_PS1_EviT_T9_T10_S5_lS7_S5_lS6_T11_S5_li,@function
_ZL29rocblas_internal_gemmt_kernelIlLi16ELi32ELi8ELc67ELc78ELc76ELb1ELb0E19rocblas_complex_numIfES1_PKS1_PS1_EviT_T9_T10_S5_lS7_S5_lS6_T11_S5_li: ; @_ZL29rocblas_internal_gemmt_kernelIlLi16ELi32ELi8ELc67ELc78ELc76ELb1ELb0E19rocblas_complex_numIfES1_PKS1_PS1_EviT_T9_T10_S5_lS7_S5_lS6_T11_S5_li
; %bb.0:
	s_clause 0x1
	s_load_dwordx2 s[10:11], s[4:5], 0x48
	s_load_dwordx4 s[20:23], s[4:5], 0x8
	s_waitcnt lgkmcnt(0)
	s_and_b32 s0, s11, 0x7fffffff
	v_cmp_eq_f32_e64 s1, s10, 1.0
	s_cmp_eq_u32 s0, 0
	s_mov_b32 s0, 0
	s_cselect_b32 s24, -1, 0
	s_and_b32 s1, s1, s24
	s_andn2_b32 vcc_lo, exec_lo, s1
	s_mov_b32 s1, -1
	s_cbranch_vccnz .LBB249_4
; %bb.1:
	s_cmp_lg_u64 s[20:21], 0
	s_cbranch_scc0 .LBB249_3
; %bb.2:
	v_cmp_neq_f32_e64 s0, s22, 0
	v_cmp_neq_f32_e64 s1, s23, 0
	s_or_b32 s0, s0, s1
.LBB249_3:
	s_mov_b32 s1, s0
.LBB249_4:
	s_and_b32 vcc_lo, exec_lo, s1
	s_cbranch_vccz .LBB249_34
; %bb.5:
	s_load_dword s9, s[4:5], 0x0
	v_cmp_eq_f32_e64 s0, s22, 0
	v_cmp_eq_f32_e64 s1, s23, 0
	v_cmp_lt_i64_e64 s2, s[20:21], 1
	v_mov_b32_e32 v22, 0
	v_mov_b32_e32 v23, 0
	;; [unrolled: 1-line block ×3, first 2 shown]
	s_and_b32 s0, s0, s1
	v_mov_b32_e32 v21, 0
	v_mov_b32_e32 v18, 0
	;; [unrolled: 1-line block ×5, first 2 shown]
	s_or_b32 s0, s0, s2
	s_lshl_b32 s6, s6, 5
	s_and_b32 vcc_lo, exec_lo, s0
	s_lshl_b32 s7, s7, 5
	s_cbranch_vccnz .LBB249_18
; %bb.6:
	s_clause 0x1
	s_load_dwordx4 s[0:3], s[4:5], 0x38
	s_load_dwordx8 s[12:19], s[4:5], 0x18
	v_lshl_add_u32 v7, v1, 4, v0
	v_and_b32_e32 v6, 7, v0
	v_mov_b32_e32 v17, 0
	v_mov_b32_e32 v16, 0
	;; [unrolled: 1-line block ×3, first 2 shown]
	v_lshrrev_b32_e32 v8, 3, v7
	v_and_b32_e32 v9, 31, v7
	v_lshlrev_b32_e32 v15, 3, v6
	v_lshrrev_b32_e32 v7, 5, v7
	v_mov_b32_e32 v18, 0
	v_add_nc_u32_e32 v10, s7, v8
	v_or_b32_e32 v11, s6, v9
	v_lshlrev_b32_e32 v9, 3, v9
	v_mov_b32_e32 v21, 0
	v_mov_b32_e32 v20, 0
	v_ashrrev_i32_e32 v4, 31, v10
	s_waitcnt lgkmcnt(0)
	v_cmp_gt_i32_e32 vcc_lo, s9, v10
	v_mov_b32_e32 v23, 0
	s_mul_i32 s3, s3, s8
	s_mul_hi_u32 s25, s2, s8
	s_mul_i32 s2, s2, s8
	s_add_i32 s3, s25, s3
	s_mul_i32 s17, s17, s8
	s_lshl_b64 s[2:3], s[2:3], 3
	s_mul_hi_u32 s26, s16, s8
	v_mul_lo_u32 v12, s15, v11
	s_add_u32 s15, s18, s2
	s_mul_i32 s16, s16, s8
	s_addc_u32 s18, s19, s3
	s_add_i32 s17, s26, s17
	v_mad_u64_u32 v[2:3], null, s14, v11, 0
	s_lshl_b64 s[2:3], s[16:17], 3
	v_mul_lo_u32 v13, s0, v4
	v_mul_lo_u32 v14, s1, v10
	v_mad_u64_u32 v[4:5], null, s0, v10, 0
	s_add_u32 s1, s12, s2
	s_addc_u32 s2, s13, s3
	s_ashr_i32 s0, s6, 31
	v_cmp_le_i32_e64 s12, s9, v11
	s_mul_i32 s0, s14, s0
	v_mov_b32_e32 v22, 0
	v_add3_u32 v3, v3, s0, v12
	v_add3_u32 v5, v5, v13, v14
	v_lshl_or_b32 v12, v8, 6, v15
	v_lshl_or_b32 v8, v7, 8, v9
	v_cmp_gt_i32_e64 s0, s9, v11
	v_lshlrev_b64 v[2:3], 3, v[2:3]
	v_lshlrev_b64 v[4:5], 3, v[4:5]
	v_add_nc_u32_e32 v11, 0x800, v12
	v_lshlrev_b32_e32 v14, 3, v0
	v_lshl_add_u32 v15, v1, 6, 0x800
	v_add_co_u32 v9, s1, s1, v2
	v_add_co_ci_u32_e64 v10, null, s2, v3, s1
	v_add_co_u32 v12, s1, s15, v4
	v_add_co_ci_u32_e64 v13, null, s18, v5, s1
	v_mov_b32_e32 v3, 0
	s_mov_b64 s[2:3], 0
	s_xor_b32 s1, vcc_lo, -1
                                        ; implicit-def: $vgpr4_vgpr5
	s_branch .LBB249_8
.LBB249_7:                              ;   in Loop: Header=BB249_8 Depth=1
	s_or_b32 exec_lo, exec_lo, s13
	s_waitcnt lgkmcnt(0)
	s_barrier
	buffer_gl0_inv
	ds_read_b128 v[24:27], v15
	ds_read2_b64 v[28:31], v14 offset1:16
	ds_read_b128 v[32:35], v15 offset:1024
	ds_read_b128 v[36:39], v15 offset:16
	;; [unrolled: 1-line block ×4, first 2 shown]
	ds_read2_b64 v[48:51], v14 offset0:32 offset1:48
	ds_read_b128 v[52:55], v15 offset:1040
	s_add_u32 s2, s2, 8
	s_addc_u32 s3, s3, 0
	v_cmp_gt_i64_e64 s13, s[20:21], s[2:3]
	s_and_b32 vcc_lo, exec_lo, s13
	s_waitcnt lgkmcnt(6)
	v_mul_f32_e32 v2, v25, v29
	v_mul_f32_e32 v56, v24, v29
	;; [unrolled: 1-line block ×4, first 2 shown]
	s_waitcnt lgkmcnt(5)
	v_mul_f32_e32 v59, v33, v29
	v_mul_f32_e32 v29, v32, v29
	;; [unrolled: 1-line block ×3, first 2 shown]
	v_fma_f32 v2, v24, v28, -v2
	v_fmac_f32_e32 v56, v25, v28
	v_fma_f32 v24, v24, v30, -v57
	v_fmac_f32_e32 v58, v25, v30
	;; [unrolled: 2-line block ×3, first 2 shown]
	v_mul_f32_e32 v31, v32, v31
	v_fma_f32 v28, v32, v30, -v60
	v_add_f32_e32 v2, v22, v2
	v_add_f32_e32 v22, v23, v56
	;; [unrolled: 1-line block ×6, first 2 shown]
	s_waitcnt lgkmcnt(1)
	v_mul_f32_e32 v32, v27, v49
	ds_read2_b64 v[18:21], v14 offset0:64 offset1:80
	v_fmac_f32_e32 v31, v33, v30
	v_add_f32_e32 v16, v16, v28
	v_mul_f32_e32 v28, v26, v49
	v_fma_f32 v30, v26, v48, -v32
	v_mul_f32_e32 v32, v27, v51
	v_add_f32_e32 v17, v17, v31
	v_mul_f32_e32 v31, v26, v51
	v_fmac_f32_e32 v28, v27, v48
	v_add_f32_e32 v2, v2, v30
	v_fma_f32 v26, v26, v50, -v32
	v_mul_f32_e32 v30, v35, v49
	v_fmac_f32_e32 v31, v27, v50
	v_add_f32_e32 v28, v22, v28
	v_mul_f32_e32 v22, v34, v49
	v_add_f32_e32 v26, v23, v26
	v_fma_f32 v23, v34, v48, -v30
	v_mul_f32_e32 v27, v35, v51
	v_add_f32_e32 v30, v24, v31
	v_fmac_f32_e32 v22, v35, v48
	v_mul_f32_e32 v31, v34, v51
	v_add_f32_e32 v32, v25, v23
	v_fma_f32 v23, v34, v50, -v27
	s_waitcnt lgkmcnt(0)
	v_mul_f32_e32 v24, v37, v19
	v_add_f32_e32 v27, v29, v22
	v_fmac_f32_e32 v31, v35, v50
	v_mul_f32_e32 v29, v36, v19
	v_add_f32_e32 v16, v16, v23
	v_fma_f32 v33, v36, v18, -v24
	v_mul_f32_e32 v34, v37, v21
	ds_read2_b64 v[22:25], v14 offset0:96 offset1:112
	v_fmac_f32_e32 v29, v37, v18
	v_add_f32_e32 v31, v17, v31
	v_add_f32_e32 v2, v2, v33
	v_mul_f32_e32 v17, v36, v21
	v_fma_f32 v33, v36, v20, -v34
	v_add_f32_e32 v28, v28, v29
	v_mul_f32_e32 v29, v53, v19
	v_mul_f32_e32 v19, v52, v19
	v_fmac_f32_e32 v17, v37, v20
	v_add_f32_e32 v26, v26, v33
	v_mul_f32_e32 v33, v53, v21
	v_mul_f32_e32 v21, v52, v21
	v_fmac_f32_e32 v19, v53, v18
	v_add_f32_e32 v30, v30, v17
	v_fma_f32 v29, v52, v18, -v29
	v_fma_f32 v17, v52, v20, -v33
	v_fmac_f32_e32 v21, v53, v20
	v_add_f32_e32 v33, v27, v19
	s_waitcnt lgkmcnt(0)
	v_mul_f32_e32 v20, v39, v23
	v_add_f32_e32 v34, v16, v17
	ds_read2_b64 v[16:19], v14 offset0:128 offset1:144
	v_add_f32_e32 v32, v32, v29
	v_mul_f32_e32 v27, v38, v23
	v_mul_f32_e32 v29, v39, v25
	v_fma_f32 v20, v38, v22, -v20
	v_add_f32_e32 v31, v31, v21
	v_mul_f32_e32 v21, v38, v25
	v_fmac_f32_e32 v27, v39, v22
	v_fma_f32 v29, v38, v24, -v29
	v_add_f32_e32 v2, v2, v20
	v_mul_f32_e32 v20, v55, v23
	v_fmac_f32_e32 v21, v39, v24
	v_add_f32_e32 v35, v28, v27
	v_add_f32_e32 v36, v26, v29
	v_mul_f32_e32 v23, v54, v23
	v_fma_f32 v20, v54, v22, -v20
	v_mul_f32_e32 v37, v55, v25
	ds_read_b128 v[26:29], v15 offset:1056
	v_add_f32_e32 v38, v30, v21
	v_fmac_f32_e32 v23, v55, v22
	v_mul_f32_e32 v25, v54, v25
	v_fma_f32 v21, v54, v24, -v37
	v_add_f32_e32 v37, v32, v20
	s_waitcnt lgkmcnt(1)
	v_mul_f32_e32 v20, v41, v17
	v_add_f32_e32 v39, v33, v23
	v_fmac_f32_e32 v25, v55, v24
	v_add_f32_e32 v24, v34, v21
	v_mul_f32_e32 v32, v41, v19
	v_fma_f32 v30, v40, v16, -v20
	ds_read2_b64 v[20:23], v14 offset0:160 offset1:176
	v_mul_f32_e32 v34, v40, v17
	v_add_f32_e32 v25, v31, v25
	v_fma_f32 v48, v40, v18, -v32
	v_mul_f32_e32 v40, v40, v19
	v_add_f32_e32 v2, v2, v30
	v_fmac_f32_e32 v34, v41, v16
	ds_read_b128 v[30:33], v15 offset:1072
	s_waitcnt lgkmcnt(2)
	v_mul_f32_e32 v49, v27, v17
	v_mul_f32_e32 v17, v26, v17
	v_fmac_f32_e32 v40, v41, v18
	v_mul_f32_e32 v41, v27, v19
	v_add_f32_e32 v34, v35, v34
	v_add_f32_e32 v35, v36, v48
	v_fma_f32 v36, v26, v16, -v49
	v_fmac_f32_e32 v17, v27, v16
	v_add_f32_e32 v38, v38, v40
	v_mul_f32_e32 v40, v26, v19
	v_fma_f32 v16, v26, v18, -v41
	v_add_f32_e32 v36, v37, v36
	v_add_f32_e32 v26, v39, v17
	s_waitcnt lgkmcnt(1)
	v_mul_f32_e32 v37, v43, v21
	v_fmac_f32_e32 v40, v27, v18
	v_add_f32_e32 v24, v24, v16
	ds_read2_b64 v[16:19], v14 offset0:192 offset1:208
	v_mul_f32_e32 v27, v42, v21
	v_fma_f32 v37, v42, v20, -v37
	v_mul_f32_e32 v39, v43, v23
	v_add_f32_e32 v40, v25, v40
	v_mul_f32_e32 v25, v42, v23
	v_fmac_f32_e32 v27, v43, v20
	v_add_f32_e32 v2, v2, v37
	v_fma_f32 v37, v42, v22, -v39
	v_fmac_f32_e32 v25, v43, v22
	v_add_f32_e32 v34, v34, v27
	v_mul_f32_e32 v27, v29, v21
	v_mul_f32_e32 v21, v28, v21
	v_add_f32_e32 v35, v35, v37
	v_mul_f32_e32 v37, v29, v23
	v_add_f32_e32 v38, v38, v25
	v_fma_f32 v27, v28, v20, -v27
	v_fmac_f32_e32 v21, v29, v20
	v_mul_f32_e32 v20, v28, v23
	v_fma_f32 v23, v28, v22, -v37
	s_waitcnt lgkmcnt(0)
	v_mul_f32_e32 v25, v45, v17
	v_add_f32_e32 v28, v36, v27
	v_add_f32_e32 v21, v26, v21
	v_fmac_f32_e32 v20, v29, v22
	v_add_f32_e32 v22, v24, v23
	v_fma_f32 v29, v44, v16, -v25
	ds_read2_b64 v[24:27], v14 offset0:224 offset1:240
	v_mul_f32_e32 v23, v44, v17
	v_mul_f32_e32 v37, v31, v17
	;; [unrolled: 1-line block ×4, first 2 shown]
	v_add_f32_e32 v2, v2, v29
	v_fmac_f32_e32 v23, v45, v16
	v_mul_f32_e32 v29, v44, v19
	v_fmac_f32_e32 v17, v31, v16
	v_fma_f32 v36, v44, v18, -v36
	v_add_f32_e32 v20, v40, v20
	v_add_f32_e32 v23, v34, v23
	v_fma_f32 v34, v30, v16, -v37
	v_mul_f32_e32 v16, v31, v19
	v_mul_f32_e32 v19, v30, v19
	v_fmac_f32_e32 v29, v45, v18
	v_add_f32_e32 v17, v21, v17
	v_add_f32_e32 v35, v35, v36
	v_fma_f32 v16, v30, v18, -v16
	v_fmac_f32_e32 v19, v31, v18
	s_waitcnt lgkmcnt(0)
	v_mul_f32_e32 v21, v47, v25
	v_mul_f32_e32 v18, v47, v27
	v_add_f32_e32 v28, v28, v34
	v_mul_f32_e32 v30, v46, v25
	v_add_f32_e32 v16, v22, v16
	v_fma_f32 v21, v46, v24, -v21
	v_fma_f32 v18, v46, v26, -v18
	v_mul_f32_e32 v31, v46, v27
	v_add_f32_e32 v34, v20, v19
	v_mul_f32_e32 v19, v32, v25
	v_add_f32_e32 v22, v2, v21
	v_add_f32_e32 v20, v35, v18
	v_mul_f32_e32 v2, v33, v25
	v_mul_f32_e32 v18, v33, v27
	;; [unrolled: 1-line block ×3, first 2 shown]
	v_add_f32_e32 v29, v38, v29
	v_fmac_f32_e32 v30, v47, v24
	v_fmac_f32_e32 v31, v47, v26
	v_fma_f32 v2, v32, v24, -v2
	v_fmac_f32_e32 v19, v33, v24
	v_fma_f32 v24, v32, v26, -v18
	v_fmac_f32_e32 v25, v33, v26
	v_add_f32_e32 v23, v23, v30
	v_add_f32_e32 v21, v29, v31
	;; [unrolled: 1-line block ×6, first 2 shown]
	s_barrier
	buffer_gl0_inv
	s_cbranch_vccz .LBB249_18
.LBB249_8:                              ; =>This Inner Loop Header: Depth=1
	s_mov_b32 s15, s12
	s_mov_b32 s13, 0
	s_and_saveexec_b32 s14, s0
	s_cbranch_execnz .LBB249_16
; %bb.9:                                ;   in Loop: Header=BB249_8 Depth=1
	s_or_b32 exec_lo, exec_lo, s14
	s_and_saveexec_b32 s14, s15
	s_xor_b32 s14, exec_lo, s14
	s_cbranch_execnz .LBB249_17
.LBB249_10:                             ;   in Loop: Header=BB249_8 Depth=1
	s_or_b32 exec_lo, exec_lo, s14
	v_mov_b32_e32 v24, 0
	s_and_saveexec_b32 s14, s13
	s_cbranch_execz .LBB249_12
.LBB249_11:                             ;   in Loop: Header=BB249_8 Depth=1
	v_lshlrev_b64 v[24:25], 3, v[4:5]
	v_add_co_u32 v24, vcc_lo, v9, v24
	v_add_co_ci_u32_e64 v25, null, v10, v25, vcc_lo
	global_load_dwordx2 v[25:26], v[24:25], off
	s_waitcnt vmcnt(0)
	v_xor_b32_e32 v24, 0x80000000, v26
	ds_write_b32 v8, v25
.LBB249_12:                             ;   in Loop: Header=BB249_8 Depth=1
	s_or_b32 exec_lo, exec_lo, s14
	v_add_nc_u32_e32 v2, s2, v6
	ds_write_b32 v8, v24 offset:4
	v_cmp_le_u64_e32 vcc_lo, s[20:21], v[2:3]
	s_or_b32 s13, vcc_lo, s1
	s_and_saveexec_b32 s14, s13
	s_xor_b32 s13, exec_lo, s14
; %bb.13:                               ;   in Loop: Header=BB249_8 Depth=1
	v_mov_b32_e32 v2, v3
	ds_write_b64 v11, v[2:3]
; %bb.14:                               ;   in Loop: Header=BB249_8 Depth=1
	s_andn2_saveexec_b32 s13, s13
	s_cbranch_execz .LBB249_7
; %bb.15:                               ;   in Loop: Header=BB249_8 Depth=1
	v_lshlrev_b64 v[24:25], 3, v[2:3]
	v_add_co_u32 v24, vcc_lo, v12, v24
	v_add_co_ci_u32_e64 v25, null, v13, v25, vcc_lo
	global_load_dwordx2 v[24:25], v[24:25], off
	s_waitcnt vmcnt(0)
	ds_write_b64 v11, v[24:25]
	s_branch .LBB249_7
.LBB249_16:                             ;   in Loop: Header=BB249_8 Depth=1
	v_add_nc_u32_e32 v2, s2, v7
	v_mov_b32_e32 v5, v3
	s_andn2_b32 s15, s12, exec_lo
	s_mov_b32 s13, exec_lo
	v_cmp_le_u64_e32 vcc_lo, s[20:21], v[2:3]
	v_mov_b32_e32 v4, v2
	s_and_b32 s16, vcc_lo, exec_lo
	s_or_b32 s15, s15, s16
	s_or_b32 exec_lo, exec_lo, s14
	s_and_saveexec_b32 s14, s15
	s_xor_b32 s14, exec_lo, s14
	s_cbranch_execz .LBB249_10
.LBB249_17:                             ;   in Loop: Header=BB249_8 Depth=1
	s_andn2_b32 s13, s13, exec_lo
	ds_write_b32 v8, v3
	s_or_b32 exec_lo, exec_lo, s14
	v_mov_b32_e32 v24, 0
	s_and_saveexec_b32 s14, s13
	s_cbranch_execnz .LBB249_11
	s_branch .LBB249_12
.LBB249_18:
	s_clause 0x1
	s_load_dwordx4 s[12:15], s[4:5], 0x50
	s_load_dwordx2 s[0:1], s[4:5], 0x60
	v_add_nc_u32_e32 v9, s7, v1
	v_add_nc_u32_e32 v0, s6, v0
	v_cmp_neq_f32_e64 s6, s10, 0
	v_ashrrev_i32_e32 v1, 31, v9
	v_cmp_le_i32_e32 vcc_lo, v9, v0
	s_waitcnt lgkmcnt(0)
	v_mul_lo_u32 v3, s14, v1
	v_mul_lo_u32 v4, s15, v9
	v_mad_u64_u32 v[1:2], null, s14, v9, 0
	s_mul_i32 s1, s1, s8
	s_mul_hi_u32 s3, s0, s8
	s_mul_i32 s2, s0, s8
	s_add_i32 s3, s3, s1
	v_cmp_gt_i32_e64 s0, s9, v0
	s_lshl_b64 s[4:5], s[2:3], 3
	v_add3_u32 v2, v2, v3, v4
	s_add_u32 s3, s12, s4
	s_addc_u32 s4, s13, s5
	s_xor_b32 s2, s24, -1
	s_and_b32 s5, vcc_lo, s0
	v_lshlrev_b64 v[2:3], 3, v[1:2]
	s_or_b32 s2, s6, s2
	v_ashrrev_i32_e32 v1, 31, v0
	v_cndmask_b32_e64 v8, 0, 1, s2
	v_add_co_u32 v6, s1, s3, v2
	v_add_co_ci_u32_e64 v7, null, s4, v3, s1
	s_and_saveexec_b32 s1, s5
	s_cbranch_execz .LBB249_22
; %bb.19:
	v_lshlrev_b64 v[4:5], 3, v[0:1]
	v_mul_f32_e32 v2, s23, v23
	v_mul_f32_e32 v3, s22, v23
	v_fma_f32 v2, v22, s22, -v2
	v_add_co_u32 v4, vcc_lo, v6, v4
	v_fmac_f32_e32 v3, s23, v22
	v_add_co_ci_u32_e64 v5, null, v7, v5, vcc_lo
	s_andn2_b32 vcc_lo, exec_lo, s2
	s_cbranch_vccnz .LBB249_21
; %bb.20:
	global_load_dwordx2 v[10:11], v[4:5], off
	s_waitcnt vmcnt(0)
	v_mul_f32_e32 v12, s11, v11
	v_mul_f32_e32 v11, s10, v11
	v_fma_f32 v12, v10, s10, -v12
	v_fmac_f32_e32 v11, s11, v10
	v_add_f32_e32 v2, v2, v12
	v_add_f32_e32 v3, v3, v11
.LBB249_21:
	global_store_dwordx2 v[4:5], v[2:3], off
.LBB249_22:
	s_or_b32 exec_lo, exec_lo, s1
	v_add_nc_u32_e32 v2, 16, v0
	v_cmp_le_i32_e32 vcc_lo, v9, v2
	v_cmp_gt_i32_e64 s1, s9, v2
	v_ashrrev_i32_e32 v3, 31, v2
	s_and_b32 s2, vcc_lo, s1
	s_and_saveexec_b32 s5, s2
	s_cbranch_execz .LBB249_26
; %bb.23:
	v_lshlrev_b64 v[10:11], 3, v[2:3]
	v_mul_f32_e32 v4, s23, v21
	v_mul_f32_e32 v5, s22, v21
	v_cmp_ne_u32_e32 vcc_lo, 1, v8
	v_fma_f32 v4, v20, s22, -v4
	v_add_co_u32 v6, s2, v6, v10
	v_fmac_f32_e32 v5, s23, v20
	v_add_co_ci_u32_e64 v7, null, v7, v11, s2
	s_cbranch_vccnz .LBB249_25
; %bb.24:
	global_load_dwordx2 v[10:11], v[6:7], off
	s_waitcnt vmcnt(0)
	v_mul_f32_e32 v12, s11, v11
	v_mul_f32_e32 v11, s10, v11
	v_fma_f32 v12, v10, s10, -v12
	v_fmac_f32_e32 v11, s11, v10
	v_add_f32_e32 v4, v4, v12
	v_add_f32_e32 v5, v5, v11
.LBB249_25:
	global_store_dwordx2 v[6:7], v[4:5], off
.LBB249_26:
	s_or_b32 exec_lo, exec_lo, s5
	v_add_nc_u32_e32 v9, 16, v9
	v_ashrrev_i32_e32 v6, 31, v9
	v_mul_lo_u32 v7, s15, v9
	v_mad_u64_u32 v[4:5], null, s14, v9, 0
	v_cmp_le_i32_e32 vcc_lo, v9, v0
	v_mul_lo_u32 v6, s14, v6
	s_and_b32 s0, vcc_lo, s0
	v_add3_u32 v5, v5, v6, v7
	v_lshlrev_b64 v[4:5], 3, v[4:5]
	v_add_co_u32 v6, s2, s3, v4
	v_add_co_ci_u32_e64 v7, null, s4, v5, s2
	s_and_saveexec_b32 s2, s0
	s_cbranch_execz .LBB249_30
; %bb.27:
	v_lshlrev_b64 v[0:1], 3, v[0:1]
	v_mul_f32_e32 v4, s23, v19
	v_mul_f32_e32 v5, s22, v19
	v_cmp_ne_u32_e32 vcc_lo, 1, v8
	v_fma_f32 v4, v18, s22, -v4
	v_add_co_u32 v0, s0, v6, v0
	v_fmac_f32_e32 v5, s23, v18
	v_add_co_ci_u32_e64 v1, null, v7, v1, s0
	s_cbranch_vccnz .LBB249_29
; %bb.28:
	global_load_dwordx2 v[10:11], v[0:1], off
	s_waitcnt vmcnt(0)
	v_mul_f32_e32 v12, s11, v11
	v_mul_f32_e32 v11, s10, v11
	v_fma_f32 v12, v10, s10, -v12
	v_fmac_f32_e32 v11, s11, v10
	v_add_f32_e32 v4, v4, v12
	v_add_f32_e32 v5, v5, v11
.LBB249_29:
	global_store_dwordx2 v[0:1], v[4:5], off
.LBB249_30:
	s_or_b32 exec_lo, exec_lo, s2
	v_cmp_le_i32_e32 vcc_lo, v9, v2
	s_and_b32 s0, vcc_lo, s1
	s_and_saveexec_b32 s1, s0
	s_cbranch_execz .LBB249_34
; %bb.31:
	v_lshlrev_b64 v[2:3], 3, v[2:3]
	v_mul_f32_e32 v0, s23, v17
	v_mul_f32_e32 v1, s22, v17
	v_cmp_ne_u32_e32 vcc_lo, 1, v8
	v_fma_f32 v0, v16, s22, -v0
	v_add_co_u32 v2, s0, v6, v2
	v_fmac_f32_e32 v1, s23, v16
	v_add_co_ci_u32_e64 v3, null, v7, v3, s0
	s_cbranch_vccnz .LBB249_33
; %bb.32:
	global_load_dwordx2 v[4:5], v[2:3], off
	s_waitcnt vmcnt(0)
	v_mul_f32_e32 v6, s11, v5
	v_mul_f32_e32 v5, s10, v5
	v_fma_f32 v6, v4, s10, -v6
	v_fmac_f32_e32 v5, s11, v4
	v_add_f32_e32 v0, v0, v6
	v_add_f32_e32 v1, v1, v5
.LBB249_33:
	global_store_dwordx2 v[2:3], v[0:1], off
.LBB249_34:
	s_endpgm
	.section	.rodata,"a",@progbits
	.p2align	6, 0x0
	.amdhsa_kernel _ZL29rocblas_internal_gemmt_kernelIlLi16ELi32ELi8ELc67ELc78ELc76ELb1ELb0E19rocblas_complex_numIfES1_PKS1_PS1_EviT_T9_T10_S5_lS7_S5_lS6_T11_S5_li
		.amdhsa_group_segment_fixed_size 4096
		.amdhsa_private_segment_fixed_size 0
		.amdhsa_kernarg_size 108
		.amdhsa_user_sgpr_count 6
		.amdhsa_user_sgpr_private_segment_buffer 1
		.amdhsa_user_sgpr_dispatch_ptr 0
		.amdhsa_user_sgpr_queue_ptr 0
		.amdhsa_user_sgpr_kernarg_segment_ptr 1
		.amdhsa_user_sgpr_dispatch_id 0
		.amdhsa_user_sgpr_flat_scratch_init 0
		.amdhsa_user_sgpr_private_segment_size 0
		.amdhsa_wavefront_size32 1
		.amdhsa_uses_dynamic_stack 0
		.amdhsa_system_sgpr_private_segment_wavefront_offset 0
		.amdhsa_system_sgpr_workgroup_id_x 1
		.amdhsa_system_sgpr_workgroup_id_y 1
		.amdhsa_system_sgpr_workgroup_id_z 1
		.amdhsa_system_sgpr_workgroup_info 0
		.amdhsa_system_vgpr_workitem_id 1
		.amdhsa_next_free_vgpr 61
		.amdhsa_next_free_sgpr 27
		.amdhsa_reserve_vcc 1
		.amdhsa_reserve_flat_scratch 0
		.amdhsa_float_round_mode_32 0
		.amdhsa_float_round_mode_16_64 0
		.amdhsa_float_denorm_mode_32 3
		.amdhsa_float_denorm_mode_16_64 3
		.amdhsa_dx10_clamp 1
		.amdhsa_ieee_mode 1
		.amdhsa_fp16_overflow 0
		.amdhsa_workgroup_processor_mode 1
		.amdhsa_memory_ordered 1
		.amdhsa_forward_progress 1
		.amdhsa_shared_vgpr_count 0
		.amdhsa_exception_fp_ieee_invalid_op 0
		.amdhsa_exception_fp_denorm_src 0
		.amdhsa_exception_fp_ieee_div_zero 0
		.amdhsa_exception_fp_ieee_overflow 0
		.amdhsa_exception_fp_ieee_underflow 0
		.amdhsa_exception_fp_ieee_inexact 0
		.amdhsa_exception_int_div_zero 0
	.end_amdhsa_kernel
	.section	.text._ZL29rocblas_internal_gemmt_kernelIlLi16ELi32ELi8ELc67ELc78ELc76ELb1ELb0E19rocblas_complex_numIfES1_PKS1_PS1_EviT_T9_T10_S5_lS7_S5_lS6_T11_S5_li,"axG",@progbits,_ZL29rocblas_internal_gemmt_kernelIlLi16ELi32ELi8ELc67ELc78ELc76ELb1ELb0E19rocblas_complex_numIfES1_PKS1_PS1_EviT_T9_T10_S5_lS7_S5_lS6_T11_S5_li,comdat
.Lfunc_end249:
	.size	_ZL29rocblas_internal_gemmt_kernelIlLi16ELi32ELi8ELc67ELc78ELc76ELb1ELb0E19rocblas_complex_numIfES1_PKS1_PS1_EviT_T9_T10_S5_lS7_S5_lS6_T11_S5_li, .Lfunc_end249-_ZL29rocblas_internal_gemmt_kernelIlLi16ELi32ELi8ELc67ELc78ELc76ELb1ELb0E19rocblas_complex_numIfES1_PKS1_PS1_EviT_T9_T10_S5_lS7_S5_lS6_T11_S5_li
                                        ; -- End function
	.set _ZL29rocblas_internal_gemmt_kernelIlLi16ELi32ELi8ELc67ELc78ELc76ELb1ELb0E19rocblas_complex_numIfES1_PKS1_PS1_EviT_T9_T10_S5_lS7_S5_lS6_T11_S5_li.num_vgpr, 61
	.set _ZL29rocblas_internal_gemmt_kernelIlLi16ELi32ELi8ELc67ELc78ELc76ELb1ELb0E19rocblas_complex_numIfES1_PKS1_PS1_EviT_T9_T10_S5_lS7_S5_lS6_T11_S5_li.num_agpr, 0
	.set _ZL29rocblas_internal_gemmt_kernelIlLi16ELi32ELi8ELc67ELc78ELc76ELb1ELb0E19rocblas_complex_numIfES1_PKS1_PS1_EviT_T9_T10_S5_lS7_S5_lS6_T11_S5_li.numbered_sgpr, 27
	.set _ZL29rocblas_internal_gemmt_kernelIlLi16ELi32ELi8ELc67ELc78ELc76ELb1ELb0E19rocblas_complex_numIfES1_PKS1_PS1_EviT_T9_T10_S5_lS7_S5_lS6_T11_S5_li.num_named_barrier, 0
	.set _ZL29rocblas_internal_gemmt_kernelIlLi16ELi32ELi8ELc67ELc78ELc76ELb1ELb0E19rocblas_complex_numIfES1_PKS1_PS1_EviT_T9_T10_S5_lS7_S5_lS6_T11_S5_li.private_seg_size, 0
	.set _ZL29rocblas_internal_gemmt_kernelIlLi16ELi32ELi8ELc67ELc78ELc76ELb1ELb0E19rocblas_complex_numIfES1_PKS1_PS1_EviT_T9_T10_S5_lS7_S5_lS6_T11_S5_li.uses_vcc, 1
	.set _ZL29rocblas_internal_gemmt_kernelIlLi16ELi32ELi8ELc67ELc78ELc76ELb1ELb0E19rocblas_complex_numIfES1_PKS1_PS1_EviT_T9_T10_S5_lS7_S5_lS6_T11_S5_li.uses_flat_scratch, 0
	.set _ZL29rocblas_internal_gemmt_kernelIlLi16ELi32ELi8ELc67ELc78ELc76ELb1ELb0E19rocblas_complex_numIfES1_PKS1_PS1_EviT_T9_T10_S5_lS7_S5_lS6_T11_S5_li.has_dyn_sized_stack, 0
	.set _ZL29rocblas_internal_gemmt_kernelIlLi16ELi32ELi8ELc67ELc78ELc76ELb1ELb0E19rocblas_complex_numIfES1_PKS1_PS1_EviT_T9_T10_S5_lS7_S5_lS6_T11_S5_li.has_recursion, 0
	.set _ZL29rocblas_internal_gemmt_kernelIlLi16ELi32ELi8ELc67ELc78ELc76ELb1ELb0E19rocblas_complex_numIfES1_PKS1_PS1_EviT_T9_T10_S5_lS7_S5_lS6_T11_S5_li.has_indirect_call, 0
	.section	.AMDGPU.csdata,"",@progbits
; Kernel info:
; codeLenInByte = 2656
; TotalNumSgprs: 29
; NumVgprs: 61
; ScratchSize: 0
; MemoryBound: 0
; FloatMode: 240
; IeeeMode: 1
; LDSByteSize: 4096 bytes/workgroup (compile time only)
; SGPRBlocks: 0
; VGPRBlocks: 7
; NumSGPRsForWavesPerEU: 29
; NumVGPRsForWavesPerEU: 61
; Occupancy: 16
; WaveLimiterHint : 0
; COMPUTE_PGM_RSRC2:SCRATCH_EN: 0
; COMPUTE_PGM_RSRC2:USER_SGPR: 6
; COMPUTE_PGM_RSRC2:TRAP_HANDLER: 0
; COMPUTE_PGM_RSRC2:TGID_X_EN: 1
; COMPUTE_PGM_RSRC2:TGID_Y_EN: 1
; COMPUTE_PGM_RSRC2:TGID_Z_EN: 1
; COMPUTE_PGM_RSRC2:TIDIG_COMP_CNT: 1
	.section	.text._ZL29rocblas_internal_gemmt_kernelIlLi16ELi32ELi8ELc67ELc84ELc76ELb1ELb0E19rocblas_complex_numIfES1_PKS1_PS1_EviT_T9_T10_S5_lS7_S5_lS6_T11_S5_li,"axG",@progbits,_ZL29rocblas_internal_gemmt_kernelIlLi16ELi32ELi8ELc67ELc84ELc76ELb1ELb0E19rocblas_complex_numIfES1_PKS1_PS1_EviT_T9_T10_S5_lS7_S5_lS6_T11_S5_li,comdat
	.globl	_ZL29rocblas_internal_gemmt_kernelIlLi16ELi32ELi8ELc67ELc84ELc76ELb1ELb0E19rocblas_complex_numIfES1_PKS1_PS1_EviT_T9_T10_S5_lS7_S5_lS6_T11_S5_li ; -- Begin function _ZL29rocblas_internal_gemmt_kernelIlLi16ELi32ELi8ELc67ELc84ELc76ELb1ELb0E19rocblas_complex_numIfES1_PKS1_PS1_EviT_T9_T10_S5_lS7_S5_lS6_T11_S5_li
	.p2align	8
	.type	_ZL29rocblas_internal_gemmt_kernelIlLi16ELi32ELi8ELc67ELc84ELc76ELb1ELb0E19rocblas_complex_numIfES1_PKS1_PS1_EviT_T9_T10_S5_lS7_S5_lS6_T11_S5_li,@function
_ZL29rocblas_internal_gemmt_kernelIlLi16ELi32ELi8ELc67ELc84ELc76ELb1ELb0E19rocblas_complex_numIfES1_PKS1_PS1_EviT_T9_T10_S5_lS7_S5_lS6_T11_S5_li: ; @_ZL29rocblas_internal_gemmt_kernelIlLi16ELi32ELi8ELc67ELc84ELc76ELb1ELb0E19rocblas_complex_numIfES1_PKS1_PS1_EviT_T9_T10_S5_lS7_S5_lS6_T11_S5_li
; %bb.0:
	s_clause 0x1
	s_load_dwordx2 s[10:11], s[4:5], 0x48
	s_load_dwordx4 s[20:23], s[4:5], 0x8
	s_waitcnt lgkmcnt(0)
	s_and_b32 s0, s11, 0x7fffffff
	v_cmp_eq_f32_e64 s1, s10, 1.0
	s_cmp_eq_u32 s0, 0
	s_mov_b32 s0, 0
	s_cselect_b32 s28, -1, 0
	s_and_b32 s1, s1, s28
	s_andn2_b32 vcc_lo, exec_lo, s1
	s_mov_b32 s1, -1
	s_cbranch_vccnz .LBB250_4
; %bb.1:
	s_cmp_lg_u64 s[20:21], 0
	s_cbranch_scc0 .LBB250_3
; %bb.2:
	v_cmp_neq_f32_e64 s0, s22, 0
	v_cmp_neq_f32_e64 s1, s23, 0
	s_or_b32 s0, s0, s1
.LBB250_3:
	s_mov_b32 s1, s0
.LBB250_4:
	s_and_b32 vcc_lo, exec_lo, s1
	s_cbranch_vccz .LBB250_34
; %bb.5:
	s_load_dword s9, s[4:5], 0x0
	v_cmp_eq_f32_e64 s0, s22, 0
	v_cmp_eq_f32_e64 s1, s23, 0
	v_cmp_lt_i64_e64 s2, s[20:21], 1
	v_mov_b32_e32 v22, 0
	v_mov_b32_e32 v23, 0
	;; [unrolled: 1-line block ×3, first 2 shown]
	s_and_b32 s0, s0, s1
	v_mov_b32_e32 v21, 0
	v_mov_b32_e32 v18, 0
	;; [unrolled: 1-line block ×5, first 2 shown]
	s_or_b32 s0, s0, s2
	s_lshl_b32 s6, s6, 5
	s_and_b32 vcc_lo, exec_lo, s0
	s_lshl_b32 s7, s7, 5
	s_cbranch_vccnz .LBB250_18
; %bb.6:
	s_clause 0x1
	s_load_dwordx4 s[24:27], s[4:5], 0x38
	s_load_dwordx8 s[12:19], s[4:5], 0x18
	v_lshl_add_u32 v2, v1, 4, v0
	v_and_b32_e32 v6, 7, v0
	v_lshlrev_b32_e32 v14, 3, v0
	v_lshl_add_u32 v15, v1, 6, 0x800
	v_mov_b32_e32 v17, 0
	v_and_b32_e32 v4, 31, v2
	v_lshrrev_b32_e32 v3, 3, v2
	v_lshlrev_b32_e32 v5, 3, v6
	v_lshrrev_b32_e32 v7, 5, v2
	v_mov_b32_e32 v16, 0
	v_or_b32_e32 v8, s6, v4
	v_lshlrev_b32_e32 v9, 3, v4
	v_lshl_or_b32 v12, v3, 6, v5
	v_add_nc_u32_e32 v2, s7, v3
	v_mov_b32_e32 v19, 0
	v_mov_b32_e32 v18, 0
	;; [unrolled: 1-line block ×4, first 2 shown]
	s_waitcnt lgkmcnt(0)
	s_mul_i32 s1, s27, s8
	s_mul_hi_u32 s2, s26, s8
	s_mul_i32 s0, s26, s8
	s_add_i32 s1, s2, s1
	s_mul_i32 s3, s17, s8
	s_lshl_b64 s[0:1], s[0:1], 3
	s_mul_hi_u32 s17, s16, s8
	v_mul_lo_u32 v10, s15, v8
	s_add_u32 s15, s18, s0
	s_mul_i32 s2, s16, s8
	s_addc_u32 s16, s19, s1
	s_add_i32 s3, s17, s3
	v_mad_u64_u32 v[4:5], null, s14, v8, 0
	s_lshl_b64 s[0:1], s[2:3], 3
	v_ashrrev_i32_e32 v3, 31, v2
	s_add_u32 s2, s12, s0
	s_addc_u32 s3, s13, s1
	s_ashr_i32 s1, s6, 31
	v_cmp_gt_i32_e32 vcc_lo, s9, v2
	s_mul_i32 s1, s14, s1
	v_cmp_gt_i32_e64 s0, s9, v8
	v_add3_u32 v5, v5, s1, v10
	v_lshlrev_b64 v[10:11], 3, v[2:3]
	v_cmp_le_i32_e64 s12, s9, v8
	v_lshl_or_b32 v8, v7, 8, v9
	v_add_nc_u32_e32 v9, 0x800, v12
	v_lshlrev_b64 v[2:3], 3, v[4:5]
	v_mov_b32_e32 v23, 0
	v_add_co_u32 v10, s1, s15, v10
	v_add_co_ci_u32_e64 v11, null, s16, v11, s1
	v_add_co_u32 v12, s1, s2, v2
	v_add_co_ci_u32_e64 v13, null, s3, v3, s1
	v_mov_b32_e32 v3, 0
	v_mov_b32_e32 v22, 0
	s_mov_b64 s[2:3], 0
	s_xor_b32 s1, vcc_lo, -1
                                        ; implicit-def: $vgpr4_vgpr5
	s_branch .LBB250_8
.LBB250_7:                              ;   in Loop: Header=BB250_8 Depth=1
	s_or_b32 exec_lo, exec_lo, s13
	s_waitcnt lgkmcnt(0)
	s_barrier
	buffer_gl0_inv
	ds_read_b128 v[24:27], v15
	ds_read2_b64 v[28:31], v14 offset1:16
	ds_read_b128 v[32:35], v15 offset:1024
	ds_read_b128 v[36:39], v15 offset:16
	;; [unrolled: 1-line block ×4, first 2 shown]
	ds_read2_b64 v[48:51], v14 offset0:32 offset1:48
	ds_read_b128 v[52:55], v15 offset:1040
	s_add_u32 s2, s2, 8
	s_addc_u32 s3, s3, 0
	v_cmp_gt_i64_e64 s13, s[20:21], s[2:3]
	s_and_b32 vcc_lo, exec_lo, s13
	s_waitcnt lgkmcnt(6)
	v_mul_f32_e32 v2, v25, v29
	v_mul_f32_e32 v56, v24, v29
	v_mul_f32_e32 v57, v25, v31
	v_mul_f32_e32 v58, v24, v31
	s_waitcnt lgkmcnt(5)
	v_mul_f32_e32 v59, v33, v29
	v_mul_f32_e32 v29, v32, v29
	;; [unrolled: 1-line block ×3, first 2 shown]
	v_fma_f32 v2, v24, v28, -v2
	v_fmac_f32_e32 v56, v25, v28
	v_fma_f32 v24, v24, v30, -v57
	v_fmac_f32_e32 v58, v25, v30
	;; [unrolled: 2-line block ×3, first 2 shown]
	v_mul_f32_e32 v31, v32, v31
	v_fma_f32 v28, v32, v30, -v60
	v_add_f32_e32 v2, v22, v2
	v_add_f32_e32 v22, v23, v56
	;; [unrolled: 1-line block ×6, first 2 shown]
	s_waitcnt lgkmcnt(1)
	v_mul_f32_e32 v32, v27, v49
	ds_read2_b64 v[18:21], v14 offset0:64 offset1:80
	v_fmac_f32_e32 v31, v33, v30
	v_add_f32_e32 v16, v16, v28
	v_mul_f32_e32 v28, v26, v49
	v_fma_f32 v30, v26, v48, -v32
	v_mul_f32_e32 v32, v27, v51
	v_add_f32_e32 v17, v17, v31
	v_mul_f32_e32 v31, v26, v51
	v_fmac_f32_e32 v28, v27, v48
	v_add_f32_e32 v2, v2, v30
	v_fma_f32 v26, v26, v50, -v32
	v_mul_f32_e32 v30, v35, v49
	v_fmac_f32_e32 v31, v27, v50
	v_add_f32_e32 v28, v22, v28
	v_mul_f32_e32 v22, v34, v49
	v_add_f32_e32 v26, v23, v26
	v_fma_f32 v23, v34, v48, -v30
	v_mul_f32_e32 v27, v35, v51
	v_add_f32_e32 v30, v24, v31
	v_fmac_f32_e32 v22, v35, v48
	v_mul_f32_e32 v31, v34, v51
	v_add_f32_e32 v32, v25, v23
	v_fma_f32 v23, v34, v50, -v27
	s_waitcnt lgkmcnt(0)
	v_mul_f32_e32 v24, v37, v19
	v_add_f32_e32 v27, v29, v22
	v_fmac_f32_e32 v31, v35, v50
	v_mul_f32_e32 v29, v36, v19
	v_add_f32_e32 v16, v16, v23
	v_fma_f32 v33, v36, v18, -v24
	v_mul_f32_e32 v34, v37, v21
	ds_read2_b64 v[22:25], v14 offset0:96 offset1:112
	v_fmac_f32_e32 v29, v37, v18
	v_add_f32_e32 v31, v17, v31
	v_add_f32_e32 v2, v2, v33
	v_mul_f32_e32 v17, v36, v21
	v_fma_f32 v33, v36, v20, -v34
	v_add_f32_e32 v28, v28, v29
	v_mul_f32_e32 v29, v53, v19
	v_mul_f32_e32 v19, v52, v19
	v_fmac_f32_e32 v17, v37, v20
	v_add_f32_e32 v26, v26, v33
	v_mul_f32_e32 v33, v53, v21
	v_mul_f32_e32 v21, v52, v21
	v_fmac_f32_e32 v19, v53, v18
	v_add_f32_e32 v30, v30, v17
	v_fma_f32 v29, v52, v18, -v29
	v_fma_f32 v17, v52, v20, -v33
	v_fmac_f32_e32 v21, v53, v20
	v_add_f32_e32 v33, v27, v19
	s_waitcnt lgkmcnt(0)
	v_mul_f32_e32 v20, v39, v23
	v_add_f32_e32 v34, v16, v17
	ds_read2_b64 v[16:19], v14 offset0:128 offset1:144
	v_add_f32_e32 v32, v32, v29
	v_mul_f32_e32 v27, v38, v23
	v_mul_f32_e32 v29, v39, v25
	v_fma_f32 v20, v38, v22, -v20
	v_add_f32_e32 v31, v31, v21
	v_mul_f32_e32 v21, v38, v25
	v_fmac_f32_e32 v27, v39, v22
	v_fma_f32 v29, v38, v24, -v29
	v_add_f32_e32 v2, v2, v20
	v_mul_f32_e32 v20, v55, v23
	v_fmac_f32_e32 v21, v39, v24
	v_add_f32_e32 v35, v28, v27
	v_add_f32_e32 v36, v26, v29
	v_mul_f32_e32 v23, v54, v23
	v_fma_f32 v20, v54, v22, -v20
	v_mul_f32_e32 v37, v55, v25
	ds_read_b128 v[26:29], v15 offset:1056
	v_add_f32_e32 v38, v30, v21
	v_fmac_f32_e32 v23, v55, v22
	v_mul_f32_e32 v25, v54, v25
	v_fma_f32 v21, v54, v24, -v37
	v_add_f32_e32 v37, v32, v20
	s_waitcnt lgkmcnt(1)
	v_mul_f32_e32 v20, v41, v17
	v_add_f32_e32 v39, v33, v23
	v_fmac_f32_e32 v25, v55, v24
	v_add_f32_e32 v24, v34, v21
	v_mul_f32_e32 v32, v41, v19
	v_fma_f32 v30, v40, v16, -v20
	ds_read2_b64 v[20:23], v14 offset0:160 offset1:176
	v_mul_f32_e32 v34, v40, v17
	v_add_f32_e32 v25, v31, v25
	v_fma_f32 v48, v40, v18, -v32
	v_mul_f32_e32 v40, v40, v19
	v_add_f32_e32 v2, v2, v30
	v_fmac_f32_e32 v34, v41, v16
	ds_read_b128 v[30:33], v15 offset:1072
	s_waitcnt lgkmcnt(2)
	v_mul_f32_e32 v49, v27, v17
	v_mul_f32_e32 v17, v26, v17
	v_fmac_f32_e32 v40, v41, v18
	v_mul_f32_e32 v41, v27, v19
	v_add_f32_e32 v34, v35, v34
	v_add_f32_e32 v35, v36, v48
	v_fma_f32 v36, v26, v16, -v49
	v_fmac_f32_e32 v17, v27, v16
	v_add_f32_e32 v38, v38, v40
	v_mul_f32_e32 v40, v26, v19
	v_fma_f32 v16, v26, v18, -v41
	v_add_f32_e32 v36, v37, v36
	v_add_f32_e32 v26, v39, v17
	s_waitcnt lgkmcnt(1)
	v_mul_f32_e32 v37, v43, v21
	v_fmac_f32_e32 v40, v27, v18
	v_add_f32_e32 v24, v24, v16
	ds_read2_b64 v[16:19], v14 offset0:192 offset1:208
	v_mul_f32_e32 v27, v42, v21
	v_fma_f32 v37, v42, v20, -v37
	v_mul_f32_e32 v39, v43, v23
	v_add_f32_e32 v40, v25, v40
	v_mul_f32_e32 v25, v42, v23
	v_fmac_f32_e32 v27, v43, v20
	v_add_f32_e32 v2, v2, v37
	v_fma_f32 v37, v42, v22, -v39
	v_fmac_f32_e32 v25, v43, v22
	v_add_f32_e32 v34, v34, v27
	v_mul_f32_e32 v27, v29, v21
	v_mul_f32_e32 v21, v28, v21
	v_add_f32_e32 v35, v35, v37
	v_mul_f32_e32 v37, v29, v23
	v_add_f32_e32 v38, v38, v25
	v_fma_f32 v27, v28, v20, -v27
	v_fmac_f32_e32 v21, v29, v20
	v_mul_f32_e32 v20, v28, v23
	v_fma_f32 v23, v28, v22, -v37
	s_waitcnt lgkmcnt(0)
	v_mul_f32_e32 v25, v45, v17
	v_add_f32_e32 v28, v36, v27
	v_add_f32_e32 v21, v26, v21
	v_fmac_f32_e32 v20, v29, v22
	v_add_f32_e32 v22, v24, v23
	v_fma_f32 v29, v44, v16, -v25
	ds_read2_b64 v[24:27], v14 offset0:224 offset1:240
	v_mul_f32_e32 v23, v44, v17
	v_mul_f32_e32 v37, v31, v17
	;; [unrolled: 1-line block ×4, first 2 shown]
	v_add_f32_e32 v2, v2, v29
	v_fmac_f32_e32 v23, v45, v16
	v_mul_f32_e32 v29, v44, v19
	v_fmac_f32_e32 v17, v31, v16
	v_fma_f32 v36, v44, v18, -v36
	v_add_f32_e32 v20, v40, v20
	v_add_f32_e32 v23, v34, v23
	v_fma_f32 v34, v30, v16, -v37
	v_mul_f32_e32 v16, v31, v19
	v_mul_f32_e32 v19, v30, v19
	v_fmac_f32_e32 v29, v45, v18
	v_add_f32_e32 v17, v21, v17
	v_add_f32_e32 v35, v35, v36
	v_fma_f32 v16, v30, v18, -v16
	v_fmac_f32_e32 v19, v31, v18
	s_waitcnt lgkmcnt(0)
	v_mul_f32_e32 v21, v47, v25
	v_mul_f32_e32 v18, v47, v27
	v_add_f32_e32 v28, v28, v34
	v_mul_f32_e32 v30, v46, v25
	v_add_f32_e32 v16, v22, v16
	v_fma_f32 v21, v46, v24, -v21
	v_fma_f32 v18, v46, v26, -v18
	v_mul_f32_e32 v31, v46, v27
	v_add_f32_e32 v34, v20, v19
	v_mul_f32_e32 v19, v32, v25
	v_add_f32_e32 v22, v2, v21
	v_add_f32_e32 v20, v35, v18
	v_mul_f32_e32 v2, v33, v25
	v_mul_f32_e32 v18, v33, v27
	;; [unrolled: 1-line block ×3, first 2 shown]
	v_add_f32_e32 v29, v38, v29
	v_fmac_f32_e32 v30, v47, v24
	v_fmac_f32_e32 v31, v47, v26
	v_fma_f32 v2, v32, v24, -v2
	v_fmac_f32_e32 v19, v33, v24
	v_fma_f32 v24, v32, v26, -v18
	v_fmac_f32_e32 v25, v33, v26
	v_add_f32_e32 v23, v23, v30
	v_add_f32_e32 v21, v29, v31
	;; [unrolled: 1-line block ×6, first 2 shown]
	s_barrier
	buffer_gl0_inv
	s_cbranch_vccz .LBB250_18
.LBB250_8:                              ; =>This Inner Loop Header: Depth=1
	s_mov_b32 s15, s12
	s_mov_b32 s13, 0
	s_and_saveexec_b32 s14, s0
	s_cbranch_execnz .LBB250_16
; %bb.9:                                ;   in Loop: Header=BB250_8 Depth=1
	s_or_b32 exec_lo, exec_lo, s14
	s_and_saveexec_b32 s14, s15
	s_xor_b32 s14, exec_lo, s14
	s_cbranch_execnz .LBB250_17
.LBB250_10:                             ;   in Loop: Header=BB250_8 Depth=1
	s_or_b32 exec_lo, exec_lo, s14
	v_mov_b32_e32 v24, 0
	s_and_saveexec_b32 s14, s13
	s_cbranch_execz .LBB250_12
.LBB250_11:                             ;   in Loop: Header=BB250_8 Depth=1
	v_lshlrev_b64 v[24:25], 3, v[4:5]
	v_add_co_u32 v24, vcc_lo, v12, v24
	v_add_co_ci_u32_e64 v25, null, v13, v25, vcc_lo
	global_load_dwordx2 v[25:26], v[24:25], off
	s_waitcnt vmcnt(0)
	v_xor_b32_e32 v24, 0x80000000, v26
	ds_write_b32 v8, v25
.LBB250_12:                             ;   in Loop: Header=BB250_8 Depth=1
	s_or_b32 exec_lo, exec_lo, s14
	v_add_nc_u32_e32 v2, s2, v6
	ds_write_b32 v8, v24 offset:4
	v_cmp_le_u64_e32 vcc_lo, s[20:21], v[2:3]
	s_or_b32 s13, vcc_lo, s1
	s_and_saveexec_b32 s14, s13
	s_xor_b32 s13, exec_lo, s14
; %bb.13:                               ;   in Loop: Header=BB250_8 Depth=1
	v_mov_b32_e32 v2, v3
	ds_write_b64 v9, v[2:3]
; %bb.14:                               ;   in Loop: Header=BB250_8 Depth=1
	s_andn2_saveexec_b32 s13, s13
	s_cbranch_execz .LBB250_7
; %bb.15:                               ;   in Loop: Header=BB250_8 Depth=1
	v_mad_u64_u32 v[24:25], null, s24, v2, 0
	v_mad_u64_u32 v[25:26], null, s25, v2, v[25:26]
	v_lshlrev_b64 v[24:25], 3, v[24:25]
	v_add_co_u32 v24, vcc_lo, v10, v24
	v_add_co_ci_u32_e64 v25, null, v11, v25, vcc_lo
	global_load_dwordx2 v[24:25], v[24:25], off
	s_waitcnt vmcnt(0)
	ds_write_b64 v9, v[24:25]
	s_branch .LBB250_7
.LBB250_16:                             ;   in Loop: Header=BB250_8 Depth=1
	v_add_nc_u32_e32 v2, s2, v7
	v_mov_b32_e32 v5, v3
	s_andn2_b32 s15, s12, exec_lo
	s_mov_b32 s13, exec_lo
	v_cmp_le_u64_e32 vcc_lo, s[20:21], v[2:3]
	v_mov_b32_e32 v4, v2
	s_and_b32 s16, vcc_lo, exec_lo
	s_or_b32 s15, s15, s16
	s_or_b32 exec_lo, exec_lo, s14
	s_and_saveexec_b32 s14, s15
	s_xor_b32 s14, exec_lo, s14
	s_cbranch_execz .LBB250_10
.LBB250_17:                             ;   in Loop: Header=BB250_8 Depth=1
	s_andn2_b32 s13, s13, exec_lo
	ds_write_b32 v8, v3
	s_or_b32 exec_lo, exec_lo, s14
	v_mov_b32_e32 v24, 0
	s_and_saveexec_b32 s14, s13
	s_cbranch_execnz .LBB250_11
	s_branch .LBB250_12
.LBB250_18:
	s_clause 0x1
	s_load_dwordx4 s[12:15], s[4:5], 0x50
	s_load_dwordx2 s[0:1], s[4:5], 0x60
	v_add_nc_u32_e32 v9, s7, v1
	v_add_nc_u32_e32 v0, s6, v0
	v_cmp_neq_f32_e64 s6, s10, 0
	v_ashrrev_i32_e32 v1, 31, v9
	v_cmp_le_i32_e32 vcc_lo, v9, v0
	s_waitcnt lgkmcnt(0)
	v_mul_lo_u32 v3, s14, v1
	v_mul_lo_u32 v4, s15, v9
	v_mad_u64_u32 v[1:2], null, s14, v9, 0
	s_mul_i32 s1, s1, s8
	s_mul_hi_u32 s3, s0, s8
	s_mul_i32 s2, s0, s8
	s_add_i32 s3, s3, s1
	v_cmp_gt_i32_e64 s0, s9, v0
	s_lshl_b64 s[4:5], s[2:3], 3
	v_add3_u32 v2, v2, v3, v4
	s_add_u32 s3, s12, s4
	s_addc_u32 s4, s13, s5
	s_xor_b32 s2, s28, -1
	s_and_b32 s5, vcc_lo, s0
	v_lshlrev_b64 v[2:3], 3, v[1:2]
	s_or_b32 s2, s6, s2
	v_ashrrev_i32_e32 v1, 31, v0
	v_cndmask_b32_e64 v8, 0, 1, s2
	v_add_co_u32 v6, s1, s3, v2
	v_add_co_ci_u32_e64 v7, null, s4, v3, s1
	s_and_saveexec_b32 s1, s5
	s_cbranch_execz .LBB250_22
; %bb.19:
	v_lshlrev_b64 v[4:5], 3, v[0:1]
	v_mul_f32_e32 v2, s23, v23
	v_mul_f32_e32 v3, s22, v23
	v_fma_f32 v2, v22, s22, -v2
	v_add_co_u32 v4, vcc_lo, v6, v4
	v_fmac_f32_e32 v3, s23, v22
	v_add_co_ci_u32_e64 v5, null, v7, v5, vcc_lo
	s_andn2_b32 vcc_lo, exec_lo, s2
	s_cbranch_vccnz .LBB250_21
; %bb.20:
	global_load_dwordx2 v[10:11], v[4:5], off
	s_waitcnt vmcnt(0)
	v_mul_f32_e32 v12, s11, v11
	v_mul_f32_e32 v11, s10, v11
	v_fma_f32 v12, v10, s10, -v12
	v_fmac_f32_e32 v11, s11, v10
	v_add_f32_e32 v2, v2, v12
	v_add_f32_e32 v3, v3, v11
.LBB250_21:
	global_store_dwordx2 v[4:5], v[2:3], off
.LBB250_22:
	s_or_b32 exec_lo, exec_lo, s1
	v_add_nc_u32_e32 v2, 16, v0
	v_cmp_le_i32_e32 vcc_lo, v9, v2
	v_cmp_gt_i32_e64 s1, s9, v2
	v_ashrrev_i32_e32 v3, 31, v2
	s_and_b32 s2, vcc_lo, s1
	s_and_saveexec_b32 s5, s2
	s_cbranch_execz .LBB250_26
; %bb.23:
	v_lshlrev_b64 v[10:11], 3, v[2:3]
	v_mul_f32_e32 v4, s23, v21
	v_mul_f32_e32 v5, s22, v21
	v_cmp_ne_u32_e32 vcc_lo, 1, v8
	v_fma_f32 v4, v20, s22, -v4
	v_add_co_u32 v6, s2, v6, v10
	v_fmac_f32_e32 v5, s23, v20
	v_add_co_ci_u32_e64 v7, null, v7, v11, s2
	s_cbranch_vccnz .LBB250_25
; %bb.24:
	global_load_dwordx2 v[10:11], v[6:7], off
	s_waitcnt vmcnt(0)
	v_mul_f32_e32 v12, s11, v11
	v_mul_f32_e32 v11, s10, v11
	v_fma_f32 v12, v10, s10, -v12
	v_fmac_f32_e32 v11, s11, v10
	v_add_f32_e32 v4, v4, v12
	v_add_f32_e32 v5, v5, v11
.LBB250_25:
	global_store_dwordx2 v[6:7], v[4:5], off
.LBB250_26:
	s_or_b32 exec_lo, exec_lo, s5
	v_add_nc_u32_e32 v9, 16, v9
	v_ashrrev_i32_e32 v6, 31, v9
	v_mul_lo_u32 v7, s15, v9
	v_mad_u64_u32 v[4:5], null, s14, v9, 0
	v_cmp_le_i32_e32 vcc_lo, v9, v0
	v_mul_lo_u32 v6, s14, v6
	s_and_b32 s0, vcc_lo, s0
	v_add3_u32 v5, v5, v6, v7
	v_lshlrev_b64 v[4:5], 3, v[4:5]
	v_add_co_u32 v6, s2, s3, v4
	v_add_co_ci_u32_e64 v7, null, s4, v5, s2
	s_and_saveexec_b32 s2, s0
	s_cbranch_execz .LBB250_30
; %bb.27:
	v_lshlrev_b64 v[0:1], 3, v[0:1]
	v_mul_f32_e32 v4, s23, v19
	v_mul_f32_e32 v5, s22, v19
	v_cmp_ne_u32_e32 vcc_lo, 1, v8
	v_fma_f32 v4, v18, s22, -v4
	v_add_co_u32 v0, s0, v6, v0
	v_fmac_f32_e32 v5, s23, v18
	v_add_co_ci_u32_e64 v1, null, v7, v1, s0
	s_cbranch_vccnz .LBB250_29
; %bb.28:
	global_load_dwordx2 v[10:11], v[0:1], off
	s_waitcnt vmcnt(0)
	v_mul_f32_e32 v12, s11, v11
	v_mul_f32_e32 v11, s10, v11
	v_fma_f32 v12, v10, s10, -v12
	v_fmac_f32_e32 v11, s11, v10
	v_add_f32_e32 v4, v4, v12
	v_add_f32_e32 v5, v5, v11
.LBB250_29:
	global_store_dwordx2 v[0:1], v[4:5], off
.LBB250_30:
	s_or_b32 exec_lo, exec_lo, s2
	v_cmp_le_i32_e32 vcc_lo, v9, v2
	s_and_b32 s0, vcc_lo, s1
	s_and_saveexec_b32 s1, s0
	s_cbranch_execz .LBB250_34
; %bb.31:
	v_lshlrev_b64 v[2:3], 3, v[2:3]
	v_mul_f32_e32 v0, s23, v17
	v_mul_f32_e32 v1, s22, v17
	v_cmp_ne_u32_e32 vcc_lo, 1, v8
	v_fma_f32 v0, v16, s22, -v0
	v_add_co_u32 v2, s0, v6, v2
	v_fmac_f32_e32 v1, s23, v16
	v_add_co_ci_u32_e64 v3, null, v7, v3, s0
	s_cbranch_vccnz .LBB250_33
; %bb.32:
	global_load_dwordx2 v[4:5], v[2:3], off
	s_waitcnt vmcnt(0)
	v_mul_f32_e32 v6, s11, v5
	v_mul_f32_e32 v5, s10, v5
	v_fma_f32 v6, v4, s10, -v6
	v_fmac_f32_e32 v5, s11, v4
	v_add_f32_e32 v0, v0, v6
	v_add_f32_e32 v1, v1, v5
.LBB250_33:
	global_store_dwordx2 v[2:3], v[0:1], off
.LBB250_34:
	s_endpgm
	.section	.rodata,"a",@progbits
	.p2align	6, 0x0
	.amdhsa_kernel _ZL29rocblas_internal_gemmt_kernelIlLi16ELi32ELi8ELc67ELc84ELc76ELb1ELb0E19rocblas_complex_numIfES1_PKS1_PS1_EviT_T9_T10_S5_lS7_S5_lS6_T11_S5_li
		.amdhsa_group_segment_fixed_size 4096
		.amdhsa_private_segment_fixed_size 0
		.amdhsa_kernarg_size 108
		.amdhsa_user_sgpr_count 6
		.amdhsa_user_sgpr_private_segment_buffer 1
		.amdhsa_user_sgpr_dispatch_ptr 0
		.amdhsa_user_sgpr_queue_ptr 0
		.amdhsa_user_sgpr_kernarg_segment_ptr 1
		.amdhsa_user_sgpr_dispatch_id 0
		.amdhsa_user_sgpr_flat_scratch_init 0
		.amdhsa_user_sgpr_private_segment_size 0
		.amdhsa_wavefront_size32 1
		.amdhsa_uses_dynamic_stack 0
		.amdhsa_system_sgpr_private_segment_wavefront_offset 0
		.amdhsa_system_sgpr_workgroup_id_x 1
		.amdhsa_system_sgpr_workgroup_id_y 1
		.amdhsa_system_sgpr_workgroup_id_z 1
		.amdhsa_system_sgpr_workgroup_info 0
		.amdhsa_system_vgpr_workitem_id 1
		.amdhsa_next_free_vgpr 61
		.amdhsa_next_free_sgpr 29
		.amdhsa_reserve_vcc 1
		.amdhsa_reserve_flat_scratch 0
		.amdhsa_float_round_mode_32 0
		.amdhsa_float_round_mode_16_64 0
		.amdhsa_float_denorm_mode_32 3
		.amdhsa_float_denorm_mode_16_64 3
		.amdhsa_dx10_clamp 1
		.amdhsa_ieee_mode 1
		.amdhsa_fp16_overflow 0
		.amdhsa_workgroup_processor_mode 1
		.amdhsa_memory_ordered 1
		.amdhsa_forward_progress 1
		.amdhsa_shared_vgpr_count 0
		.amdhsa_exception_fp_ieee_invalid_op 0
		.amdhsa_exception_fp_denorm_src 0
		.amdhsa_exception_fp_ieee_div_zero 0
		.amdhsa_exception_fp_ieee_overflow 0
		.amdhsa_exception_fp_ieee_underflow 0
		.amdhsa_exception_fp_ieee_inexact 0
		.amdhsa_exception_int_div_zero 0
	.end_amdhsa_kernel
	.section	.text._ZL29rocblas_internal_gemmt_kernelIlLi16ELi32ELi8ELc67ELc84ELc76ELb1ELb0E19rocblas_complex_numIfES1_PKS1_PS1_EviT_T9_T10_S5_lS7_S5_lS6_T11_S5_li,"axG",@progbits,_ZL29rocblas_internal_gemmt_kernelIlLi16ELi32ELi8ELc67ELc84ELc76ELb1ELb0E19rocblas_complex_numIfES1_PKS1_PS1_EviT_T9_T10_S5_lS7_S5_lS6_T11_S5_li,comdat
.Lfunc_end250:
	.size	_ZL29rocblas_internal_gemmt_kernelIlLi16ELi32ELi8ELc67ELc84ELc76ELb1ELb0E19rocblas_complex_numIfES1_PKS1_PS1_EviT_T9_T10_S5_lS7_S5_lS6_T11_S5_li, .Lfunc_end250-_ZL29rocblas_internal_gemmt_kernelIlLi16ELi32ELi8ELc67ELc84ELc76ELb1ELb0E19rocblas_complex_numIfES1_PKS1_PS1_EviT_T9_T10_S5_lS7_S5_lS6_T11_S5_li
                                        ; -- End function
	.set _ZL29rocblas_internal_gemmt_kernelIlLi16ELi32ELi8ELc67ELc84ELc76ELb1ELb0E19rocblas_complex_numIfES1_PKS1_PS1_EviT_T9_T10_S5_lS7_S5_lS6_T11_S5_li.num_vgpr, 61
	.set _ZL29rocblas_internal_gemmt_kernelIlLi16ELi32ELi8ELc67ELc84ELc76ELb1ELb0E19rocblas_complex_numIfES1_PKS1_PS1_EviT_T9_T10_S5_lS7_S5_lS6_T11_S5_li.num_agpr, 0
	.set _ZL29rocblas_internal_gemmt_kernelIlLi16ELi32ELi8ELc67ELc84ELc76ELb1ELb0E19rocblas_complex_numIfES1_PKS1_PS1_EviT_T9_T10_S5_lS7_S5_lS6_T11_S5_li.numbered_sgpr, 29
	.set _ZL29rocblas_internal_gemmt_kernelIlLi16ELi32ELi8ELc67ELc84ELc76ELb1ELb0E19rocblas_complex_numIfES1_PKS1_PS1_EviT_T9_T10_S5_lS7_S5_lS6_T11_S5_li.num_named_barrier, 0
	.set _ZL29rocblas_internal_gemmt_kernelIlLi16ELi32ELi8ELc67ELc84ELc76ELb1ELb0E19rocblas_complex_numIfES1_PKS1_PS1_EviT_T9_T10_S5_lS7_S5_lS6_T11_S5_li.private_seg_size, 0
	.set _ZL29rocblas_internal_gemmt_kernelIlLi16ELi32ELi8ELc67ELc84ELc76ELb1ELb0E19rocblas_complex_numIfES1_PKS1_PS1_EviT_T9_T10_S5_lS7_S5_lS6_T11_S5_li.uses_vcc, 1
	.set _ZL29rocblas_internal_gemmt_kernelIlLi16ELi32ELi8ELc67ELc84ELc76ELb1ELb0E19rocblas_complex_numIfES1_PKS1_PS1_EviT_T9_T10_S5_lS7_S5_lS6_T11_S5_li.uses_flat_scratch, 0
	.set _ZL29rocblas_internal_gemmt_kernelIlLi16ELi32ELi8ELc67ELc84ELc76ELb1ELb0E19rocblas_complex_numIfES1_PKS1_PS1_EviT_T9_T10_S5_lS7_S5_lS6_T11_S5_li.has_dyn_sized_stack, 0
	.set _ZL29rocblas_internal_gemmt_kernelIlLi16ELi32ELi8ELc67ELc84ELc76ELb1ELb0E19rocblas_complex_numIfES1_PKS1_PS1_EviT_T9_T10_S5_lS7_S5_lS6_T11_S5_li.has_recursion, 0
	.set _ZL29rocblas_internal_gemmt_kernelIlLi16ELi32ELi8ELc67ELc84ELc76ELb1ELb0E19rocblas_complex_numIfES1_PKS1_PS1_EviT_T9_T10_S5_lS7_S5_lS6_T11_S5_li.has_indirect_call, 0
	.section	.AMDGPU.csdata,"",@progbits
; Kernel info:
; codeLenInByte = 2640
; TotalNumSgprs: 31
; NumVgprs: 61
; ScratchSize: 0
; MemoryBound: 0
; FloatMode: 240
; IeeeMode: 1
; LDSByteSize: 4096 bytes/workgroup (compile time only)
; SGPRBlocks: 0
; VGPRBlocks: 7
; NumSGPRsForWavesPerEU: 31
; NumVGPRsForWavesPerEU: 61
; Occupancy: 16
; WaveLimiterHint : 0
; COMPUTE_PGM_RSRC2:SCRATCH_EN: 0
; COMPUTE_PGM_RSRC2:USER_SGPR: 6
; COMPUTE_PGM_RSRC2:TRAP_HANDLER: 0
; COMPUTE_PGM_RSRC2:TGID_X_EN: 1
; COMPUTE_PGM_RSRC2:TGID_Y_EN: 1
; COMPUTE_PGM_RSRC2:TGID_Z_EN: 1
; COMPUTE_PGM_RSRC2:TIDIG_COMP_CNT: 1
	.section	.text._ZL29rocblas_internal_gemmt_kernelIlLi16ELi32ELi8ELc67ELc67ELc76ELb1ELb1E19rocblas_complex_numIfES1_PKS1_PS1_EviT_T9_T10_S5_lS7_S5_lS6_T11_S5_li,"axG",@progbits,_ZL29rocblas_internal_gemmt_kernelIlLi16ELi32ELi8ELc67ELc67ELc76ELb1ELb1E19rocblas_complex_numIfES1_PKS1_PS1_EviT_T9_T10_S5_lS7_S5_lS6_T11_S5_li,comdat
	.globl	_ZL29rocblas_internal_gemmt_kernelIlLi16ELi32ELi8ELc67ELc67ELc76ELb1ELb1E19rocblas_complex_numIfES1_PKS1_PS1_EviT_T9_T10_S5_lS7_S5_lS6_T11_S5_li ; -- Begin function _ZL29rocblas_internal_gemmt_kernelIlLi16ELi32ELi8ELc67ELc67ELc76ELb1ELb1E19rocblas_complex_numIfES1_PKS1_PS1_EviT_T9_T10_S5_lS7_S5_lS6_T11_S5_li
	.p2align	8
	.type	_ZL29rocblas_internal_gemmt_kernelIlLi16ELi32ELi8ELc67ELc67ELc76ELb1ELb1E19rocblas_complex_numIfES1_PKS1_PS1_EviT_T9_T10_S5_lS7_S5_lS6_T11_S5_li,@function
_ZL29rocblas_internal_gemmt_kernelIlLi16ELi32ELi8ELc67ELc67ELc76ELb1ELb1E19rocblas_complex_numIfES1_PKS1_PS1_EviT_T9_T10_S5_lS7_S5_lS6_T11_S5_li: ; @_ZL29rocblas_internal_gemmt_kernelIlLi16ELi32ELi8ELc67ELc67ELc76ELb1ELb1E19rocblas_complex_numIfES1_PKS1_PS1_EviT_T9_T10_S5_lS7_S5_lS6_T11_S5_li
; %bb.0:
	s_clause 0x1
	s_load_dwordx2 s[10:11], s[4:5], 0x48
	s_load_dwordx4 s[20:23], s[4:5], 0x8
	s_waitcnt lgkmcnt(0)
	s_and_b32 s0, s11, 0x7fffffff
	v_cmp_eq_f32_e64 s1, s10, 1.0
	s_cmp_eq_u32 s0, 0
	s_mov_b32 s0, 0
	s_cselect_b32 s28, -1, 0
	s_and_b32 s1, s1, s28
	s_andn2_b32 vcc_lo, exec_lo, s1
	s_mov_b32 s1, -1
	s_cbranch_vccnz .LBB251_4
; %bb.1:
	s_cmp_lg_u64 s[20:21], 0
	s_cbranch_scc0 .LBB251_3
; %bb.2:
	v_cmp_neq_f32_e64 s0, s22, 0
	v_cmp_neq_f32_e64 s1, s23, 0
	s_or_b32 s0, s0, s1
.LBB251_3:
	s_mov_b32 s1, s0
.LBB251_4:
	s_and_b32 vcc_lo, exec_lo, s1
	s_cbranch_vccz .LBB251_34
; %bb.5:
	s_load_dword s9, s[4:5], 0x0
	v_cmp_eq_f32_e64 s0, s22, 0
	v_cmp_eq_f32_e64 s1, s23, 0
	v_cmp_lt_i64_e64 s2, s[20:21], 1
	v_mov_b32_e32 v22, 0
	v_mov_b32_e32 v23, 0
	;; [unrolled: 1-line block ×3, first 2 shown]
	s_and_b32 s0, s0, s1
	v_mov_b32_e32 v21, 0
	v_mov_b32_e32 v18, 0
	;; [unrolled: 1-line block ×5, first 2 shown]
	s_or_b32 s0, s0, s2
	s_lshl_b32 s6, s6, 5
	s_and_b32 vcc_lo, exec_lo, s0
	s_lshl_b32 s7, s7, 5
	s_cbranch_vccnz .LBB251_18
; %bb.6:
	s_clause 0x1
	s_load_dwordx4 s[24:27], s[4:5], 0x38
	s_load_dwordx8 s[12:19], s[4:5], 0x18
	v_lshl_add_u32 v2, v1, 4, v0
	v_and_b32_e32 v6, 7, v0
	v_lshlrev_b32_e32 v14, 3, v0
	v_lshl_add_u32 v15, v1, 6, 0x800
	v_mov_b32_e32 v17, 0
	v_and_b32_e32 v4, 31, v2
	v_lshrrev_b32_e32 v3, 3, v2
	v_lshlrev_b32_e32 v5, 3, v6
	v_lshrrev_b32_e32 v7, 5, v2
	v_mov_b32_e32 v16, 0
	v_or_b32_e32 v8, s6, v4
	v_lshlrev_b32_e32 v9, 3, v4
	v_lshl_or_b32 v12, v3, 6, v5
	v_add_nc_u32_e32 v2, s7, v3
	v_mov_b32_e32 v19, 0
	v_mov_b32_e32 v18, 0
	;; [unrolled: 1-line block ×4, first 2 shown]
	s_waitcnt lgkmcnt(0)
	s_mul_i32 s1, s27, s8
	s_mul_hi_u32 s2, s26, s8
	s_mul_i32 s0, s26, s8
	s_add_i32 s1, s2, s1
	s_mul_i32 s3, s17, s8
	s_lshl_b64 s[0:1], s[0:1], 3
	s_mul_hi_u32 s17, s16, s8
	v_mul_lo_u32 v10, s15, v8
	s_add_u32 s15, s18, s0
	s_mul_i32 s2, s16, s8
	s_addc_u32 s16, s19, s1
	s_add_i32 s3, s17, s3
	v_mad_u64_u32 v[4:5], null, s14, v8, 0
	s_lshl_b64 s[0:1], s[2:3], 3
	v_ashrrev_i32_e32 v3, 31, v2
	s_add_u32 s2, s12, s0
	s_addc_u32 s3, s13, s1
	s_ashr_i32 s1, s6, 31
	v_cmp_gt_i32_e32 vcc_lo, s9, v2
	s_mul_i32 s1, s14, s1
	v_cmp_gt_i32_e64 s0, s9, v8
	v_add3_u32 v5, v5, s1, v10
	v_lshlrev_b64 v[10:11], 3, v[2:3]
	v_cmp_le_i32_e64 s12, s9, v8
	v_lshl_or_b32 v8, v7, 8, v9
	v_add_nc_u32_e32 v9, 0x800, v12
	v_lshlrev_b64 v[2:3], 3, v[4:5]
	v_mov_b32_e32 v23, 0
	v_add_co_u32 v10, s1, s15, v10
	v_add_co_ci_u32_e64 v11, null, s16, v11, s1
	v_add_co_u32 v12, s1, s2, v2
	v_add_co_ci_u32_e64 v13, null, s3, v3, s1
	v_mov_b32_e32 v3, 0
	v_mov_b32_e32 v22, 0
	s_mov_b64 s[2:3], 0
	s_xor_b32 s1, vcc_lo, -1
                                        ; implicit-def: $vgpr4_vgpr5
	s_branch .LBB251_8
.LBB251_7:                              ;   in Loop: Header=BB251_8 Depth=1
	s_or_b32 exec_lo, exec_lo, s13
	ds_write_b32 v9, v24 offset:4
	s_waitcnt lgkmcnt(0)
	s_barrier
	buffer_gl0_inv
	ds_read_b128 v[24:27], v15
	ds_read2_b64 v[28:31], v14 offset1:16
	ds_read_b128 v[32:35], v15 offset:1024
	ds_read_b128 v[36:39], v15 offset:16
	;; [unrolled: 1-line block ×4, first 2 shown]
	ds_read2_b64 v[48:51], v14 offset0:32 offset1:48
	ds_read_b128 v[52:55], v15 offset:1040
	s_add_u32 s2, s2, 8
	s_addc_u32 s3, s3, 0
	v_cmp_gt_i64_e64 s13, s[20:21], s[2:3]
	s_and_b32 vcc_lo, exec_lo, s13
	s_waitcnt lgkmcnt(6)
	v_mul_f32_e32 v2, v25, v29
	v_mul_f32_e32 v56, v24, v29
	;; [unrolled: 1-line block ×4, first 2 shown]
	s_waitcnt lgkmcnt(5)
	v_mul_f32_e32 v59, v33, v29
	v_mul_f32_e32 v29, v32, v29
	;; [unrolled: 1-line block ×3, first 2 shown]
	v_fma_f32 v2, v24, v28, -v2
	v_fmac_f32_e32 v56, v25, v28
	v_fma_f32 v24, v24, v30, -v57
	v_fmac_f32_e32 v58, v25, v30
	;; [unrolled: 2-line block ×3, first 2 shown]
	v_mul_f32_e32 v31, v32, v31
	v_fma_f32 v28, v32, v30, -v60
	v_add_f32_e32 v2, v22, v2
	v_add_f32_e32 v22, v23, v56
	;; [unrolled: 1-line block ×6, first 2 shown]
	s_waitcnt lgkmcnt(1)
	v_mul_f32_e32 v32, v27, v49
	ds_read2_b64 v[18:21], v14 offset0:64 offset1:80
	v_fmac_f32_e32 v31, v33, v30
	v_add_f32_e32 v16, v16, v28
	v_mul_f32_e32 v28, v26, v49
	v_fma_f32 v30, v26, v48, -v32
	v_mul_f32_e32 v32, v27, v51
	v_add_f32_e32 v17, v17, v31
	v_mul_f32_e32 v31, v26, v51
	v_fmac_f32_e32 v28, v27, v48
	v_add_f32_e32 v2, v2, v30
	v_fma_f32 v26, v26, v50, -v32
	v_mul_f32_e32 v30, v35, v49
	v_fmac_f32_e32 v31, v27, v50
	v_add_f32_e32 v28, v22, v28
	v_mul_f32_e32 v22, v34, v49
	v_add_f32_e32 v26, v23, v26
	v_fma_f32 v23, v34, v48, -v30
	v_mul_f32_e32 v27, v35, v51
	v_add_f32_e32 v30, v24, v31
	v_fmac_f32_e32 v22, v35, v48
	v_mul_f32_e32 v31, v34, v51
	v_add_f32_e32 v32, v25, v23
	v_fma_f32 v23, v34, v50, -v27
	s_waitcnt lgkmcnt(0)
	v_mul_f32_e32 v24, v37, v19
	v_add_f32_e32 v27, v29, v22
	v_fmac_f32_e32 v31, v35, v50
	v_mul_f32_e32 v29, v36, v19
	v_add_f32_e32 v16, v16, v23
	v_fma_f32 v33, v36, v18, -v24
	v_mul_f32_e32 v34, v37, v21
	ds_read2_b64 v[22:25], v14 offset0:96 offset1:112
	v_fmac_f32_e32 v29, v37, v18
	v_add_f32_e32 v31, v17, v31
	v_add_f32_e32 v2, v2, v33
	v_mul_f32_e32 v17, v36, v21
	v_fma_f32 v33, v36, v20, -v34
	v_add_f32_e32 v28, v28, v29
	v_mul_f32_e32 v29, v53, v19
	v_mul_f32_e32 v19, v52, v19
	v_fmac_f32_e32 v17, v37, v20
	v_add_f32_e32 v26, v26, v33
	v_mul_f32_e32 v33, v53, v21
	v_mul_f32_e32 v21, v52, v21
	v_fmac_f32_e32 v19, v53, v18
	v_add_f32_e32 v30, v30, v17
	v_fma_f32 v29, v52, v18, -v29
	v_fma_f32 v17, v52, v20, -v33
	v_fmac_f32_e32 v21, v53, v20
	v_add_f32_e32 v33, v27, v19
	s_waitcnt lgkmcnt(0)
	v_mul_f32_e32 v20, v39, v23
	v_add_f32_e32 v34, v16, v17
	ds_read2_b64 v[16:19], v14 offset0:128 offset1:144
	v_add_f32_e32 v32, v32, v29
	v_mul_f32_e32 v27, v38, v23
	v_mul_f32_e32 v29, v39, v25
	v_fma_f32 v20, v38, v22, -v20
	v_add_f32_e32 v31, v31, v21
	v_mul_f32_e32 v21, v38, v25
	v_fmac_f32_e32 v27, v39, v22
	v_fma_f32 v29, v38, v24, -v29
	v_add_f32_e32 v2, v2, v20
	v_mul_f32_e32 v20, v55, v23
	v_fmac_f32_e32 v21, v39, v24
	v_add_f32_e32 v35, v28, v27
	v_add_f32_e32 v36, v26, v29
	v_mul_f32_e32 v23, v54, v23
	v_fma_f32 v20, v54, v22, -v20
	v_mul_f32_e32 v37, v55, v25
	ds_read_b128 v[26:29], v15 offset:1056
	v_add_f32_e32 v38, v30, v21
	v_fmac_f32_e32 v23, v55, v22
	v_mul_f32_e32 v25, v54, v25
	v_fma_f32 v21, v54, v24, -v37
	v_add_f32_e32 v37, v32, v20
	s_waitcnt lgkmcnt(1)
	v_mul_f32_e32 v20, v41, v17
	v_add_f32_e32 v39, v33, v23
	v_fmac_f32_e32 v25, v55, v24
	v_add_f32_e32 v24, v34, v21
	v_mul_f32_e32 v32, v41, v19
	v_fma_f32 v30, v40, v16, -v20
	ds_read2_b64 v[20:23], v14 offset0:160 offset1:176
	v_mul_f32_e32 v34, v40, v17
	v_add_f32_e32 v25, v31, v25
	v_fma_f32 v48, v40, v18, -v32
	v_mul_f32_e32 v40, v40, v19
	v_add_f32_e32 v2, v2, v30
	v_fmac_f32_e32 v34, v41, v16
	ds_read_b128 v[30:33], v15 offset:1072
	s_waitcnt lgkmcnt(2)
	v_mul_f32_e32 v49, v27, v17
	v_mul_f32_e32 v17, v26, v17
	v_fmac_f32_e32 v40, v41, v18
	v_mul_f32_e32 v41, v27, v19
	v_add_f32_e32 v34, v35, v34
	v_add_f32_e32 v35, v36, v48
	v_fma_f32 v36, v26, v16, -v49
	v_fmac_f32_e32 v17, v27, v16
	v_add_f32_e32 v38, v38, v40
	v_mul_f32_e32 v40, v26, v19
	v_fma_f32 v16, v26, v18, -v41
	v_add_f32_e32 v36, v37, v36
	v_add_f32_e32 v26, v39, v17
	s_waitcnt lgkmcnt(1)
	v_mul_f32_e32 v37, v43, v21
	v_fmac_f32_e32 v40, v27, v18
	v_add_f32_e32 v24, v24, v16
	ds_read2_b64 v[16:19], v14 offset0:192 offset1:208
	v_mul_f32_e32 v27, v42, v21
	v_fma_f32 v37, v42, v20, -v37
	v_mul_f32_e32 v39, v43, v23
	v_add_f32_e32 v40, v25, v40
	v_mul_f32_e32 v25, v42, v23
	v_fmac_f32_e32 v27, v43, v20
	v_add_f32_e32 v2, v2, v37
	v_fma_f32 v37, v42, v22, -v39
	v_fmac_f32_e32 v25, v43, v22
	v_add_f32_e32 v34, v34, v27
	v_mul_f32_e32 v27, v29, v21
	v_mul_f32_e32 v21, v28, v21
	v_add_f32_e32 v35, v35, v37
	v_mul_f32_e32 v37, v29, v23
	v_add_f32_e32 v38, v38, v25
	v_fma_f32 v27, v28, v20, -v27
	v_fmac_f32_e32 v21, v29, v20
	v_mul_f32_e32 v20, v28, v23
	v_fma_f32 v23, v28, v22, -v37
	s_waitcnt lgkmcnt(0)
	v_mul_f32_e32 v25, v45, v17
	v_add_f32_e32 v28, v36, v27
	v_add_f32_e32 v21, v26, v21
	v_fmac_f32_e32 v20, v29, v22
	v_add_f32_e32 v22, v24, v23
	v_fma_f32 v29, v44, v16, -v25
	ds_read2_b64 v[24:27], v14 offset0:224 offset1:240
	v_mul_f32_e32 v23, v44, v17
	v_mul_f32_e32 v37, v31, v17
	;; [unrolled: 1-line block ×4, first 2 shown]
	v_add_f32_e32 v2, v2, v29
	v_fmac_f32_e32 v23, v45, v16
	v_mul_f32_e32 v29, v44, v19
	v_fmac_f32_e32 v17, v31, v16
	v_fma_f32 v36, v44, v18, -v36
	v_add_f32_e32 v20, v40, v20
	v_add_f32_e32 v23, v34, v23
	v_fma_f32 v34, v30, v16, -v37
	v_mul_f32_e32 v16, v31, v19
	v_mul_f32_e32 v19, v30, v19
	v_fmac_f32_e32 v29, v45, v18
	v_add_f32_e32 v17, v21, v17
	v_add_f32_e32 v35, v35, v36
	v_fma_f32 v16, v30, v18, -v16
	v_fmac_f32_e32 v19, v31, v18
	s_waitcnt lgkmcnt(0)
	v_mul_f32_e32 v21, v47, v25
	v_mul_f32_e32 v18, v47, v27
	v_add_f32_e32 v28, v28, v34
	v_mul_f32_e32 v30, v46, v25
	v_add_f32_e32 v16, v22, v16
	v_fma_f32 v21, v46, v24, -v21
	v_fma_f32 v18, v46, v26, -v18
	v_mul_f32_e32 v31, v46, v27
	v_add_f32_e32 v34, v20, v19
	v_mul_f32_e32 v19, v32, v25
	v_add_f32_e32 v22, v2, v21
	v_add_f32_e32 v20, v35, v18
	v_mul_f32_e32 v2, v33, v25
	v_mul_f32_e32 v18, v33, v27
	;; [unrolled: 1-line block ×3, first 2 shown]
	v_add_f32_e32 v29, v38, v29
	v_fmac_f32_e32 v30, v47, v24
	v_fmac_f32_e32 v31, v47, v26
	v_fma_f32 v2, v32, v24, -v2
	v_fmac_f32_e32 v19, v33, v24
	v_fma_f32 v24, v32, v26, -v18
	v_fmac_f32_e32 v25, v33, v26
	v_add_f32_e32 v23, v23, v30
	v_add_f32_e32 v21, v29, v31
	v_add_f32_e32 v18, v28, v2
	v_add_f32_e32 v19, v17, v19
	v_add_f32_e32 v16, v16, v24
	v_add_f32_e32 v17, v34, v25
	s_barrier
	buffer_gl0_inv
	s_cbranch_vccz .LBB251_18
.LBB251_8:                              ; =>This Inner Loop Header: Depth=1
	s_mov_b32 s13, 0
	s_mov_b32 s15, s12
	s_and_saveexec_b32 s14, s0
	s_cbranch_execnz .LBB251_16
; %bb.9:                                ;   in Loop: Header=BB251_8 Depth=1
	s_or_b32 exec_lo, exec_lo, s14
	s_and_saveexec_b32 s14, s15
	s_xor_b32 s14, exec_lo, s14
	s_cbranch_execnz .LBB251_17
.LBB251_10:                             ;   in Loop: Header=BB251_8 Depth=1
	s_or_b32 exec_lo, exec_lo, s14
	v_mov_b32_e32 v24, 0
	s_and_saveexec_b32 s14, s13
	s_cbranch_execz .LBB251_12
.LBB251_11:                             ;   in Loop: Header=BB251_8 Depth=1
	v_lshlrev_b64 v[24:25], 3, v[4:5]
	v_add_co_u32 v24, vcc_lo, v12, v24
	v_add_co_ci_u32_e64 v25, null, v13, v25, vcc_lo
	global_load_dwordx2 v[25:26], v[24:25], off
	s_waitcnt vmcnt(0)
	v_xor_b32_e32 v24, 0x80000000, v26
	ds_write_b32 v8, v25
.LBB251_12:                             ;   in Loop: Header=BB251_8 Depth=1
	s_or_b32 exec_lo, exec_lo, s14
	v_add_nc_u32_e32 v2, s2, v6
	ds_write_b32 v8, v24 offset:4
	v_cmp_le_u64_e32 vcc_lo, s[20:21], v[2:3]
	s_or_b32 s13, vcc_lo, s1
	s_and_saveexec_b32 s14, s13
	s_xor_b32 s13, exec_lo, s14
; %bb.13:                               ;   in Loop: Header=BB251_8 Depth=1
	ds_write_b32 v9, v3
; %bb.14:                               ;   in Loop: Header=BB251_8 Depth=1
	s_or_saveexec_b32 s13, s13
	v_mov_b32_e32 v24, 0
	s_xor_b32 exec_lo, exec_lo, s13
	s_cbranch_execz .LBB251_7
; %bb.15:                               ;   in Loop: Header=BB251_8 Depth=1
	v_mad_u64_u32 v[24:25], null, s24, v2, 0
	v_mad_u64_u32 v[25:26], null, s25, v2, v[25:26]
	v_lshlrev_b64 v[24:25], 3, v[24:25]
	v_add_co_u32 v24, vcc_lo, v10, v24
	v_add_co_ci_u32_e64 v25, null, v11, v25, vcc_lo
	global_load_dwordx2 v[25:26], v[24:25], off
	s_waitcnt vmcnt(0)
	v_xor_b32_e32 v24, 0x80000000, v26
	ds_write_b32 v9, v25
	s_branch .LBB251_7
.LBB251_16:                             ;   in Loop: Header=BB251_8 Depth=1
	v_add_nc_u32_e32 v2, s2, v7
	v_mov_b32_e32 v5, v3
	s_andn2_b32 s15, s12, exec_lo
	s_mov_b32 s13, exec_lo
	v_cmp_le_u64_e32 vcc_lo, s[20:21], v[2:3]
	v_mov_b32_e32 v4, v2
	s_and_b32 s16, vcc_lo, exec_lo
	s_or_b32 s15, s15, s16
	s_or_b32 exec_lo, exec_lo, s14
	s_and_saveexec_b32 s14, s15
	s_xor_b32 s14, exec_lo, s14
	s_cbranch_execz .LBB251_10
.LBB251_17:                             ;   in Loop: Header=BB251_8 Depth=1
	s_andn2_b32 s13, s13, exec_lo
	ds_write_b32 v8, v3
	s_or_b32 exec_lo, exec_lo, s14
	v_mov_b32_e32 v24, 0
	s_and_saveexec_b32 s14, s13
	s_cbranch_execnz .LBB251_11
	s_branch .LBB251_12
.LBB251_18:
	s_clause 0x1
	s_load_dwordx4 s[12:15], s[4:5], 0x50
	s_load_dwordx2 s[0:1], s[4:5], 0x60
	v_add_nc_u32_e32 v9, s7, v1
	v_add_nc_u32_e32 v0, s6, v0
	v_cmp_neq_f32_e64 s6, s10, 0
	v_ashrrev_i32_e32 v1, 31, v9
	v_cmp_le_i32_e32 vcc_lo, v9, v0
	s_waitcnt lgkmcnt(0)
	v_mul_lo_u32 v3, s14, v1
	v_mul_lo_u32 v4, s15, v9
	v_mad_u64_u32 v[1:2], null, s14, v9, 0
	s_mul_i32 s1, s1, s8
	s_mul_hi_u32 s3, s0, s8
	s_mul_i32 s2, s0, s8
	s_add_i32 s3, s3, s1
	v_cmp_gt_i32_e64 s0, s9, v0
	s_lshl_b64 s[4:5], s[2:3], 3
	v_add3_u32 v2, v2, v3, v4
	s_add_u32 s3, s12, s4
	s_addc_u32 s4, s13, s5
	s_xor_b32 s2, s28, -1
	s_and_b32 s5, vcc_lo, s0
	v_lshlrev_b64 v[2:3], 3, v[1:2]
	s_or_b32 s2, s6, s2
	v_ashrrev_i32_e32 v1, 31, v0
	v_cndmask_b32_e64 v8, 0, 1, s2
	v_add_co_u32 v6, s1, s3, v2
	v_add_co_ci_u32_e64 v7, null, s4, v3, s1
	s_and_saveexec_b32 s1, s5
	s_cbranch_execz .LBB251_22
; %bb.19:
	v_lshlrev_b64 v[4:5], 3, v[0:1]
	v_mul_f32_e32 v2, s23, v23
	v_mul_f32_e32 v3, s22, v23
	v_fma_f32 v2, v22, s22, -v2
	v_add_co_u32 v4, vcc_lo, v6, v4
	v_fmac_f32_e32 v3, s23, v22
	v_add_co_ci_u32_e64 v5, null, v7, v5, vcc_lo
	s_andn2_b32 vcc_lo, exec_lo, s2
	s_cbranch_vccnz .LBB251_21
; %bb.20:
	global_load_dwordx2 v[10:11], v[4:5], off
	s_waitcnt vmcnt(0)
	v_mul_f32_e32 v12, s11, v11
	v_mul_f32_e32 v11, s10, v11
	v_fma_f32 v12, v10, s10, -v12
	v_fmac_f32_e32 v11, s11, v10
	v_add_f32_e32 v2, v2, v12
	v_add_f32_e32 v3, v3, v11
.LBB251_21:
	global_store_dwordx2 v[4:5], v[2:3], off
.LBB251_22:
	s_or_b32 exec_lo, exec_lo, s1
	v_add_nc_u32_e32 v2, 16, v0
	v_cmp_le_i32_e32 vcc_lo, v9, v2
	v_cmp_gt_i32_e64 s1, s9, v2
	v_ashrrev_i32_e32 v3, 31, v2
	s_and_b32 s2, vcc_lo, s1
	s_and_saveexec_b32 s5, s2
	s_cbranch_execz .LBB251_26
; %bb.23:
	v_lshlrev_b64 v[10:11], 3, v[2:3]
	v_mul_f32_e32 v4, s23, v21
	v_mul_f32_e32 v5, s22, v21
	v_cmp_ne_u32_e32 vcc_lo, 1, v8
	v_fma_f32 v4, v20, s22, -v4
	v_add_co_u32 v6, s2, v6, v10
	v_fmac_f32_e32 v5, s23, v20
	v_add_co_ci_u32_e64 v7, null, v7, v11, s2
	s_cbranch_vccnz .LBB251_25
; %bb.24:
	global_load_dwordx2 v[10:11], v[6:7], off
	s_waitcnt vmcnt(0)
	v_mul_f32_e32 v12, s11, v11
	v_mul_f32_e32 v11, s10, v11
	v_fma_f32 v12, v10, s10, -v12
	v_fmac_f32_e32 v11, s11, v10
	v_add_f32_e32 v4, v4, v12
	v_add_f32_e32 v5, v5, v11
.LBB251_25:
	global_store_dwordx2 v[6:7], v[4:5], off
.LBB251_26:
	s_or_b32 exec_lo, exec_lo, s5
	v_add_nc_u32_e32 v9, 16, v9
	v_ashrrev_i32_e32 v6, 31, v9
	v_mul_lo_u32 v7, s15, v9
	v_mad_u64_u32 v[4:5], null, s14, v9, 0
	v_cmp_le_i32_e32 vcc_lo, v9, v0
	v_mul_lo_u32 v6, s14, v6
	s_and_b32 s0, vcc_lo, s0
	v_add3_u32 v5, v5, v6, v7
	v_lshlrev_b64 v[4:5], 3, v[4:5]
	v_add_co_u32 v6, s2, s3, v4
	v_add_co_ci_u32_e64 v7, null, s4, v5, s2
	s_and_saveexec_b32 s2, s0
	s_cbranch_execz .LBB251_30
; %bb.27:
	v_lshlrev_b64 v[0:1], 3, v[0:1]
	v_mul_f32_e32 v4, s23, v19
	v_mul_f32_e32 v5, s22, v19
	v_cmp_ne_u32_e32 vcc_lo, 1, v8
	v_fma_f32 v4, v18, s22, -v4
	v_add_co_u32 v0, s0, v6, v0
	v_fmac_f32_e32 v5, s23, v18
	v_add_co_ci_u32_e64 v1, null, v7, v1, s0
	s_cbranch_vccnz .LBB251_29
; %bb.28:
	global_load_dwordx2 v[10:11], v[0:1], off
	s_waitcnt vmcnt(0)
	v_mul_f32_e32 v12, s11, v11
	v_mul_f32_e32 v11, s10, v11
	v_fma_f32 v12, v10, s10, -v12
	v_fmac_f32_e32 v11, s11, v10
	v_add_f32_e32 v4, v4, v12
	v_add_f32_e32 v5, v5, v11
.LBB251_29:
	global_store_dwordx2 v[0:1], v[4:5], off
.LBB251_30:
	s_or_b32 exec_lo, exec_lo, s2
	v_cmp_le_i32_e32 vcc_lo, v9, v2
	s_and_b32 s0, vcc_lo, s1
	s_and_saveexec_b32 s1, s0
	s_cbranch_execz .LBB251_34
; %bb.31:
	v_lshlrev_b64 v[2:3], 3, v[2:3]
	v_mul_f32_e32 v0, s23, v17
	v_mul_f32_e32 v1, s22, v17
	v_cmp_ne_u32_e32 vcc_lo, 1, v8
	v_fma_f32 v0, v16, s22, -v0
	v_add_co_u32 v2, s0, v6, v2
	v_fmac_f32_e32 v1, s23, v16
	v_add_co_ci_u32_e64 v3, null, v7, v3, s0
	s_cbranch_vccnz .LBB251_33
; %bb.32:
	global_load_dwordx2 v[4:5], v[2:3], off
	s_waitcnt vmcnt(0)
	v_mul_f32_e32 v6, s11, v5
	v_mul_f32_e32 v5, s10, v5
	v_fma_f32 v6, v4, s10, -v6
	v_fmac_f32_e32 v5, s11, v4
	v_add_f32_e32 v0, v0, v6
	v_add_f32_e32 v1, v1, v5
.LBB251_33:
	global_store_dwordx2 v[2:3], v[0:1], off
.LBB251_34:
	s_endpgm
	.section	.rodata,"a",@progbits
	.p2align	6, 0x0
	.amdhsa_kernel _ZL29rocblas_internal_gemmt_kernelIlLi16ELi32ELi8ELc67ELc67ELc76ELb1ELb1E19rocblas_complex_numIfES1_PKS1_PS1_EviT_T9_T10_S5_lS7_S5_lS6_T11_S5_li
		.amdhsa_group_segment_fixed_size 4096
		.amdhsa_private_segment_fixed_size 0
		.amdhsa_kernarg_size 108
		.amdhsa_user_sgpr_count 6
		.amdhsa_user_sgpr_private_segment_buffer 1
		.amdhsa_user_sgpr_dispatch_ptr 0
		.amdhsa_user_sgpr_queue_ptr 0
		.amdhsa_user_sgpr_kernarg_segment_ptr 1
		.amdhsa_user_sgpr_dispatch_id 0
		.amdhsa_user_sgpr_flat_scratch_init 0
		.amdhsa_user_sgpr_private_segment_size 0
		.amdhsa_wavefront_size32 1
		.amdhsa_uses_dynamic_stack 0
		.amdhsa_system_sgpr_private_segment_wavefront_offset 0
		.amdhsa_system_sgpr_workgroup_id_x 1
		.amdhsa_system_sgpr_workgroup_id_y 1
		.amdhsa_system_sgpr_workgroup_id_z 1
		.amdhsa_system_sgpr_workgroup_info 0
		.amdhsa_system_vgpr_workitem_id 1
		.amdhsa_next_free_vgpr 61
		.amdhsa_next_free_sgpr 29
		.amdhsa_reserve_vcc 1
		.amdhsa_reserve_flat_scratch 0
		.amdhsa_float_round_mode_32 0
		.amdhsa_float_round_mode_16_64 0
		.amdhsa_float_denorm_mode_32 3
		.amdhsa_float_denorm_mode_16_64 3
		.amdhsa_dx10_clamp 1
		.amdhsa_ieee_mode 1
		.amdhsa_fp16_overflow 0
		.amdhsa_workgroup_processor_mode 1
		.amdhsa_memory_ordered 1
		.amdhsa_forward_progress 1
		.amdhsa_shared_vgpr_count 0
		.amdhsa_exception_fp_ieee_invalid_op 0
		.amdhsa_exception_fp_denorm_src 0
		.amdhsa_exception_fp_ieee_div_zero 0
		.amdhsa_exception_fp_ieee_overflow 0
		.amdhsa_exception_fp_ieee_underflow 0
		.amdhsa_exception_fp_ieee_inexact 0
		.amdhsa_exception_int_div_zero 0
	.end_amdhsa_kernel
	.section	.text._ZL29rocblas_internal_gemmt_kernelIlLi16ELi32ELi8ELc67ELc67ELc76ELb1ELb1E19rocblas_complex_numIfES1_PKS1_PS1_EviT_T9_T10_S5_lS7_S5_lS6_T11_S5_li,"axG",@progbits,_ZL29rocblas_internal_gemmt_kernelIlLi16ELi32ELi8ELc67ELc67ELc76ELb1ELb1E19rocblas_complex_numIfES1_PKS1_PS1_EviT_T9_T10_S5_lS7_S5_lS6_T11_S5_li,comdat
.Lfunc_end251:
	.size	_ZL29rocblas_internal_gemmt_kernelIlLi16ELi32ELi8ELc67ELc67ELc76ELb1ELb1E19rocblas_complex_numIfES1_PKS1_PS1_EviT_T9_T10_S5_lS7_S5_lS6_T11_S5_li, .Lfunc_end251-_ZL29rocblas_internal_gemmt_kernelIlLi16ELi32ELi8ELc67ELc67ELc76ELb1ELb1E19rocblas_complex_numIfES1_PKS1_PS1_EviT_T9_T10_S5_lS7_S5_lS6_T11_S5_li
                                        ; -- End function
	.set _ZL29rocblas_internal_gemmt_kernelIlLi16ELi32ELi8ELc67ELc67ELc76ELb1ELb1E19rocblas_complex_numIfES1_PKS1_PS1_EviT_T9_T10_S5_lS7_S5_lS6_T11_S5_li.num_vgpr, 61
	.set _ZL29rocblas_internal_gemmt_kernelIlLi16ELi32ELi8ELc67ELc67ELc76ELb1ELb1E19rocblas_complex_numIfES1_PKS1_PS1_EviT_T9_T10_S5_lS7_S5_lS6_T11_S5_li.num_agpr, 0
	.set _ZL29rocblas_internal_gemmt_kernelIlLi16ELi32ELi8ELc67ELc67ELc76ELb1ELb1E19rocblas_complex_numIfES1_PKS1_PS1_EviT_T9_T10_S5_lS7_S5_lS6_T11_S5_li.numbered_sgpr, 29
	.set _ZL29rocblas_internal_gemmt_kernelIlLi16ELi32ELi8ELc67ELc67ELc76ELb1ELb1E19rocblas_complex_numIfES1_PKS1_PS1_EviT_T9_T10_S5_lS7_S5_lS6_T11_S5_li.num_named_barrier, 0
	.set _ZL29rocblas_internal_gemmt_kernelIlLi16ELi32ELi8ELc67ELc67ELc76ELb1ELb1E19rocblas_complex_numIfES1_PKS1_PS1_EviT_T9_T10_S5_lS7_S5_lS6_T11_S5_li.private_seg_size, 0
	.set _ZL29rocblas_internal_gemmt_kernelIlLi16ELi32ELi8ELc67ELc67ELc76ELb1ELb1E19rocblas_complex_numIfES1_PKS1_PS1_EviT_T9_T10_S5_lS7_S5_lS6_T11_S5_li.uses_vcc, 1
	.set _ZL29rocblas_internal_gemmt_kernelIlLi16ELi32ELi8ELc67ELc67ELc76ELb1ELb1E19rocblas_complex_numIfES1_PKS1_PS1_EviT_T9_T10_S5_lS7_S5_lS6_T11_S5_li.uses_flat_scratch, 0
	.set _ZL29rocblas_internal_gemmt_kernelIlLi16ELi32ELi8ELc67ELc67ELc76ELb1ELb1E19rocblas_complex_numIfES1_PKS1_PS1_EviT_T9_T10_S5_lS7_S5_lS6_T11_S5_li.has_dyn_sized_stack, 0
	.set _ZL29rocblas_internal_gemmt_kernelIlLi16ELi32ELi8ELc67ELc67ELc76ELb1ELb1E19rocblas_complex_numIfES1_PKS1_PS1_EviT_T9_T10_S5_lS7_S5_lS6_T11_S5_li.has_recursion, 0
	.set _ZL29rocblas_internal_gemmt_kernelIlLi16ELi32ELi8ELc67ELc67ELc76ELb1ELb1E19rocblas_complex_numIfES1_PKS1_PS1_EviT_T9_T10_S5_lS7_S5_lS6_T11_S5_li.has_indirect_call, 0
	.section	.AMDGPU.csdata,"",@progbits
; Kernel info:
; codeLenInByte = 2660
; TotalNumSgprs: 31
; NumVgprs: 61
; ScratchSize: 0
; MemoryBound: 0
; FloatMode: 240
; IeeeMode: 1
; LDSByteSize: 4096 bytes/workgroup (compile time only)
; SGPRBlocks: 0
; VGPRBlocks: 7
; NumSGPRsForWavesPerEU: 31
; NumVGPRsForWavesPerEU: 61
; Occupancy: 16
; WaveLimiterHint : 0
; COMPUTE_PGM_RSRC2:SCRATCH_EN: 0
; COMPUTE_PGM_RSRC2:USER_SGPR: 6
; COMPUTE_PGM_RSRC2:TRAP_HANDLER: 0
; COMPUTE_PGM_RSRC2:TGID_X_EN: 1
; COMPUTE_PGM_RSRC2:TGID_Y_EN: 1
; COMPUTE_PGM_RSRC2:TGID_Z_EN: 1
; COMPUTE_PGM_RSRC2:TIDIG_COMP_CNT: 1
	.section	.text._ZL29rocblas_internal_gemmt_kernelIlLi16ELi32ELi8ELc78ELc78ELc85ELb0ELb0E19rocblas_complex_numIdEPKS1_S3_PS1_EviT_T9_T10_S5_lS7_S5_lS6_T11_S5_li,"axG",@progbits,_ZL29rocblas_internal_gemmt_kernelIlLi16ELi32ELi8ELc78ELc78ELc85ELb0ELb0E19rocblas_complex_numIdEPKS1_S3_PS1_EviT_T9_T10_S5_lS7_S5_lS6_T11_S5_li,comdat
	.globl	_ZL29rocblas_internal_gemmt_kernelIlLi16ELi32ELi8ELc78ELc78ELc85ELb0ELb0E19rocblas_complex_numIdEPKS1_S3_PS1_EviT_T9_T10_S5_lS7_S5_lS6_T11_S5_li ; -- Begin function _ZL29rocblas_internal_gemmt_kernelIlLi16ELi32ELi8ELc78ELc78ELc85ELb0ELb0E19rocblas_complex_numIdEPKS1_S3_PS1_EviT_T9_T10_S5_lS7_S5_lS6_T11_S5_li
	.p2align	8
	.type	_ZL29rocblas_internal_gemmt_kernelIlLi16ELi32ELi8ELc78ELc78ELc85ELb0ELb0E19rocblas_complex_numIdEPKS1_S3_PS1_EviT_T9_T10_S5_lS7_S5_lS6_T11_S5_li,@function
_ZL29rocblas_internal_gemmt_kernelIlLi16ELi32ELi8ELc78ELc78ELc85ELb0ELb0E19rocblas_complex_numIdEPKS1_S3_PS1_EviT_T9_T10_S5_lS7_S5_lS6_T11_S5_li: ; @_ZL29rocblas_internal_gemmt_kernelIlLi16ELi32ELi8ELc78ELc78ELc85ELb0ELb0E19rocblas_complex_numIdEPKS1_S3_PS1_EviT_T9_T10_S5_lS7_S5_lS6_T11_S5_li
; %bb.0:
	s_load_dwordx8 s[36:43], s[4:5], 0x48
	s_waitcnt lgkmcnt(0)
	s_load_dwordx4 s[28:31], s[36:37], 0x0
	s_load_dwordx16 s[12:27], s[4:5], 0x8
	s_waitcnt lgkmcnt(0)
	v_cmp_eq_f64_e64 s0, s[28:29], 1.0
	v_cmp_eq_f64_e64 s9, s[30:31], 0
	s_load_dwordx4 s[44:47], s[14:15], 0x0
	s_and_b32 s0, s0, s9
	s_andn2_b32 vcc_lo, exec_lo, s0
	s_mov_b32 s0, -1
	s_cbranch_vccnz .LBB252_3
; %bb.1:
	s_cmp_lg_u64 s[12:13], 0
	s_cbranch_scc0 .LBB252_33
; %bb.2:
	s_waitcnt lgkmcnt(0)
	v_cmp_neq_f64_e64 s0, s[44:45], 0
	v_cmp_neq_f64_e64 s1, s[46:47], 0
	s_or_b32 s0, s0, s1
.LBB252_3:
	s_and_b32 vcc_lo, exec_lo, s0
	s_cbranch_vccz .LBB252_34
; %bb.4:
	s_waitcnt lgkmcnt(0)
	v_cmp_eq_f64_e64 s0, s[44:45], 0
	v_cmp_eq_f64_e64 s1, s[46:47], 0
	s_load_dword s4, s[4:5], 0x0
	v_cmp_lt_i64_e64 s2, s[12:13], 1
	v_mov_b32_e32 v20, 0
	v_mov_b32_e32 v22, 0
	;; [unrolled: 1-line block ×16, first 2 shown]
	s_lshl_b32 s5, s6, 5
	s_lshl_b32 s6, s7, 5
	s_and_b32 s0, s0, s1
	s_or_b32 s0, s0, s2
	s_and_b32 vcc_lo, exec_lo, s0
	s_cbranch_vccnz .LBB252_17
; %bb.5:
	v_lshl_add_u32 v3, v1, 4, v0
	s_mul_i32 s1, s27, s8
	s_mul_hi_u32 s2, s26, s8
	s_mul_i32 s0, s26, s8
	s_add_i32 s1, s2, s1
	v_lshrrev_b32_e32 v8, 3, v3
	v_and_b32_e32 v6, 31, v3
	v_and_b32_e32 v24, 7, v0
	s_lshl_b64 s[0:1], s[0:1], 4
	v_lshrrev_b32_e32 v25, 5, v3
	v_add_nc_u32_e32 v9, s6, v8
	v_or_b32_e32 v2, s5, v6
	s_mul_i32 s3, s21, s8
	s_mul_hi_u32 s7, s20, s8
	s_add_u32 s10, s22, s0
	v_ashrrev_i32_e32 v4, 31, v9
	v_mul_lo_u32 v7, s25, v9
	v_ashrrev_i32_e32 v3, 31, v2
	s_mul_i32 s2, s20, s8
	s_addc_u32 s11, s23, s1
	v_mul_lo_u32 v10, s24, v4
	v_mad_u64_u32 v[4:5], null, s24, v9, 0
	s_add_i32 s3, s7, s3
	v_lshlrev_b32_e32 v12, 4, v24
	s_lshl_b64 s[0:1], s[2:3], 4
	v_lshlrev_b32_e32 v11, 4, v6
	s_add_u32 s2, s16, s0
	s_waitcnt lgkmcnt(0)
	v_cmp_gt_i32_e64 s0, s4, v2
	v_add3_u32 v5, v5, v10, v7
	v_lshlrev_b64 v[6:7], 4, v[2:3]
	v_cmp_le_i32_e64 s7, s4, v2
	v_lshl_or_b32 v8, v8, 7, v12
	s_addc_u32 s1, s17, s1
	v_lshlrev_b64 v[2:3], 4, v[4:5]
	v_lshl_or_b32 v26, v25, 9, v11
	v_add_co_u32 v27, vcc_lo, s2, v6
	v_add_co_ci_u32_e64 v28, null, s1, v7, vcc_lo
	v_cmp_gt_i32_e32 vcc_lo, s4, v9
	v_add_co_u32 v30, s1, s10, v2
	v_add_nc_u32_e32 v29, 0x1000, v8
	v_mov_b32_e32 v8, 0
	v_mov_b32_e32 v10, 0
	;; [unrolled: 1-line block ×8, first 2 shown]
	v_add_co_ci_u32_e64 v31, null, s11, v3, s1
	v_lshlrev_b32_e32 v32, 4, v0
	v_lshl_add_u32 v33, v1, 7, 0x1000
	v_mov_b32_e32 v9, 0
	v_mov_b32_e32 v11, 0
	;; [unrolled: 1-line block ×9, first 2 shown]
	s_mov_b64 s[2:3], 0
	s_xor_b32 s1, vcc_lo, -1
                                        ; implicit-def: $vgpr6_vgpr7
	s_branch .LBB252_7
.LBB252_6:                              ;   in Loop: Header=BB252_7 Depth=1
	s_or_b32 exec_lo, exec_lo, s10
	s_waitcnt lgkmcnt(0)
	s_barrier
	buffer_gl0_inv
	ds_read_b128 v[34:37], v33
	ds_read_b128 v[38:41], v33 offset:16
	ds_read_b128 v[42:45], v33 offset:32
	;; [unrolled: 1-line block ×3, first 2 shown]
	ds_read_b128 v[50:53], v32
	s_add_u32 s2, s2, 8
	s_addc_u32 s3, s3, 0
	v_cmp_gt_i64_e64 s10, s[12:13], s[2:3]
	s_and_b32 vcc_lo, exec_lo, s10
	s_waitcnt lgkmcnt(0)
	v_mul_f64 v[4:5], v[36:37], v[52:53]
	v_mul_f64 v[54:55], v[34:35], v[52:53]
	v_fma_f64 v[4:5], v[34:35], v[50:51], -v[4:5]
	v_fma_f64 v[54:55], v[36:37], v[50:51], v[54:55]
	v_add_f64 v[4:5], v[20:21], v[4:5]
	v_add_f64 v[54:55], v[54:55], v[22:23]
	ds_read_b128 v[20:23], v32 offset:256
	s_waitcnt lgkmcnt(0)
	v_mul_f64 v[56:57], v[36:37], v[22:23]
	v_fma_f64 v[56:57], v[34:35], v[20:21], -v[56:57]
	v_mul_f64 v[34:35], v[34:35], v[22:23]
	v_fma_f64 v[34:35], v[36:37], v[20:21], v[34:35]
	v_add_f64 v[36:37], v[16:17], v[56:57]
	v_add_f64 v[34:35], v[34:35], v[18:19]
	ds_read_b128 v[16:19], v33 offset:2048
	s_waitcnt lgkmcnt(0)
	v_mul_f64 v[56:57], v[18:19], v[52:53]
	v_mul_f64 v[52:53], v[16:17], v[52:53]
	v_fma_f64 v[56:57], v[16:17], v[50:51], -v[56:57]
	v_fma_f64 v[50:51], v[18:19], v[50:51], v[52:53]
	v_add_f64 v[52:53], v[12:13], v[56:57]
	v_add_f64 v[50:51], v[50:51], v[14:15]
	v_mul_f64 v[12:13], v[18:19], v[22:23]
	v_mul_f64 v[14:15], v[16:17], v[22:23]
	v_fma_f64 v[12:13], v[16:17], v[20:21], -v[12:13]
	v_fma_f64 v[14:15], v[18:19], v[20:21], v[14:15]
	v_add_f64 v[20:21], v[10:11], v[12:13]
	v_add_f64 v[22:23], v[14:15], v[8:9]
	ds_read_b128 v[8:11], v32 offset:512
	s_waitcnt lgkmcnt(0)
	v_mul_f64 v[12:13], v[40:41], v[10:11]
	v_mul_f64 v[14:15], v[38:39], v[10:11]
	v_fma_f64 v[12:13], v[38:39], v[8:9], -v[12:13]
	v_fma_f64 v[14:15], v[40:41], v[8:9], v[14:15]
	v_add_f64 v[4:5], v[4:5], v[12:13]
	v_add_f64 v[54:55], v[14:15], v[54:55]
	ds_read_b128 v[12:15], v32 offset:768
	s_waitcnt lgkmcnt(0)
	;; [unrolled: 8-line block ×3, first 2 shown]
	v_mul_f64 v[38:39], v[18:19], v[10:11]
	v_mul_f64 v[10:11], v[16:17], v[10:11]
	v_fma_f64 v[38:39], v[16:17], v[8:9], -v[38:39]
	v_fma_f64 v[8:9], v[18:19], v[8:9], v[10:11]
	v_mul_f64 v[10:11], v[16:17], v[14:15]
	v_add_f64 v[38:39], v[52:53], v[38:39]
	v_add_f64 v[40:41], v[8:9], v[50:51]
	v_mul_f64 v[8:9], v[18:19], v[14:15]
	v_fma_f64 v[10:11], v[18:19], v[12:13], v[10:11]
	v_fma_f64 v[8:9], v[16:17], v[12:13], -v[8:9]
	v_add_f64 v[22:23], v[10:11], v[22:23]
	v_add_f64 v[20:21], v[20:21], v[8:9]
	ds_read_b128 v[8:11], v32 offset:1024
	s_waitcnt lgkmcnt(0)
	v_mul_f64 v[12:13], v[44:45], v[10:11]
	v_mul_f64 v[14:15], v[42:43], v[10:11]
	v_fma_f64 v[12:13], v[42:43], v[8:9], -v[12:13]
	v_fma_f64 v[14:15], v[44:45], v[8:9], v[14:15]
	v_add_f64 v[4:5], v[4:5], v[12:13]
	v_add_f64 v[50:51], v[14:15], v[54:55]
	ds_read_b128 v[12:15], v32 offset:1280
	s_waitcnt lgkmcnt(0)
	v_mul_f64 v[16:17], v[44:45], v[14:15]
	v_mul_f64 v[18:19], v[42:43], v[14:15]
	v_fma_f64 v[16:17], v[42:43], v[12:13], -v[16:17]
	v_fma_f64 v[18:19], v[44:45], v[12:13], v[18:19]
	;; [unrolled: 8-line block ×3, first 2 shown]
	v_mul_f64 v[10:11], v[16:17], v[14:15]
	v_add_f64 v[38:39], v[38:39], v[42:43]
	v_add_f64 v[40:41], v[8:9], v[40:41]
	v_mul_f64 v[8:9], v[18:19], v[14:15]
	v_fma_f64 v[10:11], v[18:19], v[12:13], v[10:11]
	v_fma_f64 v[8:9], v[16:17], v[12:13], -v[8:9]
	v_add_f64 v[22:23], v[10:11], v[22:23]
	v_add_f64 v[20:21], v[20:21], v[8:9]
	ds_read_b128 v[8:11], v32 offset:1536
	s_waitcnt lgkmcnt(0)
	v_mul_f64 v[12:13], v[48:49], v[10:11]
	v_mul_f64 v[14:15], v[46:47], v[10:11]
	v_fma_f64 v[12:13], v[46:47], v[8:9], -v[12:13]
	v_fma_f64 v[14:15], v[48:49], v[8:9], v[14:15]
	v_add_f64 v[4:5], v[4:5], v[12:13]
	v_add_f64 v[42:43], v[14:15], v[50:51]
	ds_read_b128 v[12:15], v32 offset:1792
	s_waitcnt lgkmcnt(0)
	v_mul_f64 v[16:17], v[48:49], v[14:15]
	v_mul_f64 v[18:19], v[46:47], v[14:15]
	v_fma_f64 v[16:17], v[46:47], v[12:13], -v[16:17]
	v_fma_f64 v[18:19], v[48:49], v[12:13], v[18:19]
	;; [unrolled: 8-line block ×3, first 2 shown]
	v_mul_f64 v[10:11], v[16:17], v[14:15]
	v_add_f64 v[38:39], v[38:39], v[44:45]
	v_add_f64 v[40:41], v[8:9], v[40:41]
	v_mul_f64 v[8:9], v[18:19], v[14:15]
	v_fma_f64 v[10:11], v[18:19], v[12:13], v[10:11]
	v_fma_f64 v[8:9], v[16:17], v[12:13], -v[8:9]
	v_add_f64 v[22:23], v[10:11], v[22:23]
	v_add_f64 v[20:21], v[20:21], v[8:9]
	ds_read_b128 v[8:11], v33 offset:64
	ds_read_b128 v[12:15], v32 offset:2048
	s_waitcnt lgkmcnt(0)
	v_mul_f64 v[16:17], v[10:11], v[14:15]
	v_mul_f64 v[18:19], v[8:9], v[14:15]
	v_fma_f64 v[16:17], v[8:9], v[12:13], -v[16:17]
	v_fma_f64 v[18:19], v[10:11], v[12:13], v[18:19]
	v_add_f64 v[4:5], v[4:5], v[16:17]
	v_add_f64 v[42:43], v[18:19], v[42:43]
	ds_read_b128 v[16:19], v32 offset:2304
	s_waitcnt lgkmcnt(0)
	v_mul_f64 v[44:45], v[10:11], v[18:19]
	v_fma_f64 v[44:45], v[8:9], v[16:17], -v[44:45]
	v_mul_f64 v[8:9], v[8:9], v[18:19]
	v_add_f64 v[36:37], v[36:37], v[44:45]
	v_fma_f64 v[8:9], v[10:11], v[16:17], v[8:9]
	v_add_f64 v[34:35], v[8:9], v[34:35]
	ds_read_b128 v[8:11], v33 offset:2112
	s_waitcnt lgkmcnt(0)
	v_mul_f64 v[44:45], v[10:11], v[14:15]
	v_mul_f64 v[14:15], v[8:9], v[14:15]
	v_fma_f64 v[44:45], v[8:9], v[12:13], -v[44:45]
	v_fma_f64 v[12:13], v[10:11], v[12:13], v[14:15]
	v_add_f64 v[38:39], v[38:39], v[44:45]
	v_add_f64 v[40:41], v[12:13], v[40:41]
	v_mul_f64 v[12:13], v[10:11], v[18:19]
	v_fma_f64 v[12:13], v[8:9], v[16:17], -v[12:13]
	v_mul_f64 v[8:9], v[8:9], v[18:19]
	v_add_f64 v[20:21], v[20:21], v[12:13]
	v_fma_f64 v[8:9], v[10:11], v[16:17], v[8:9]
	v_add_f64 v[22:23], v[8:9], v[22:23]
	ds_read_b128 v[8:11], v33 offset:80
	ds_read_b128 v[12:15], v32 offset:2560
	s_waitcnt lgkmcnt(0)
	v_mul_f64 v[16:17], v[10:11], v[14:15]
	v_mul_f64 v[18:19], v[8:9], v[14:15]
	v_fma_f64 v[16:17], v[8:9], v[12:13], -v[16:17]
	v_fma_f64 v[18:19], v[10:11], v[12:13], v[18:19]
	v_add_f64 v[4:5], v[4:5], v[16:17]
	v_add_f64 v[42:43], v[18:19], v[42:43]
	ds_read_b128 v[16:19], v32 offset:2816
	s_waitcnt lgkmcnt(0)
	v_mul_f64 v[44:45], v[10:11], v[18:19]
	v_fma_f64 v[44:45], v[8:9], v[16:17], -v[44:45]
	v_mul_f64 v[8:9], v[8:9], v[18:19]
	v_add_f64 v[36:37], v[36:37], v[44:45]
	v_fma_f64 v[8:9], v[10:11], v[16:17], v[8:9]
	v_add_f64 v[34:35], v[8:9], v[34:35]
	ds_read_b128 v[8:11], v33 offset:2128
	s_waitcnt lgkmcnt(0)
	v_mul_f64 v[44:45], v[10:11], v[14:15]
	v_mul_f64 v[14:15], v[8:9], v[14:15]
	v_fma_f64 v[44:45], v[8:9], v[12:13], -v[44:45]
	v_fma_f64 v[12:13], v[10:11], v[12:13], v[14:15]
	v_add_f64 v[38:39], v[38:39], v[44:45]
	v_add_f64 v[40:41], v[12:13], v[40:41]
	v_mul_f64 v[12:13], v[10:11], v[18:19]
	v_fma_f64 v[12:13], v[8:9], v[16:17], -v[12:13]
	v_mul_f64 v[8:9], v[8:9], v[18:19]
	v_add_f64 v[20:21], v[20:21], v[12:13]
	v_fma_f64 v[8:9], v[10:11], v[16:17], v[8:9]
	;; [unrolled: 31-line block ×3, first 2 shown]
	v_add_f64 v[50:51], v[8:9], v[22:23]
	ds_read_b128 v[8:11], v33 offset:112
	ds_read_b128 v[12:15], v32 offset:3584
	ds_read_b128 v[34:37], v32 offset:3840
	s_waitcnt lgkmcnt(1)
	v_mul_f64 v[16:17], v[10:11], v[14:15]
	v_mul_f64 v[18:19], v[8:9], v[14:15]
	v_fma_f64 v[16:17], v[8:9], v[12:13], -v[16:17]
	v_fma_f64 v[18:19], v[10:11], v[12:13], v[18:19]
	v_add_f64 v[20:21], v[4:5], v[16:17]
	s_waitcnt lgkmcnt(0)
	v_mul_f64 v[4:5], v[10:11], v[36:37]
	v_add_f64 v[22:23], v[18:19], v[42:43]
	v_fma_f64 v[4:5], v[8:9], v[34:35], -v[4:5]
	v_mul_f64 v[8:9], v[8:9], v[36:37]
	v_add_f64 v[16:17], v[44:45], v[4:5]
	v_fma_f64 v[8:9], v[10:11], v[34:35], v[8:9]
	v_add_f64 v[18:19], v[8:9], v[46:47]
	ds_read_b128 v[8:11], v33 offset:2160
	s_waitcnt lgkmcnt(0)
	s_barrier
	buffer_gl0_inv
	v_mul_f64 v[4:5], v[10:11], v[14:15]
	v_mul_f64 v[14:15], v[8:9], v[14:15]
	v_fma_f64 v[4:5], v[8:9], v[12:13], -v[4:5]
	v_fma_f64 v[14:15], v[10:11], v[12:13], v[14:15]
	v_add_f64 v[12:13], v[38:39], v[4:5]
	v_mul_f64 v[4:5], v[10:11], v[36:37]
	v_add_f64 v[14:15], v[14:15], v[40:41]
	v_fma_f64 v[4:5], v[8:9], v[34:35], -v[4:5]
	v_mul_f64 v[8:9], v[8:9], v[36:37]
	v_fma_f64 v[8:9], v[10:11], v[34:35], v[8:9]
	v_add_f64 v[10:11], v[48:49], v[4:5]
	v_add_f64 v[8:9], v[8:9], v[50:51]
	s_cbranch_vccz .LBB252_17
.LBB252_7:                              ; =>This Inner Loop Header: Depth=1
	s_mov_b32 s14, s7
	s_mov_b32 s10, 0
	s_and_saveexec_b32 s11, s0
	s_cbranch_execnz .LBB252_15
; %bb.8:                                ;   in Loop: Header=BB252_7 Depth=1
	s_or_b32 exec_lo, exec_lo, s11
	s_and_saveexec_b32 s11, s14
	s_xor_b32 s11, exec_lo, s11
	s_cbranch_execnz .LBB252_16
.LBB252_9:                              ;   in Loop: Header=BB252_7 Depth=1
	s_or_b32 exec_lo, exec_lo, s11
	s_and_saveexec_b32 s11, s10
	s_cbranch_execz .LBB252_11
.LBB252_10:                             ;   in Loop: Header=BB252_7 Depth=1
	v_mul_lo_u32 v2, s19, v6
	v_mul_lo_u32 v34, s18, v7
	v_mad_u64_u32 v[4:5], null, s18, v6, 0
	v_add3_u32 v5, v5, v34, v2
	v_lshlrev_b64 v[4:5], 4, v[4:5]
	v_add_co_u32 v4, vcc_lo, v27, v4
	v_add_co_ci_u32_e64 v5, null, v28, v5, vcc_lo
	global_load_dwordx4 v[34:37], v[4:5], off
	s_waitcnt vmcnt(0)
	ds_write2_b64 v26, v[34:35], v[36:37] offset1:1
.LBB252_11:                             ;   in Loop: Header=BB252_7 Depth=1
	s_or_b32 exec_lo, exec_lo, s11
	v_add_nc_u32_e32 v2, s2, v24
	v_cmp_le_u64_e32 vcc_lo, s[12:13], v[2:3]
	s_or_b32 s10, vcc_lo, s1
	s_and_saveexec_b32 s11, s10
	s_xor_b32 s10, exec_lo, s11
	s_cbranch_execz .LBB252_13
; %bb.12:                               ;   in Loop: Header=BB252_7 Depth=1
	v_mov_b32_e32 v2, v3
	v_mov_b32_e32 v4, v3
	;; [unrolled: 1-line block ×3, first 2 shown]
	ds_write_b128 v29, v[2:5]
.LBB252_13:                             ;   in Loop: Header=BB252_7 Depth=1
	s_andn2_saveexec_b32 s10, s10
	s_cbranch_execz .LBB252_6
; %bb.14:                               ;   in Loop: Header=BB252_7 Depth=1
	v_lshlrev_b64 v[4:5], 4, v[2:3]
	v_add_co_u32 v4, vcc_lo, v30, v4
	v_add_co_ci_u32_e64 v5, null, v31, v5, vcc_lo
	global_load_dwordx4 v[34:37], v[4:5], off
	s_waitcnt vmcnt(0)
	ds_write2_b64 v29, v[34:35], v[36:37] offset1:1
	s_branch .LBB252_6
.LBB252_15:                             ;   in Loop: Header=BB252_7 Depth=1
	v_add_nc_u32_e32 v2, s2, v25
	v_mov_b32_e32 v7, v3
	s_andn2_b32 s14, s7, exec_lo
	s_mov_b32 s10, exec_lo
	v_cmp_le_u64_e32 vcc_lo, s[12:13], v[2:3]
	v_mov_b32_e32 v6, v2
	s_and_b32 s15, vcc_lo, exec_lo
	s_or_b32 s14, s14, s15
	s_or_b32 exec_lo, exec_lo, s11
	s_and_saveexec_b32 s11, s14
	s_xor_b32 s11, exec_lo, s11
	s_cbranch_execz .LBB252_9
.LBB252_16:                             ;   in Loop: Header=BB252_7 Depth=1
	v_mov_b32_e32 v2, v3
	v_mov_b32_e32 v4, v3
	;; [unrolled: 1-line block ×3, first 2 shown]
	s_andn2_b32 s10, s10, exec_lo
	ds_write_b128 v26, v[2:5]
	s_or_b32 exec_lo, exec_lo, s11
	s_and_saveexec_b32 s11, s10
	s_cbranch_execnz .LBB252_10
	s_branch .LBB252_11
.LBB252_17:
	v_add_nc_u32_e32 v25, s6, v1
	v_cmp_neq_f64_e64 s6, s[28:29], 0
	s_mul_i32 s1, s43, s8
	s_mul_hi_u32 s2, s42, s8
	s_mul_i32 s0, s42, s8
	v_ashrrev_i32_e32 v3, 31, v25
	v_mul_lo_u32 v5, s41, v25
	v_mad_u64_u32 v[1:2], null, s40, v25, 0
	s_add_i32 s1, s2, s1
	v_mul_lo_u32 v3, s40, v3
	v_add_nc_u32_e32 v4, s5, v0
	s_lshl_b64 s[2:3], s[0:1], 4
	s_waitcnt lgkmcnt(0)
	v_cmp_gt_i32_e64 s0, s4, v25
	s_add_u32 s2, s38, s2
	s_addc_u32 s3, s39, s3
	s_xor_b32 s5, s9, -1
	v_cmp_le_i32_e32 vcc_lo, v4, v25
	v_add3_u32 v2, v2, v3, v5
	v_ashrrev_i32_e32 v5, 31, v4
	s_or_b32 s5, s6, s5
	v_lshlrev_b64 v[0:1], 4, v[1:2]
	v_cndmask_b32_e64 v24, 0, 1, s5
	s_and_b32 s6, s0, vcc_lo
	v_add_co_u32 v26, s1, s2, v0
	v_add_co_ci_u32_e64 v27, null, s3, v1, s1
	s_and_saveexec_b32 s1, s6
	s_cbranch_execz .LBB252_21
; %bb.18:
	v_mul_f64 v[0:1], s[46:47], v[22:23]
	v_mul_f64 v[2:3], s[44:45], v[22:23]
	v_lshlrev_b64 v[6:7], 4, v[4:5]
	v_add_co_u32 v6, vcc_lo, v26, v6
	v_add_co_ci_u32_e64 v7, null, v27, v7, vcc_lo
	s_andn2_b32 vcc_lo, exec_lo, s5
	v_fma_f64 v[0:1], s[44:45], v[20:21], -v[0:1]
	v_fma_f64 v[2:3], s[46:47], v[20:21], v[2:3]
	s_cbranch_vccnz .LBB252_20
; %bb.19:
	global_load_dwordx4 v[20:23], v[6:7], off
	s_waitcnt vmcnt(0)
	v_mul_f64 v[28:29], s[30:31], v[22:23]
	v_mul_f64 v[22:23], s[28:29], v[22:23]
	v_fma_f64 v[28:29], s[28:29], v[20:21], -v[28:29]
	v_fma_f64 v[20:21], s[30:31], v[20:21], v[22:23]
	v_add_f64 v[0:1], v[0:1], v[28:29]
	v_add_f64 v[2:3], v[2:3], v[20:21]
.LBB252_20:
	global_store_dwordx4 v[6:7], v[0:3], off
.LBB252_21:
	s_or_b32 exec_lo, exec_lo, s1
	v_add_nc_u32_e32 v6, 16, v4
	v_cmp_le_i32_e32 vcc_lo, v6, v25
	v_ashrrev_i32_e32 v7, 31, v6
	s_and_b32 s0, s0, vcc_lo
	s_and_saveexec_b32 s1, s0
	s_cbranch_execz .LBB252_25
; %bb.22:
	v_mul_f64 v[0:1], s[46:47], v[18:19]
	v_mul_f64 v[2:3], s[44:45], v[18:19]
	v_cmp_ne_u32_e32 vcc_lo, 1, v24
	s_and_b32 vcc_lo, exec_lo, vcc_lo
	v_fma_f64 v[0:1], s[44:45], v[16:17], -v[0:1]
	v_fma_f64 v[2:3], s[46:47], v[16:17], v[2:3]
	v_lshlrev_b64 v[16:17], 4, v[6:7]
	v_add_co_u32 v16, s0, v26, v16
	v_add_co_ci_u32_e64 v17, null, v27, v17, s0
	s_cbranch_vccnz .LBB252_24
; %bb.23:
	global_load_dwordx4 v[18:21], v[16:17], off
	s_waitcnt vmcnt(0)
	v_mul_f64 v[22:23], s[30:31], v[20:21]
	v_mul_f64 v[20:21], s[28:29], v[20:21]
	v_fma_f64 v[22:23], s[28:29], v[18:19], -v[22:23]
	v_fma_f64 v[18:19], s[30:31], v[18:19], v[20:21]
	v_add_f64 v[0:1], v[0:1], v[22:23]
	v_add_f64 v[2:3], v[2:3], v[18:19]
.LBB252_24:
	global_store_dwordx4 v[16:17], v[0:3], off
.LBB252_25:
	s_or_b32 exec_lo, exec_lo, s1
	v_add_nc_u32_e32 v18, 16, v25
	v_ashrrev_i32_e32 v2, 31, v18
	v_mul_lo_u32 v3, s41, v18
	v_mad_u64_u32 v[0:1], null, s40, v18, 0
	v_cmp_gt_i32_e64 s0, s4, v18
	v_mul_lo_u32 v2, s40, v2
	v_cmp_le_i32_e32 vcc_lo, v4, v18
	v_add3_u32 v1, v1, v2, v3
	v_lshlrev_b64 v[0:1], 4, v[0:1]
	v_add_co_u32 v16, s1, s2, v0
	v_add_co_ci_u32_e64 v17, null, s3, v1, s1
	s_and_b32 s1, s0, vcc_lo
	s_and_saveexec_b32 s2, s1
	s_cbranch_execz .LBB252_29
; %bb.26:
	v_mul_f64 v[0:1], s[46:47], v[14:15]
	v_mul_f64 v[2:3], s[44:45], v[14:15]
	v_lshlrev_b64 v[4:5], 4, v[4:5]
	v_cmp_ne_u32_e32 vcc_lo, 1, v24
	s_and_b32 vcc_lo, exec_lo, vcc_lo
	v_add_co_u32 v4, s1, v16, v4
	v_add_co_ci_u32_e64 v5, null, v17, v5, s1
	v_fma_f64 v[0:1], s[44:45], v[12:13], -v[0:1]
	v_fma_f64 v[2:3], s[46:47], v[12:13], v[2:3]
	s_cbranch_vccnz .LBB252_28
; %bb.27:
	global_load_dwordx4 v[12:15], v[4:5], off
	s_waitcnt vmcnt(0)
	v_mul_f64 v[19:20], s[30:31], v[14:15]
	v_mul_f64 v[14:15], s[28:29], v[14:15]
	v_fma_f64 v[19:20], s[28:29], v[12:13], -v[19:20]
	v_fma_f64 v[12:13], s[30:31], v[12:13], v[14:15]
	v_add_f64 v[0:1], v[0:1], v[19:20]
	v_add_f64 v[2:3], v[2:3], v[12:13]
.LBB252_28:
	global_store_dwordx4 v[4:5], v[0:3], off
.LBB252_29:
	s_or_b32 exec_lo, exec_lo, s2
	v_cmp_le_i32_e32 vcc_lo, v6, v18
	s_and_b32 s0, s0, vcc_lo
	s_and_saveexec_b32 s1, s0
	s_cbranch_execz .LBB252_34
; %bb.30:
	v_mul_f64 v[0:1], s[46:47], v[8:9]
	v_mul_f64 v[2:3], s[44:45], v[8:9]
	v_lshlrev_b64 v[4:5], 4, v[6:7]
	v_cmp_ne_u32_e32 vcc_lo, 1, v24
	s_and_b32 vcc_lo, exec_lo, vcc_lo
	v_add_co_u32 v4, s0, v16, v4
	v_add_co_ci_u32_e64 v5, null, v17, v5, s0
	v_fma_f64 v[0:1], s[44:45], v[10:11], -v[0:1]
	v_fma_f64 v[2:3], s[46:47], v[10:11], v[2:3]
	s_cbranch_vccnz .LBB252_32
; %bb.31:
	global_load_dwordx4 v[6:9], v[4:5], off
	s_waitcnt vmcnt(0)
	v_mul_f64 v[10:11], s[30:31], v[8:9]
	v_mul_f64 v[8:9], s[28:29], v[8:9]
	v_fma_f64 v[10:11], s[28:29], v[6:7], -v[10:11]
	v_fma_f64 v[6:7], s[30:31], v[6:7], v[8:9]
	v_add_f64 v[0:1], v[0:1], v[10:11]
	v_add_f64 v[2:3], v[2:3], v[6:7]
.LBB252_32:
	global_store_dwordx4 v[4:5], v[0:3], off
	s_endpgm
.LBB252_33:
.LBB252_34:
	s_endpgm
	.section	.rodata,"a",@progbits
	.p2align	6, 0x0
	.amdhsa_kernel _ZL29rocblas_internal_gemmt_kernelIlLi16ELi32ELi8ELc78ELc78ELc85ELb0ELb0E19rocblas_complex_numIdEPKS1_S3_PS1_EviT_T9_T10_S5_lS7_S5_lS6_T11_S5_li
		.amdhsa_group_segment_fixed_size 8192
		.amdhsa_private_segment_fixed_size 0
		.amdhsa_kernarg_size 108
		.amdhsa_user_sgpr_count 6
		.amdhsa_user_sgpr_private_segment_buffer 1
		.amdhsa_user_sgpr_dispatch_ptr 0
		.amdhsa_user_sgpr_queue_ptr 0
		.amdhsa_user_sgpr_kernarg_segment_ptr 1
		.amdhsa_user_sgpr_dispatch_id 0
		.amdhsa_user_sgpr_flat_scratch_init 0
		.amdhsa_user_sgpr_private_segment_size 0
		.amdhsa_wavefront_size32 1
		.amdhsa_uses_dynamic_stack 0
		.amdhsa_system_sgpr_private_segment_wavefront_offset 0
		.amdhsa_system_sgpr_workgroup_id_x 1
		.amdhsa_system_sgpr_workgroup_id_y 1
		.amdhsa_system_sgpr_workgroup_id_z 1
		.amdhsa_system_sgpr_workgroup_info 0
		.amdhsa_system_vgpr_workitem_id 1
		.amdhsa_next_free_vgpr 58
		.amdhsa_next_free_sgpr 48
		.amdhsa_reserve_vcc 1
		.amdhsa_reserve_flat_scratch 0
		.amdhsa_float_round_mode_32 0
		.amdhsa_float_round_mode_16_64 0
		.amdhsa_float_denorm_mode_32 3
		.amdhsa_float_denorm_mode_16_64 3
		.amdhsa_dx10_clamp 1
		.amdhsa_ieee_mode 1
		.amdhsa_fp16_overflow 0
		.amdhsa_workgroup_processor_mode 1
		.amdhsa_memory_ordered 1
		.amdhsa_forward_progress 1
		.amdhsa_shared_vgpr_count 0
		.amdhsa_exception_fp_ieee_invalid_op 0
		.amdhsa_exception_fp_denorm_src 0
		.amdhsa_exception_fp_ieee_div_zero 0
		.amdhsa_exception_fp_ieee_overflow 0
		.amdhsa_exception_fp_ieee_underflow 0
		.amdhsa_exception_fp_ieee_inexact 0
		.amdhsa_exception_int_div_zero 0
	.end_amdhsa_kernel
	.section	.text._ZL29rocblas_internal_gemmt_kernelIlLi16ELi32ELi8ELc78ELc78ELc85ELb0ELb0E19rocblas_complex_numIdEPKS1_S3_PS1_EviT_T9_T10_S5_lS7_S5_lS6_T11_S5_li,"axG",@progbits,_ZL29rocblas_internal_gemmt_kernelIlLi16ELi32ELi8ELc78ELc78ELc85ELb0ELb0E19rocblas_complex_numIdEPKS1_S3_PS1_EviT_T9_T10_S5_lS7_S5_lS6_T11_S5_li,comdat
.Lfunc_end252:
	.size	_ZL29rocblas_internal_gemmt_kernelIlLi16ELi32ELi8ELc78ELc78ELc85ELb0ELb0E19rocblas_complex_numIdEPKS1_S3_PS1_EviT_T9_T10_S5_lS7_S5_lS6_T11_S5_li, .Lfunc_end252-_ZL29rocblas_internal_gemmt_kernelIlLi16ELi32ELi8ELc78ELc78ELc85ELb0ELb0E19rocblas_complex_numIdEPKS1_S3_PS1_EviT_T9_T10_S5_lS7_S5_lS6_T11_S5_li
                                        ; -- End function
	.set _ZL29rocblas_internal_gemmt_kernelIlLi16ELi32ELi8ELc78ELc78ELc85ELb0ELb0E19rocblas_complex_numIdEPKS1_S3_PS1_EviT_T9_T10_S5_lS7_S5_lS6_T11_S5_li.num_vgpr, 58
	.set _ZL29rocblas_internal_gemmt_kernelIlLi16ELi32ELi8ELc78ELc78ELc85ELb0ELb0E19rocblas_complex_numIdEPKS1_S3_PS1_EviT_T9_T10_S5_lS7_S5_lS6_T11_S5_li.num_agpr, 0
	.set _ZL29rocblas_internal_gemmt_kernelIlLi16ELi32ELi8ELc78ELc78ELc85ELb0ELb0E19rocblas_complex_numIdEPKS1_S3_PS1_EviT_T9_T10_S5_lS7_S5_lS6_T11_S5_li.numbered_sgpr, 48
	.set _ZL29rocblas_internal_gemmt_kernelIlLi16ELi32ELi8ELc78ELc78ELc85ELb0ELb0E19rocblas_complex_numIdEPKS1_S3_PS1_EviT_T9_T10_S5_lS7_S5_lS6_T11_S5_li.num_named_barrier, 0
	.set _ZL29rocblas_internal_gemmt_kernelIlLi16ELi32ELi8ELc78ELc78ELc85ELb0ELb0E19rocblas_complex_numIdEPKS1_S3_PS1_EviT_T9_T10_S5_lS7_S5_lS6_T11_S5_li.private_seg_size, 0
	.set _ZL29rocblas_internal_gemmt_kernelIlLi16ELi32ELi8ELc78ELc78ELc85ELb0ELb0E19rocblas_complex_numIdEPKS1_S3_PS1_EviT_T9_T10_S5_lS7_S5_lS6_T11_S5_li.uses_vcc, 1
	.set _ZL29rocblas_internal_gemmt_kernelIlLi16ELi32ELi8ELc78ELc78ELc85ELb0ELb0E19rocblas_complex_numIdEPKS1_S3_PS1_EviT_T9_T10_S5_lS7_S5_lS6_T11_S5_li.uses_flat_scratch, 0
	.set _ZL29rocblas_internal_gemmt_kernelIlLi16ELi32ELi8ELc78ELc78ELc85ELb0ELb0E19rocblas_complex_numIdEPKS1_S3_PS1_EviT_T9_T10_S5_lS7_S5_lS6_T11_S5_li.has_dyn_sized_stack, 0
	.set _ZL29rocblas_internal_gemmt_kernelIlLi16ELi32ELi8ELc78ELc78ELc85ELb0ELb0E19rocblas_complex_numIdEPKS1_S3_PS1_EviT_T9_T10_S5_lS7_S5_lS6_T11_S5_li.has_recursion, 0
	.set _ZL29rocblas_internal_gemmt_kernelIlLi16ELi32ELi8ELc78ELc78ELc85ELb0ELb0E19rocblas_complex_numIdEPKS1_S3_PS1_EviT_T9_T10_S5_lS7_S5_lS6_T11_S5_li.has_indirect_call, 0
	.section	.AMDGPU.csdata,"",@progbits
; Kernel info:
; codeLenInByte = 3660
; TotalNumSgprs: 50
; NumVgprs: 58
; ScratchSize: 0
; MemoryBound: 0
; FloatMode: 240
; IeeeMode: 1
; LDSByteSize: 8192 bytes/workgroup (compile time only)
; SGPRBlocks: 0
; VGPRBlocks: 7
; NumSGPRsForWavesPerEU: 50
; NumVGPRsForWavesPerEU: 58
; Occupancy: 16
; WaveLimiterHint : 0
; COMPUTE_PGM_RSRC2:SCRATCH_EN: 0
; COMPUTE_PGM_RSRC2:USER_SGPR: 6
; COMPUTE_PGM_RSRC2:TRAP_HANDLER: 0
; COMPUTE_PGM_RSRC2:TGID_X_EN: 1
; COMPUTE_PGM_RSRC2:TGID_Y_EN: 1
; COMPUTE_PGM_RSRC2:TGID_Z_EN: 1
; COMPUTE_PGM_RSRC2:TIDIG_COMP_CNT: 1
	.section	.text._ZL29rocblas_internal_gemmt_kernelIlLi16ELi32ELi8ELc78ELc84ELc85ELb0ELb0E19rocblas_complex_numIdEPKS1_S3_PS1_EviT_T9_T10_S5_lS7_S5_lS6_T11_S5_li,"axG",@progbits,_ZL29rocblas_internal_gemmt_kernelIlLi16ELi32ELi8ELc78ELc84ELc85ELb0ELb0E19rocblas_complex_numIdEPKS1_S3_PS1_EviT_T9_T10_S5_lS7_S5_lS6_T11_S5_li,comdat
	.globl	_ZL29rocblas_internal_gemmt_kernelIlLi16ELi32ELi8ELc78ELc84ELc85ELb0ELb0E19rocblas_complex_numIdEPKS1_S3_PS1_EviT_T9_T10_S5_lS7_S5_lS6_T11_S5_li ; -- Begin function _ZL29rocblas_internal_gemmt_kernelIlLi16ELi32ELi8ELc78ELc84ELc85ELb0ELb0E19rocblas_complex_numIdEPKS1_S3_PS1_EviT_T9_T10_S5_lS7_S5_lS6_T11_S5_li
	.p2align	8
	.type	_ZL29rocblas_internal_gemmt_kernelIlLi16ELi32ELi8ELc78ELc84ELc85ELb0ELb0E19rocblas_complex_numIdEPKS1_S3_PS1_EviT_T9_T10_S5_lS7_S5_lS6_T11_S5_li,@function
_ZL29rocblas_internal_gemmt_kernelIlLi16ELi32ELi8ELc78ELc84ELc85ELb0ELb0E19rocblas_complex_numIdEPKS1_S3_PS1_EviT_T9_T10_S5_lS7_S5_lS6_T11_S5_li: ; @_ZL29rocblas_internal_gemmt_kernelIlLi16ELi32ELi8ELc78ELc84ELc85ELb0ELb0E19rocblas_complex_numIdEPKS1_S3_PS1_EviT_T9_T10_S5_lS7_S5_lS6_T11_S5_li
; %bb.0:
	s_load_dwordx8 s[36:43], s[4:5], 0x48
	s_waitcnt lgkmcnt(0)
	s_load_dwordx4 s[28:31], s[36:37], 0x0
	s_load_dwordx16 s[12:27], s[4:5], 0x8
	s_waitcnt lgkmcnt(0)
	v_cmp_eq_f64_e64 s0, s[28:29], 1.0
	v_cmp_eq_f64_e64 s9, s[30:31], 0
	s_load_dwordx4 s[44:47], s[14:15], 0x0
	s_and_b32 s0, s0, s9
	s_andn2_b32 vcc_lo, exec_lo, s0
	s_mov_b32 s0, -1
	s_cbranch_vccnz .LBB253_3
; %bb.1:
	s_cmp_lg_u64 s[12:13], 0
	s_cbranch_scc0 .LBB253_33
; %bb.2:
	s_waitcnt lgkmcnt(0)
	v_cmp_neq_f64_e64 s0, s[44:45], 0
	v_cmp_neq_f64_e64 s1, s[46:47], 0
	s_or_b32 s0, s0, s1
.LBB253_3:
	s_and_b32 vcc_lo, exec_lo, s0
	s_cbranch_vccz .LBB253_34
; %bb.4:
	s_waitcnt lgkmcnt(0)
	v_cmp_eq_f64_e64 s0, s[44:45], 0
	v_cmp_eq_f64_e64 s1, s[46:47], 0
	s_load_dword s4, s[4:5], 0x0
	v_cmp_lt_i64_e64 s2, s[12:13], 1
	v_mov_b32_e32 v20, 0
	v_mov_b32_e32 v22, 0
	;; [unrolled: 1-line block ×16, first 2 shown]
	s_lshl_b32 s5, s6, 5
	s_lshl_b32 s6, s7, 5
	s_and_b32 s0, s0, s1
	s_or_b32 s0, s0, s2
	s_and_b32 vcc_lo, exec_lo, s0
	s_cbranch_vccnz .LBB253_17
; %bb.5:
	v_lshl_add_u32 v2, v1, 4, v0
	s_mul_i32 s0, s27, s8
	s_mul_hi_u32 s1, s26, s8
	v_and_b32_e32 v24, 7, v0
	s_add_i32 s1, s1, s0
	v_and_b32_e32 v5, 31, v2
	v_lshrrev_b32_e32 v8, 3, v2
	v_lshrrev_b32_e32 v25, 5, v2
	s_mul_i32 s0, s26, s8
	s_mul_hi_u32 s3, s20, s8
	v_or_b32_e32 v2, s5, v5
	v_add_nc_u32_e32 v4, s6, v8
	s_lshl_b64 s[0:1], s[0:1], 4
	v_lshlrev_b32_e32 v9, 4, v5
	s_add_u32 s2, s22, s0
	v_ashrrev_i32_e32 v3, 31, v2
	s_mul_i32 s0, s21, s8
	v_ashrrev_i32_e32 v5, 31, v4
	s_addc_u32 s10, s23, s1
	s_add_i32 s1, s3, s0
	s_mul_i32 s0, s20, s8
	v_lshlrev_b32_e32 v10, 4, v24
	s_lshl_b64 s[0:1], s[0:1], 4
	v_lshlrev_b64 v[6:7], 4, v[2:3]
	s_add_u32 s3, s16, s0
	s_waitcnt lgkmcnt(0)
	v_cmp_gt_i32_e64 s0, s4, v2
	v_cmp_le_i32_e64 s7, s4, v2
	v_lshlrev_b64 v[2:3], 4, v[4:5]
	v_lshl_or_b32 v8, v8, 7, v10
	s_addc_u32 s1, s17, s1
	v_add_co_u32 v27, vcc_lo, s3, v6
	v_add_co_ci_u32_e64 v28, null, s1, v7, vcc_lo
	v_cmp_gt_i32_e32 vcc_lo, s4, v4
	v_add_co_u32 v30, s1, s2, v2
	v_lshl_or_b32 v26, v25, 9, v9
	v_add_nc_u32_e32 v29, 0x1000, v8
	v_mov_b32_e32 v8, 0
	v_mov_b32_e32 v10, 0
	;; [unrolled: 1-line block ×8, first 2 shown]
	v_add_co_ci_u32_e64 v31, null, s10, v3, s1
	v_lshlrev_b32_e32 v32, 4, v0
	v_lshl_add_u32 v33, v1, 7, 0x1000
	v_mov_b32_e32 v9, 0
	v_mov_b32_e32 v11, 0
	;; [unrolled: 1-line block ×9, first 2 shown]
	s_mov_b64 s[2:3], 0
	s_xor_b32 s1, vcc_lo, -1
                                        ; implicit-def: $vgpr6_vgpr7
	s_branch .LBB253_7
.LBB253_6:                              ;   in Loop: Header=BB253_7 Depth=1
	s_or_b32 exec_lo, exec_lo, s10
	s_waitcnt lgkmcnt(0)
	s_barrier
	buffer_gl0_inv
	ds_read_b128 v[34:37], v33
	ds_read_b128 v[38:41], v33 offset:16
	ds_read_b128 v[42:45], v33 offset:32
	;; [unrolled: 1-line block ×3, first 2 shown]
	ds_read_b128 v[50:53], v32
	s_add_u32 s2, s2, 8
	s_addc_u32 s3, s3, 0
	v_cmp_gt_i64_e64 s10, s[12:13], s[2:3]
	s_and_b32 vcc_lo, exec_lo, s10
	s_waitcnt lgkmcnt(0)
	v_mul_f64 v[4:5], v[36:37], v[52:53]
	v_mul_f64 v[54:55], v[34:35], v[52:53]
	v_fma_f64 v[4:5], v[34:35], v[50:51], -v[4:5]
	v_fma_f64 v[54:55], v[36:37], v[50:51], v[54:55]
	v_add_f64 v[4:5], v[20:21], v[4:5]
	v_add_f64 v[54:55], v[54:55], v[22:23]
	ds_read_b128 v[20:23], v32 offset:256
	s_waitcnt lgkmcnt(0)
	v_mul_f64 v[56:57], v[36:37], v[22:23]
	v_fma_f64 v[56:57], v[34:35], v[20:21], -v[56:57]
	v_mul_f64 v[34:35], v[34:35], v[22:23]
	v_fma_f64 v[34:35], v[36:37], v[20:21], v[34:35]
	v_add_f64 v[36:37], v[16:17], v[56:57]
	v_add_f64 v[34:35], v[34:35], v[18:19]
	ds_read_b128 v[16:19], v33 offset:2048
	s_waitcnt lgkmcnt(0)
	v_mul_f64 v[56:57], v[18:19], v[52:53]
	v_mul_f64 v[52:53], v[16:17], v[52:53]
	v_fma_f64 v[56:57], v[16:17], v[50:51], -v[56:57]
	v_fma_f64 v[50:51], v[18:19], v[50:51], v[52:53]
	v_add_f64 v[52:53], v[12:13], v[56:57]
	v_add_f64 v[50:51], v[50:51], v[14:15]
	v_mul_f64 v[12:13], v[18:19], v[22:23]
	v_mul_f64 v[14:15], v[16:17], v[22:23]
	v_fma_f64 v[12:13], v[16:17], v[20:21], -v[12:13]
	v_fma_f64 v[14:15], v[18:19], v[20:21], v[14:15]
	v_add_f64 v[20:21], v[10:11], v[12:13]
	v_add_f64 v[22:23], v[14:15], v[8:9]
	ds_read_b128 v[8:11], v32 offset:512
	s_waitcnt lgkmcnt(0)
	v_mul_f64 v[12:13], v[40:41], v[10:11]
	v_mul_f64 v[14:15], v[38:39], v[10:11]
	v_fma_f64 v[12:13], v[38:39], v[8:9], -v[12:13]
	v_fma_f64 v[14:15], v[40:41], v[8:9], v[14:15]
	v_add_f64 v[4:5], v[4:5], v[12:13]
	v_add_f64 v[54:55], v[14:15], v[54:55]
	ds_read_b128 v[12:15], v32 offset:768
	s_waitcnt lgkmcnt(0)
	v_mul_f64 v[16:17], v[40:41], v[14:15]
	v_mul_f64 v[18:19], v[38:39], v[14:15]
	v_fma_f64 v[16:17], v[38:39], v[12:13], -v[16:17]
	v_fma_f64 v[18:19], v[40:41], v[12:13], v[18:19]
	v_add_f64 v[36:37], v[36:37], v[16:17]
	v_add_f64 v[34:35], v[18:19], v[34:35]
	ds_read_b128 v[16:19], v33 offset:2064
	s_waitcnt lgkmcnt(0)
	v_mul_f64 v[38:39], v[18:19], v[10:11]
	v_mul_f64 v[10:11], v[16:17], v[10:11]
	v_fma_f64 v[38:39], v[16:17], v[8:9], -v[38:39]
	v_fma_f64 v[8:9], v[18:19], v[8:9], v[10:11]
	v_mul_f64 v[10:11], v[16:17], v[14:15]
	v_add_f64 v[38:39], v[52:53], v[38:39]
	v_add_f64 v[40:41], v[8:9], v[50:51]
	v_mul_f64 v[8:9], v[18:19], v[14:15]
	v_fma_f64 v[10:11], v[18:19], v[12:13], v[10:11]
	v_fma_f64 v[8:9], v[16:17], v[12:13], -v[8:9]
	v_add_f64 v[22:23], v[10:11], v[22:23]
	v_add_f64 v[20:21], v[20:21], v[8:9]
	ds_read_b128 v[8:11], v32 offset:1024
	s_waitcnt lgkmcnt(0)
	v_mul_f64 v[12:13], v[44:45], v[10:11]
	v_mul_f64 v[14:15], v[42:43], v[10:11]
	v_fma_f64 v[12:13], v[42:43], v[8:9], -v[12:13]
	v_fma_f64 v[14:15], v[44:45], v[8:9], v[14:15]
	v_add_f64 v[4:5], v[4:5], v[12:13]
	v_add_f64 v[50:51], v[14:15], v[54:55]
	ds_read_b128 v[12:15], v32 offset:1280
	s_waitcnt lgkmcnt(0)
	v_mul_f64 v[16:17], v[44:45], v[14:15]
	v_mul_f64 v[18:19], v[42:43], v[14:15]
	v_fma_f64 v[16:17], v[42:43], v[12:13], -v[16:17]
	v_fma_f64 v[18:19], v[44:45], v[12:13], v[18:19]
	;; [unrolled: 8-line block ×3, first 2 shown]
	v_mul_f64 v[10:11], v[16:17], v[14:15]
	v_add_f64 v[38:39], v[38:39], v[42:43]
	v_add_f64 v[40:41], v[8:9], v[40:41]
	v_mul_f64 v[8:9], v[18:19], v[14:15]
	v_fma_f64 v[10:11], v[18:19], v[12:13], v[10:11]
	v_fma_f64 v[8:9], v[16:17], v[12:13], -v[8:9]
	v_add_f64 v[22:23], v[10:11], v[22:23]
	v_add_f64 v[20:21], v[20:21], v[8:9]
	ds_read_b128 v[8:11], v32 offset:1536
	s_waitcnt lgkmcnt(0)
	v_mul_f64 v[12:13], v[48:49], v[10:11]
	v_mul_f64 v[14:15], v[46:47], v[10:11]
	v_fma_f64 v[12:13], v[46:47], v[8:9], -v[12:13]
	v_fma_f64 v[14:15], v[48:49], v[8:9], v[14:15]
	v_add_f64 v[4:5], v[4:5], v[12:13]
	v_add_f64 v[42:43], v[14:15], v[50:51]
	ds_read_b128 v[12:15], v32 offset:1792
	s_waitcnt lgkmcnt(0)
	v_mul_f64 v[16:17], v[48:49], v[14:15]
	v_mul_f64 v[18:19], v[46:47], v[14:15]
	v_fma_f64 v[16:17], v[46:47], v[12:13], -v[16:17]
	v_fma_f64 v[18:19], v[48:49], v[12:13], v[18:19]
	;; [unrolled: 8-line block ×3, first 2 shown]
	v_mul_f64 v[10:11], v[16:17], v[14:15]
	v_add_f64 v[38:39], v[38:39], v[44:45]
	v_add_f64 v[40:41], v[8:9], v[40:41]
	v_mul_f64 v[8:9], v[18:19], v[14:15]
	v_fma_f64 v[10:11], v[18:19], v[12:13], v[10:11]
	v_fma_f64 v[8:9], v[16:17], v[12:13], -v[8:9]
	v_add_f64 v[22:23], v[10:11], v[22:23]
	v_add_f64 v[20:21], v[20:21], v[8:9]
	ds_read_b128 v[8:11], v33 offset:64
	ds_read_b128 v[12:15], v32 offset:2048
	s_waitcnt lgkmcnt(0)
	v_mul_f64 v[16:17], v[10:11], v[14:15]
	v_mul_f64 v[18:19], v[8:9], v[14:15]
	v_fma_f64 v[16:17], v[8:9], v[12:13], -v[16:17]
	v_fma_f64 v[18:19], v[10:11], v[12:13], v[18:19]
	v_add_f64 v[4:5], v[4:5], v[16:17]
	v_add_f64 v[42:43], v[18:19], v[42:43]
	ds_read_b128 v[16:19], v32 offset:2304
	s_waitcnt lgkmcnt(0)
	v_mul_f64 v[44:45], v[10:11], v[18:19]
	v_fma_f64 v[44:45], v[8:9], v[16:17], -v[44:45]
	v_mul_f64 v[8:9], v[8:9], v[18:19]
	v_add_f64 v[36:37], v[36:37], v[44:45]
	v_fma_f64 v[8:9], v[10:11], v[16:17], v[8:9]
	v_add_f64 v[34:35], v[8:9], v[34:35]
	ds_read_b128 v[8:11], v33 offset:2112
	s_waitcnt lgkmcnt(0)
	v_mul_f64 v[44:45], v[10:11], v[14:15]
	v_mul_f64 v[14:15], v[8:9], v[14:15]
	v_fma_f64 v[44:45], v[8:9], v[12:13], -v[44:45]
	v_fma_f64 v[12:13], v[10:11], v[12:13], v[14:15]
	v_add_f64 v[38:39], v[38:39], v[44:45]
	v_add_f64 v[40:41], v[12:13], v[40:41]
	v_mul_f64 v[12:13], v[10:11], v[18:19]
	v_fma_f64 v[12:13], v[8:9], v[16:17], -v[12:13]
	v_mul_f64 v[8:9], v[8:9], v[18:19]
	v_add_f64 v[20:21], v[20:21], v[12:13]
	v_fma_f64 v[8:9], v[10:11], v[16:17], v[8:9]
	v_add_f64 v[22:23], v[8:9], v[22:23]
	ds_read_b128 v[8:11], v33 offset:80
	ds_read_b128 v[12:15], v32 offset:2560
	s_waitcnt lgkmcnt(0)
	v_mul_f64 v[16:17], v[10:11], v[14:15]
	v_mul_f64 v[18:19], v[8:9], v[14:15]
	v_fma_f64 v[16:17], v[8:9], v[12:13], -v[16:17]
	v_fma_f64 v[18:19], v[10:11], v[12:13], v[18:19]
	v_add_f64 v[4:5], v[4:5], v[16:17]
	v_add_f64 v[42:43], v[18:19], v[42:43]
	ds_read_b128 v[16:19], v32 offset:2816
	s_waitcnt lgkmcnt(0)
	v_mul_f64 v[44:45], v[10:11], v[18:19]
	v_fma_f64 v[44:45], v[8:9], v[16:17], -v[44:45]
	v_mul_f64 v[8:9], v[8:9], v[18:19]
	v_add_f64 v[36:37], v[36:37], v[44:45]
	v_fma_f64 v[8:9], v[10:11], v[16:17], v[8:9]
	v_add_f64 v[34:35], v[8:9], v[34:35]
	ds_read_b128 v[8:11], v33 offset:2128
	s_waitcnt lgkmcnt(0)
	v_mul_f64 v[44:45], v[10:11], v[14:15]
	v_mul_f64 v[14:15], v[8:9], v[14:15]
	v_fma_f64 v[44:45], v[8:9], v[12:13], -v[44:45]
	v_fma_f64 v[12:13], v[10:11], v[12:13], v[14:15]
	v_add_f64 v[38:39], v[38:39], v[44:45]
	v_add_f64 v[40:41], v[12:13], v[40:41]
	v_mul_f64 v[12:13], v[10:11], v[18:19]
	v_fma_f64 v[12:13], v[8:9], v[16:17], -v[12:13]
	v_mul_f64 v[8:9], v[8:9], v[18:19]
	v_add_f64 v[20:21], v[20:21], v[12:13]
	v_fma_f64 v[8:9], v[10:11], v[16:17], v[8:9]
	;; [unrolled: 31-line block ×3, first 2 shown]
	v_add_f64 v[50:51], v[8:9], v[22:23]
	ds_read_b128 v[8:11], v33 offset:112
	ds_read_b128 v[12:15], v32 offset:3584
	;; [unrolled: 1-line block ×3, first 2 shown]
	s_waitcnt lgkmcnt(1)
	v_mul_f64 v[16:17], v[10:11], v[14:15]
	v_mul_f64 v[18:19], v[8:9], v[14:15]
	v_fma_f64 v[16:17], v[8:9], v[12:13], -v[16:17]
	v_fma_f64 v[18:19], v[10:11], v[12:13], v[18:19]
	v_add_f64 v[20:21], v[4:5], v[16:17]
	s_waitcnt lgkmcnt(0)
	v_mul_f64 v[4:5], v[10:11], v[36:37]
	v_add_f64 v[22:23], v[18:19], v[42:43]
	v_fma_f64 v[4:5], v[8:9], v[34:35], -v[4:5]
	v_mul_f64 v[8:9], v[8:9], v[36:37]
	v_add_f64 v[16:17], v[44:45], v[4:5]
	v_fma_f64 v[8:9], v[10:11], v[34:35], v[8:9]
	v_add_f64 v[18:19], v[8:9], v[46:47]
	ds_read_b128 v[8:11], v33 offset:2160
	s_waitcnt lgkmcnt(0)
	s_barrier
	buffer_gl0_inv
	v_mul_f64 v[4:5], v[10:11], v[14:15]
	v_mul_f64 v[14:15], v[8:9], v[14:15]
	v_fma_f64 v[4:5], v[8:9], v[12:13], -v[4:5]
	v_fma_f64 v[14:15], v[10:11], v[12:13], v[14:15]
	v_add_f64 v[12:13], v[38:39], v[4:5]
	v_mul_f64 v[4:5], v[10:11], v[36:37]
	v_add_f64 v[14:15], v[14:15], v[40:41]
	v_fma_f64 v[4:5], v[8:9], v[34:35], -v[4:5]
	v_mul_f64 v[8:9], v[8:9], v[36:37]
	v_fma_f64 v[8:9], v[10:11], v[34:35], v[8:9]
	v_add_f64 v[10:11], v[48:49], v[4:5]
	v_add_f64 v[8:9], v[8:9], v[50:51]
	s_cbranch_vccz .LBB253_17
.LBB253_7:                              ; =>This Inner Loop Header: Depth=1
	s_mov_b32 s14, s7
	s_mov_b32 s10, 0
	s_and_saveexec_b32 s11, s0
	s_cbranch_execnz .LBB253_15
; %bb.8:                                ;   in Loop: Header=BB253_7 Depth=1
	s_or_b32 exec_lo, exec_lo, s11
	s_and_saveexec_b32 s11, s14
	s_xor_b32 s11, exec_lo, s11
	s_cbranch_execnz .LBB253_16
.LBB253_9:                              ;   in Loop: Header=BB253_7 Depth=1
	s_or_b32 exec_lo, exec_lo, s11
	s_and_saveexec_b32 s11, s10
	s_cbranch_execz .LBB253_11
.LBB253_10:                             ;   in Loop: Header=BB253_7 Depth=1
	v_mul_lo_u32 v2, s19, v6
	v_mul_lo_u32 v34, s18, v7
	v_mad_u64_u32 v[4:5], null, s18, v6, 0
	v_add3_u32 v5, v5, v34, v2
	v_lshlrev_b64 v[4:5], 4, v[4:5]
	v_add_co_u32 v4, vcc_lo, v27, v4
	v_add_co_ci_u32_e64 v5, null, v28, v5, vcc_lo
	global_load_dwordx4 v[34:37], v[4:5], off
	s_waitcnt vmcnt(0)
	ds_write2_b64 v26, v[34:35], v[36:37] offset1:1
.LBB253_11:                             ;   in Loop: Header=BB253_7 Depth=1
	s_or_b32 exec_lo, exec_lo, s11
	v_add_nc_u32_e32 v2, s2, v24
	v_cmp_le_u64_e32 vcc_lo, s[12:13], v[2:3]
	s_or_b32 s10, vcc_lo, s1
	s_and_saveexec_b32 s11, s10
	s_xor_b32 s10, exec_lo, s11
	s_cbranch_execz .LBB253_13
; %bb.12:                               ;   in Loop: Header=BB253_7 Depth=1
	v_mov_b32_e32 v2, v3
	v_mov_b32_e32 v4, v3
	;; [unrolled: 1-line block ×3, first 2 shown]
	ds_write_b128 v29, v[2:5]
.LBB253_13:                             ;   in Loop: Header=BB253_7 Depth=1
	s_andn2_saveexec_b32 s10, s10
	s_cbranch_execz .LBB253_6
; %bb.14:                               ;   in Loop: Header=BB253_7 Depth=1
	v_mad_u64_u32 v[4:5], null, s24, v2, 0
	v_mad_u64_u32 v[34:35], null, s25, v2, v[5:6]
	v_mov_b32_e32 v5, v34
	v_lshlrev_b64 v[4:5], 4, v[4:5]
	v_add_co_u32 v4, vcc_lo, v30, v4
	v_add_co_ci_u32_e64 v5, null, v31, v5, vcc_lo
	global_load_dwordx4 v[34:37], v[4:5], off
	s_waitcnt vmcnt(0)
	ds_write2_b64 v29, v[34:35], v[36:37] offset1:1
	s_branch .LBB253_6
.LBB253_15:                             ;   in Loop: Header=BB253_7 Depth=1
	v_add_nc_u32_e32 v2, s2, v25
	v_mov_b32_e32 v7, v3
	s_andn2_b32 s14, s7, exec_lo
	s_mov_b32 s10, exec_lo
	v_cmp_le_u64_e32 vcc_lo, s[12:13], v[2:3]
	v_mov_b32_e32 v6, v2
	s_and_b32 s15, vcc_lo, exec_lo
	s_or_b32 s14, s14, s15
	s_or_b32 exec_lo, exec_lo, s11
	s_and_saveexec_b32 s11, s14
	s_xor_b32 s11, exec_lo, s11
	s_cbranch_execz .LBB253_9
.LBB253_16:                             ;   in Loop: Header=BB253_7 Depth=1
	v_mov_b32_e32 v2, v3
	v_mov_b32_e32 v4, v3
	;; [unrolled: 1-line block ×3, first 2 shown]
	s_andn2_b32 s10, s10, exec_lo
	ds_write_b128 v26, v[2:5]
	s_or_b32 exec_lo, exec_lo, s11
	s_and_saveexec_b32 s11, s10
	s_cbranch_execnz .LBB253_10
	s_branch .LBB253_11
.LBB253_17:
	v_add_nc_u32_e32 v25, s6, v1
	v_cmp_neq_f64_e64 s6, s[28:29], 0
	s_mul_i32 s1, s43, s8
	s_mul_hi_u32 s2, s42, s8
	s_mul_i32 s0, s42, s8
	v_ashrrev_i32_e32 v3, 31, v25
	v_mul_lo_u32 v5, s41, v25
	v_mad_u64_u32 v[1:2], null, s40, v25, 0
	s_add_i32 s1, s2, s1
	v_mul_lo_u32 v3, s40, v3
	v_add_nc_u32_e32 v4, s5, v0
	s_lshl_b64 s[2:3], s[0:1], 4
	s_waitcnt lgkmcnt(0)
	v_cmp_gt_i32_e64 s0, s4, v25
	s_add_u32 s2, s38, s2
	s_addc_u32 s3, s39, s3
	s_xor_b32 s5, s9, -1
	v_cmp_le_i32_e32 vcc_lo, v4, v25
	v_add3_u32 v2, v2, v3, v5
	v_ashrrev_i32_e32 v5, 31, v4
	s_or_b32 s5, s6, s5
	v_lshlrev_b64 v[0:1], 4, v[1:2]
	v_cndmask_b32_e64 v24, 0, 1, s5
	s_and_b32 s6, s0, vcc_lo
	v_add_co_u32 v26, s1, s2, v0
	v_add_co_ci_u32_e64 v27, null, s3, v1, s1
	s_and_saveexec_b32 s1, s6
	s_cbranch_execz .LBB253_21
; %bb.18:
	v_mul_f64 v[0:1], s[46:47], v[22:23]
	v_mul_f64 v[2:3], s[44:45], v[22:23]
	v_lshlrev_b64 v[6:7], 4, v[4:5]
	v_add_co_u32 v6, vcc_lo, v26, v6
	v_add_co_ci_u32_e64 v7, null, v27, v7, vcc_lo
	s_andn2_b32 vcc_lo, exec_lo, s5
	v_fma_f64 v[0:1], s[44:45], v[20:21], -v[0:1]
	v_fma_f64 v[2:3], s[46:47], v[20:21], v[2:3]
	s_cbranch_vccnz .LBB253_20
; %bb.19:
	global_load_dwordx4 v[20:23], v[6:7], off
	s_waitcnt vmcnt(0)
	v_mul_f64 v[28:29], s[30:31], v[22:23]
	v_mul_f64 v[22:23], s[28:29], v[22:23]
	v_fma_f64 v[28:29], s[28:29], v[20:21], -v[28:29]
	v_fma_f64 v[20:21], s[30:31], v[20:21], v[22:23]
	v_add_f64 v[0:1], v[0:1], v[28:29]
	v_add_f64 v[2:3], v[2:3], v[20:21]
.LBB253_20:
	global_store_dwordx4 v[6:7], v[0:3], off
.LBB253_21:
	s_or_b32 exec_lo, exec_lo, s1
	v_add_nc_u32_e32 v6, 16, v4
	v_cmp_le_i32_e32 vcc_lo, v6, v25
	v_ashrrev_i32_e32 v7, 31, v6
	s_and_b32 s0, s0, vcc_lo
	s_and_saveexec_b32 s1, s0
	s_cbranch_execz .LBB253_25
; %bb.22:
	v_mul_f64 v[0:1], s[46:47], v[18:19]
	v_mul_f64 v[2:3], s[44:45], v[18:19]
	v_cmp_ne_u32_e32 vcc_lo, 1, v24
	s_and_b32 vcc_lo, exec_lo, vcc_lo
	v_fma_f64 v[0:1], s[44:45], v[16:17], -v[0:1]
	v_fma_f64 v[2:3], s[46:47], v[16:17], v[2:3]
	v_lshlrev_b64 v[16:17], 4, v[6:7]
	v_add_co_u32 v16, s0, v26, v16
	v_add_co_ci_u32_e64 v17, null, v27, v17, s0
	s_cbranch_vccnz .LBB253_24
; %bb.23:
	global_load_dwordx4 v[18:21], v[16:17], off
	s_waitcnt vmcnt(0)
	v_mul_f64 v[22:23], s[30:31], v[20:21]
	v_mul_f64 v[20:21], s[28:29], v[20:21]
	v_fma_f64 v[22:23], s[28:29], v[18:19], -v[22:23]
	v_fma_f64 v[18:19], s[30:31], v[18:19], v[20:21]
	v_add_f64 v[0:1], v[0:1], v[22:23]
	v_add_f64 v[2:3], v[2:3], v[18:19]
.LBB253_24:
	global_store_dwordx4 v[16:17], v[0:3], off
.LBB253_25:
	s_or_b32 exec_lo, exec_lo, s1
	v_add_nc_u32_e32 v18, 16, v25
	v_ashrrev_i32_e32 v2, 31, v18
	v_mul_lo_u32 v3, s41, v18
	v_mad_u64_u32 v[0:1], null, s40, v18, 0
	v_cmp_gt_i32_e64 s0, s4, v18
	v_mul_lo_u32 v2, s40, v2
	v_cmp_le_i32_e32 vcc_lo, v4, v18
	v_add3_u32 v1, v1, v2, v3
	v_lshlrev_b64 v[0:1], 4, v[0:1]
	v_add_co_u32 v16, s1, s2, v0
	v_add_co_ci_u32_e64 v17, null, s3, v1, s1
	s_and_b32 s1, s0, vcc_lo
	s_and_saveexec_b32 s2, s1
	s_cbranch_execz .LBB253_29
; %bb.26:
	v_mul_f64 v[0:1], s[46:47], v[14:15]
	v_mul_f64 v[2:3], s[44:45], v[14:15]
	v_lshlrev_b64 v[4:5], 4, v[4:5]
	v_cmp_ne_u32_e32 vcc_lo, 1, v24
	s_and_b32 vcc_lo, exec_lo, vcc_lo
	v_add_co_u32 v4, s1, v16, v4
	v_add_co_ci_u32_e64 v5, null, v17, v5, s1
	v_fma_f64 v[0:1], s[44:45], v[12:13], -v[0:1]
	v_fma_f64 v[2:3], s[46:47], v[12:13], v[2:3]
	s_cbranch_vccnz .LBB253_28
; %bb.27:
	global_load_dwordx4 v[12:15], v[4:5], off
	s_waitcnt vmcnt(0)
	v_mul_f64 v[19:20], s[30:31], v[14:15]
	v_mul_f64 v[14:15], s[28:29], v[14:15]
	v_fma_f64 v[19:20], s[28:29], v[12:13], -v[19:20]
	v_fma_f64 v[12:13], s[30:31], v[12:13], v[14:15]
	v_add_f64 v[0:1], v[0:1], v[19:20]
	v_add_f64 v[2:3], v[2:3], v[12:13]
.LBB253_28:
	global_store_dwordx4 v[4:5], v[0:3], off
.LBB253_29:
	s_or_b32 exec_lo, exec_lo, s2
	v_cmp_le_i32_e32 vcc_lo, v6, v18
	s_and_b32 s0, s0, vcc_lo
	s_and_saveexec_b32 s1, s0
	s_cbranch_execz .LBB253_34
; %bb.30:
	v_mul_f64 v[0:1], s[46:47], v[8:9]
	v_mul_f64 v[2:3], s[44:45], v[8:9]
	v_lshlrev_b64 v[4:5], 4, v[6:7]
	v_cmp_ne_u32_e32 vcc_lo, 1, v24
	s_and_b32 vcc_lo, exec_lo, vcc_lo
	v_add_co_u32 v4, s0, v16, v4
	v_add_co_ci_u32_e64 v5, null, v17, v5, s0
	v_fma_f64 v[0:1], s[44:45], v[10:11], -v[0:1]
	v_fma_f64 v[2:3], s[46:47], v[10:11], v[2:3]
	s_cbranch_vccnz .LBB253_32
; %bb.31:
	global_load_dwordx4 v[6:9], v[4:5], off
	s_waitcnt vmcnt(0)
	v_mul_f64 v[10:11], s[30:31], v[8:9]
	v_mul_f64 v[8:9], s[28:29], v[8:9]
	v_fma_f64 v[10:11], s[28:29], v[6:7], -v[10:11]
	v_fma_f64 v[6:7], s[30:31], v[6:7], v[8:9]
	v_add_f64 v[0:1], v[0:1], v[10:11]
	v_add_f64 v[2:3], v[2:3], v[6:7]
.LBB253_32:
	global_store_dwordx4 v[4:5], v[0:3], off
	s_endpgm
.LBB253_33:
.LBB253_34:
	s_endpgm
	.section	.rodata,"a",@progbits
	.p2align	6, 0x0
	.amdhsa_kernel _ZL29rocblas_internal_gemmt_kernelIlLi16ELi32ELi8ELc78ELc84ELc85ELb0ELb0E19rocblas_complex_numIdEPKS1_S3_PS1_EviT_T9_T10_S5_lS7_S5_lS6_T11_S5_li
		.amdhsa_group_segment_fixed_size 8192
		.amdhsa_private_segment_fixed_size 0
		.amdhsa_kernarg_size 108
		.amdhsa_user_sgpr_count 6
		.amdhsa_user_sgpr_private_segment_buffer 1
		.amdhsa_user_sgpr_dispatch_ptr 0
		.amdhsa_user_sgpr_queue_ptr 0
		.amdhsa_user_sgpr_kernarg_segment_ptr 1
		.amdhsa_user_sgpr_dispatch_id 0
		.amdhsa_user_sgpr_flat_scratch_init 0
		.amdhsa_user_sgpr_private_segment_size 0
		.amdhsa_wavefront_size32 1
		.amdhsa_uses_dynamic_stack 0
		.amdhsa_system_sgpr_private_segment_wavefront_offset 0
		.amdhsa_system_sgpr_workgroup_id_x 1
		.amdhsa_system_sgpr_workgroup_id_y 1
		.amdhsa_system_sgpr_workgroup_id_z 1
		.amdhsa_system_sgpr_workgroup_info 0
		.amdhsa_system_vgpr_workitem_id 1
		.amdhsa_next_free_vgpr 58
		.amdhsa_next_free_sgpr 48
		.amdhsa_reserve_vcc 1
		.amdhsa_reserve_flat_scratch 0
		.amdhsa_float_round_mode_32 0
		.amdhsa_float_round_mode_16_64 0
		.amdhsa_float_denorm_mode_32 3
		.amdhsa_float_denorm_mode_16_64 3
		.amdhsa_dx10_clamp 1
		.amdhsa_ieee_mode 1
		.amdhsa_fp16_overflow 0
		.amdhsa_workgroup_processor_mode 1
		.amdhsa_memory_ordered 1
		.amdhsa_forward_progress 1
		.amdhsa_shared_vgpr_count 0
		.amdhsa_exception_fp_ieee_invalid_op 0
		.amdhsa_exception_fp_denorm_src 0
		.amdhsa_exception_fp_ieee_div_zero 0
		.amdhsa_exception_fp_ieee_overflow 0
		.amdhsa_exception_fp_ieee_underflow 0
		.amdhsa_exception_fp_ieee_inexact 0
		.amdhsa_exception_int_div_zero 0
	.end_amdhsa_kernel
	.section	.text._ZL29rocblas_internal_gemmt_kernelIlLi16ELi32ELi8ELc78ELc84ELc85ELb0ELb0E19rocblas_complex_numIdEPKS1_S3_PS1_EviT_T9_T10_S5_lS7_S5_lS6_T11_S5_li,"axG",@progbits,_ZL29rocblas_internal_gemmt_kernelIlLi16ELi32ELi8ELc78ELc84ELc85ELb0ELb0E19rocblas_complex_numIdEPKS1_S3_PS1_EviT_T9_T10_S5_lS7_S5_lS6_T11_S5_li,comdat
.Lfunc_end253:
	.size	_ZL29rocblas_internal_gemmt_kernelIlLi16ELi32ELi8ELc78ELc84ELc85ELb0ELb0E19rocblas_complex_numIdEPKS1_S3_PS1_EviT_T9_T10_S5_lS7_S5_lS6_T11_S5_li, .Lfunc_end253-_ZL29rocblas_internal_gemmt_kernelIlLi16ELi32ELi8ELc78ELc84ELc85ELb0ELb0E19rocblas_complex_numIdEPKS1_S3_PS1_EviT_T9_T10_S5_lS7_S5_lS6_T11_S5_li
                                        ; -- End function
	.set _ZL29rocblas_internal_gemmt_kernelIlLi16ELi32ELi8ELc78ELc84ELc85ELb0ELb0E19rocblas_complex_numIdEPKS1_S3_PS1_EviT_T9_T10_S5_lS7_S5_lS6_T11_S5_li.num_vgpr, 58
	.set _ZL29rocblas_internal_gemmt_kernelIlLi16ELi32ELi8ELc78ELc84ELc85ELb0ELb0E19rocblas_complex_numIdEPKS1_S3_PS1_EviT_T9_T10_S5_lS7_S5_lS6_T11_S5_li.num_agpr, 0
	.set _ZL29rocblas_internal_gemmt_kernelIlLi16ELi32ELi8ELc78ELc84ELc85ELb0ELb0E19rocblas_complex_numIdEPKS1_S3_PS1_EviT_T9_T10_S5_lS7_S5_lS6_T11_S5_li.numbered_sgpr, 48
	.set _ZL29rocblas_internal_gemmt_kernelIlLi16ELi32ELi8ELc78ELc84ELc85ELb0ELb0E19rocblas_complex_numIdEPKS1_S3_PS1_EviT_T9_T10_S5_lS7_S5_lS6_T11_S5_li.num_named_barrier, 0
	.set _ZL29rocblas_internal_gemmt_kernelIlLi16ELi32ELi8ELc78ELc84ELc85ELb0ELb0E19rocblas_complex_numIdEPKS1_S3_PS1_EviT_T9_T10_S5_lS7_S5_lS6_T11_S5_li.private_seg_size, 0
	.set _ZL29rocblas_internal_gemmt_kernelIlLi16ELi32ELi8ELc78ELc84ELc85ELb0ELb0E19rocblas_complex_numIdEPKS1_S3_PS1_EviT_T9_T10_S5_lS7_S5_lS6_T11_S5_li.uses_vcc, 1
	.set _ZL29rocblas_internal_gemmt_kernelIlLi16ELi32ELi8ELc78ELc84ELc85ELb0ELb0E19rocblas_complex_numIdEPKS1_S3_PS1_EviT_T9_T10_S5_lS7_S5_lS6_T11_S5_li.uses_flat_scratch, 0
	.set _ZL29rocblas_internal_gemmt_kernelIlLi16ELi32ELi8ELc78ELc84ELc85ELb0ELb0E19rocblas_complex_numIdEPKS1_S3_PS1_EviT_T9_T10_S5_lS7_S5_lS6_T11_S5_li.has_dyn_sized_stack, 0
	.set _ZL29rocblas_internal_gemmt_kernelIlLi16ELi32ELi8ELc78ELc84ELc85ELb0ELb0E19rocblas_complex_numIdEPKS1_S3_PS1_EviT_T9_T10_S5_lS7_S5_lS6_T11_S5_li.has_recursion, 0
	.set _ZL29rocblas_internal_gemmt_kernelIlLi16ELi32ELi8ELc78ELc84ELc85ELb0ELb0E19rocblas_complex_numIdEPKS1_S3_PS1_EviT_T9_T10_S5_lS7_S5_lS6_T11_S5_li.has_indirect_call, 0
	.section	.AMDGPU.csdata,"",@progbits
; Kernel info:
; codeLenInByte = 3648
; TotalNumSgprs: 50
; NumVgprs: 58
; ScratchSize: 0
; MemoryBound: 0
; FloatMode: 240
; IeeeMode: 1
; LDSByteSize: 8192 bytes/workgroup (compile time only)
; SGPRBlocks: 0
; VGPRBlocks: 7
; NumSGPRsForWavesPerEU: 50
; NumVGPRsForWavesPerEU: 58
; Occupancy: 16
; WaveLimiterHint : 0
; COMPUTE_PGM_RSRC2:SCRATCH_EN: 0
; COMPUTE_PGM_RSRC2:USER_SGPR: 6
; COMPUTE_PGM_RSRC2:TRAP_HANDLER: 0
; COMPUTE_PGM_RSRC2:TGID_X_EN: 1
; COMPUTE_PGM_RSRC2:TGID_Y_EN: 1
; COMPUTE_PGM_RSRC2:TGID_Z_EN: 1
; COMPUTE_PGM_RSRC2:TIDIG_COMP_CNT: 1
	.section	.text._ZL29rocblas_internal_gemmt_kernelIlLi16ELi32ELi8ELc78ELc67ELc85ELb0ELb1E19rocblas_complex_numIdEPKS1_S3_PS1_EviT_T9_T10_S5_lS7_S5_lS6_T11_S5_li,"axG",@progbits,_ZL29rocblas_internal_gemmt_kernelIlLi16ELi32ELi8ELc78ELc67ELc85ELb0ELb1E19rocblas_complex_numIdEPKS1_S3_PS1_EviT_T9_T10_S5_lS7_S5_lS6_T11_S5_li,comdat
	.globl	_ZL29rocblas_internal_gemmt_kernelIlLi16ELi32ELi8ELc78ELc67ELc85ELb0ELb1E19rocblas_complex_numIdEPKS1_S3_PS1_EviT_T9_T10_S5_lS7_S5_lS6_T11_S5_li ; -- Begin function _ZL29rocblas_internal_gemmt_kernelIlLi16ELi32ELi8ELc78ELc67ELc85ELb0ELb1E19rocblas_complex_numIdEPKS1_S3_PS1_EviT_T9_T10_S5_lS7_S5_lS6_T11_S5_li
	.p2align	8
	.type	_ZL29rocblas_internal_gemmt_kernelIlLi16ELi32ELi8ELc78ELc67ELc85ELb0ELb1E19rocblas_complex_numIdEPKS1_S3_PS1_EviT_T9_T10_S5_lS7_S5_lS6_T11_S5_li,@function
_ZL29rocblas_internal_gemmt_kernelIlLi16ELi32ELi8ELc78ELc67ELc85ELb0ELb1E19rocblas_complex_numIdEPKS1_S3_PS1_EviT_T9_T10_S5_lS7_S5_lS6_T11_S5_li: ; @_ZL29rocblas_internal_gemmt_kernelIlLi16ELi32ELi8ELc78ELc67ELc85ELb0ELb1E19rocblas_complex_numIdEPKS1_S3_PS1_EviT_T9_T10_S5_lS7_S5_lS6_T11_S5_li
; %bb.0:
	s_load_dwordx8 s[36:43], s[4:5], 0x48
	s_waitcnt lgkmcnt(0)
	s_load_dwordx4 s[28:31], s[36:37], 0x0
	s_load_dwordx16 s[12:27], s[4:5], 0x8
	s_waitcnt lgkmcnt(0)
	v_cmp_eq_f64_e64 s0, s[28:29], 1.0
	v_cmp_eq_f64_e64 s9, s[30:31], 0
	s_load_dwordx4 s[44:47], s[14:15], 0x0
	s_and_b32 s0, s0, s9
	s_andn2_b32 vcc_lo, exec_lo, s0
	s_mov_b32 s0, -1
	s_cbranch_vccnz .LBB254_3
; %bb.1:
	s_cmp_lg_u64 s[12:13], 0
	s_cbranch_scc0 .LBB254_31
; %bb.2:
	s_waitcnt lgkmcnt(0)
	v_cmp_neq_f64_e64 s0, s[44:45], 0
	v_cmp_neq_f64_e64 s1, s[46:47], 0
	s_or_b32 s0, s0, s1
.LBB254_3:
	s_and_b32 vcc_lo, exec_lo, s0
	s_cbranch_vccz .LBB254_32
; %bb.4:
	s_waitcnt lgkmcnt(0)
	v_cmp_eq_f64_e64 s0, s[44:45], 0
	v_cmp_eq_f64_e64 s1, s[46:47], 0
	s_load_dword s4, s[4:5], 0x0
	v_cmp_lt_i64_e64 s2, s[12:13], 1
	v_mov_b32_e32 v22, 0
	v_mov_b32_e32 v24, 0
	;; [unrolled: 1-line block ×16, first 2 shown]
	s_lshl_b32 s5, s6, 5
	s_lshl_b32 s6, s7, 5
	s_and_b32 s0, s0, s1
	s_or_b32 s0, s0, s2
	s_and_b32 vcc_lo, exec_lo, s0
	s_cbranch_vccnz .LBB254_15
; %bb.5:
	v_lshl_add_u32 v2, v1, 4, v0
	s_mul_i32 s0, s27, s8
	s_mul_hi_u32 s1, s26, s8
	v_and_b32_e32 v26, 7, v0
	s_add_i32 s1, s1, s0
	v_and_b32_e32 v5, 31, v2
	v_lshrrev_b32_e32 v8, 3, v2
	v_lshrrev_b32_e32 v27, 5, v2
	s_mul_i32 s0, s26, s8
	s_mul_hi_u32 s3, s20, s8
	v_or_b32_e32 v2, s5, v5
	v_add_nc_u32_e32 v4, s6, v8
	s_lshl_b64 s[0:1], s[0:1], 4
	v_lshlrev_b32_e32 v9, 4, v5
	s_add_u32 s2, s22, s0
	v_ashrrev_i32_e32 v3, 31, v2
	s_mul_i32 s0, s21, s8
	v_ashrrev_i32_e32 v5, 31, v4
	s_addc_u32 s10, s23, s1
	s_add_i32 s1, s3, s0
	s_mul_i32 s0, s20, s8
	v_lshlrev_b32_e32 v10, 4, v26
	s_lshl_b64 s[0:1], s[0:1], 4
	v_lshlrev_b64 v[6:7], 4, v[2:3]
	s_add_u32 s3, s16, s0
	s_waitcnt lgkmcnt(0)
	v_cmp_gt_i32_e64 s0, s4, v2
	v_cmp_le_i32_e64 s7, s4, v2
	v_lshlrev_b64 v[2:3], 4, v[4:5]
	v_lshl_or_b32 v8, v8, 7, v10
	s_addc_u32 s1, s17, s1
	v_add_co_u32 v29, vcc_lo, s3, v6
	v_add_co_ci_u32_e64 v30, null, s1, v7, vcc_lo
	v_add_co_u32 v32, vcc_lo, s2, v2
	v_mov_b32_e32 v10, 0
	v_mov_b32_e32 v12, 0
	;; [unrolled: 1-line block ×8, first 2 shown]
	v_lshl_or_b32 v28, v27, 9, v9
	v_cmp_gt_i32_e64 s1, s4, v4
	v_add_nc_u32_e32 v31, 0x1000, v8
	v_add_co_ci_u32_e64 v33, null, s10, v3, vcc_lo
	v_lshlrev_b32_e32 v34, 4, v0
	v_lshl_add_u32 v35, v1, 7, 0x1000
	v_mov_b32_e32 v11, 0
	v_mov_b32_e32 v13, 0
	;; [unrolled: 1-line block ×9, first 2 shown]
	s_mov_b64 s[2:3], 0
                                        ; implicit-def: $vgpr8_vgpr9
	s_branch .LBB254_7
.LBB254_6:                              ;   in Loop: Header=BB254_7 Depth=1
	s_or_b32 exec_lo, exec_lo, s10
	ds_write_b128 v31, v[4:7]
	s_waitcnt lgkmcnt(0)
	s_barrier
	buffer_gl0_inv
	ds_read_b128 v[4:7], v35
	ds_read_b128 v[36:39], v34
	ds_read_b128 v[40:43], v34 offset:256
	ds_read_b128 v[44:47], v35 offset:2048
	;; [unrolled: 1-line block ×11, first 2 shown]
	s_add_u32 s2, s2, 8
	s_addc_u32 s3, s3, 0
	v_cmp_gt_i64_e64 s10, s[12:13], s[2:3]
	s_waitcnt lgkmcnt(11)
	v_mul_f64 v[84:85], v[6:7], v[38:39]
	v_mul_f64 v[86:87], v[4:5], v[38:39]
	s_waitcnt lgkmcnt(10)
	v_mul_f64 v[88:89], v[6:7], v[42:43]
	v_mul_f64 v[90:91], v[4:5], v[42:43]
	;; [unrolled: 3-line block ×3, first 2 shown]
	v_mul_f64 v[94:95], v[46:47], v[42:43]
	v_mul_f64 v[42:43], v[44:45], v[42:43]
	s_waitcnt lgkmcnt(7)
	v_mul_f64 v[96:97], v[50:51], v[54:55]
	v_mul_f64 v[98:99], v[48:49], v[54:55]
	s_waitcnt lgkmcnt(6)
	v_mul_f64 v[100:101], v[50:51], v[58:59]
	s_waitcnt lgkmcnt(5)
	v_mul_f64 v[104:105], v[62:63], v[54:55]
	v_mul_f64 v[54:55], v[60:61], v[54:55]
	;; [unrolled: 1-line block ×5, first 2 shown]
	s_waitcnt lgkmcnt(3)
	v_mul_f64 v[108:109], v[70:71], v[66:67]
	v_mul_f64 v[110:111], v[68:69], v[66:67]
	s_and_b32 vcc_lo, exec_lo, s10
	v_fma_f64 v[84:85], v[4:5], v[36:37], -v[84:85]
	v_fma_f64 v[86:87], v[6:7], v[36:37], v[86:87]
	v_fma_f64 v[88:89], v[4:5], v[40:41], -v[88:89]
	v_fma_f64 v[90:91], v[6:7], v[40:41], v[90:91]
	v_fma_f64 v[92:93], v[44:45], v[36:37], -v[92:93]
	v_fma_f64 v[116:117], v[46:47], v[36:37], v[38:39]
	v_fma_f64 v[94:95], v[44:45], v[40:41], -v[94:95]
	ds_read_b128 v[4:7], v34 offset:1536
	s_waitcnt lgkmcnt(3)
	v_mul_f64 v[112:113], v[70:71], v[74:75]
	v_mul_f64 v[114:115], v[68:69], v[74:75]
	v_fma_f64 v[118:119], v[46:47], v[40:41], v[42:43]
	v_fma_f64 v[96:97], v[48:49], v[52:53], -v[96:97]
	v_fma_f64 v[98:99], v[50:51], v[52:53], v[98:99]
	v_fma_f64 v[48:49], v[48:49], v[56:57], -v[100:101]
	s_waitcnt lgkmcnt(2)
	v_mul_f64 v[44:45], v[78:79], v[66:67]
	v_fma_f64 v[100:101], v[60:61], v[52:53], -v[104:105]
	v_fma_f64 v[52:53], v[62:63], v[52:53], v[54:55]
	v_mul_f64 v[46:47], v[76:77], v[66:67]
	v_mul_f64 v[54:55], v[78:79], v[74:75]
	;; [unrolled: 1-line block ×3, first 2 shown]
	v_fma_f64 v[50:51], v[50:51], v[56:57], v[102:103]
	v_fma_f64 v[60:61], v[60:61], v[56:57], -v[106:107]
	v_fma_f64 v[56:57], v[62:63], v[56:57], v[58:59]
	v_fma_f64 v[58:59], v[68:69], v[64:65], -v[108:109]
	v_fma_f64 v[62:63], v[70:71], v[64:65], v[110:111]
	v_add_f64 v[84:85], v[22:23], v[84:85]
	v_add_f64 v[86:87], v[86:87], v[24:25]
	;; [unrolled: 1-line block ×5, first 2 shown]
	v_fma_f64 v[68:69], v[68:69], v[72:73], -v[112:113]
	v_fma_f64 v[70:71], v[70:71], v[72:73], v[114:115]
	v_add_f64 v[106:107], v[116:117], v[16:17]
	ds_read_b128 v[36:39], v34 offset:1792
	ds_read_b128 v[40:43], v35 offset:2096
	s_waitcnt lgkmcnt(2)
	v_mul_f64 v[74:75], v[82:83], v[6:7]
	v_mul_f64 v[102:103], v[80:81], v[6:7]
	v_fma_f64 v[110:111], v[76:77], v[64:65], -v[44:45]
	ds_read_b128 v[14:17], v35 offset:64
	v_fma_f64 v[64:65], v[78:79], v[64:65], v[46:47]
	v_fma_f64 v[76:77], v[76:77], v[72:73], -v[54:55]
	v_fma_f64 v[66:67], v[78:79], v[72:73], v[66:67]
	v_add_f64 v[54:55], v[12:13], v[94:95]
	v_add_f64 v[72:73], v[118:119], v[10:11]
	ds_read_b128 v[18:21], v34 offset:2048
	ds_read_b128 v[22:25], v34 offset:2304
	;; [unrolled: 1-line block ×4, first 2 shown]
	v_add_f64 v[84:85], v[84:85], v[96:97]
	v_add_f64 v[86:87], v[98:99], v[86:87]
	;; [unrolled: 1-line block ×5, first 2 shown]
	s_waitcnt lgkmcnt(6)
	v_mul_f64 v[104:105], v[82:83], v[38:39]
	v_mul_f64 v[108:109], v[80:81], v[38:39]
	s_waitcnt lgkmcnt(5)
	v_mul_f64 v[112:113], v[42:43], v[6:7]
	v_mul_f64 v[6:7], v[40:41], v[6:7]
	v_add_f64 v[52:53], v[52:53], v[106:107]
	v_mul_f64 v[94:95], v[42:43], v[38:39]
	v_mul_f64 v[38:39], v[40:41], v[38:39]
	v_fma_f64 v[74:75], v[80:81], v[4:5], -v[74:75]
	v_fma_f64 v[78:79], v[82:83], v[4:5], v[102:103]
	ds_read_b128 v[48:51], v35 offset:2128
	s_waitcnt lgkmcnt(4)
	v_mul_f64 v[100:101], v[16:17], v[20:21]
	v_mul_f64 v[102:103], v[14:15], v[20:21]
	v_add_f64 v[60:61], v[54:55], v[60:61]
	v_add_f64 v[56:57], v[56:57], v[72:73]
	s_waitcnt lgkmcnt(3)
	v_mul_f64 v[106:107], v[14:15], v[24:25]
	s_waitcnt lgkmcnt(2)
	v_mul_f64 v[72:73], v[46:47], v[20:21]
	v_mul_f64 v[20:21], v[44:45], v[20:21]
	v_add_f64 v[58:59], v[84:85], v[58:59]
	v_add_f64 v[62:63], v[62:63], v[86:87]
	;; [unrolled: 1-line block ×5, first 2 shown]
	v_fma_f64 v[80:81], v[80:81], v[36:37], -v[104:105]
	v_fma_f64 v[82:83], v[82:83], v[36:37], v[108:109]
	v_fma_f64 v[96:97], v[40:41], v[4:5], -v[112:113]
	v_fma_f64 v[98:99], v[42:43], v[4:5], v[6:7]
	v_mul_f64 v[104:105], v[16:17], v[24:25]
	v_add_f64 v[64:65], v[64:65], v[52:53]
	v_mul_f64 v[86:87], v[46:47], v[24:25]
	v_mul_f64 v[24:25], v[44:45], v[24:25]
	v_fma_f64 v[40:41], v[40:41], v[36:37], -v[94:95]
	v_fma_f64 v[42:43], v[42:43], v[36:37], v[38:39]
	ds_read_b128 v[4:7], v35 offset:80
	ds_read_b128 v[52:55], v34 offset:2816
	v_add_f64 v[60:61], v[60:61], v[76:77]
	v_add_f64 v[56:57], v[66:67], v[56:57]
	v_fma_f64 v[90:91], v[14:15], v[18:19], -v[100:101]
	v_fma_f64 v[92:93], v[16:17], v[18:19], v[102:103]
	v_fma_f64 v[100:101], v[16:17], v[22:23], v[106:107]
	v_fma_f64 v[66:67], v[44:45], v[18:19], -v[72:73]
	v_add_f64 v[58:59], v[58:59], v[74:75]
	v_add_f64 v[62:63], v[78:79], v[62:63]
	v_fma_f64 v[72:73], v[46:47], v[18:19], v[20:21]
	v_add_f64 v[68:69], v[68:69], v[80:81]
	v_add_f64 v[70:71], v[82:83], v[70:71]
	;; [unrolled: 1-line block ×3, first 2 shown]
	s_waitcnt lgkmcnt(2)
	v_mul_f64 v[82:83], v[50:51], v[12:13]
	v_fma_f64 v[94:95], v[14:15], v[22:23], -v[104:105]
	v_add_f64 v[64:65], v[98:99], v[64:65]
	v_fma_f64 v[44:45], v[44:45], v[22:23], -v[86:87]
	v_fma_f64 v[46:47], v[46:47], v[22:23], v[24:25]
	s_waitcnt lgkmcnt(1)
	v_mul_f64 v[88:89], v[6:7], v[12:13]
	v_mul_f64 v[76:77], v[4:5], v[12:13]
	s_waitcnt lgkmcnt(0)
	v_mul_f64 v[78:79], v[6:7], v[54:55]
	v_mul_f64 v[80:81], v[4:5], v[54:55]
	;; [unrolled: 1-line block ×5, first 2 shown]
	v_add_f64 v[40:41], v[60:61], v[40:41]
	v_add_f64 v[42:43], v[42:43], v[56:57]
	ds_read_b128 v[14:17], v35 offset:96
	ds_read_b128 v[18:21], v34 offset:3072
	;; [unrolled: 1-line block ×4, first 2 shown]
	v_add_f64 v[56:57], v[58:59], v[90:91]
	v_add_f64 v[58:59], v[92:93], v[62:63]
	v_add_f64 v[66:67], v[74:75], v[66:67]
	v_fma_f64 v[82:83], v[48:49], v[10:11], -v[82:83]
	v_add_f64 v[62:63], v[68:69], v[94:95]
	v_add_f64 v[68:69], v[100:101], v[70:71]
	v_add_f64 v[64:65], v[72:73], v[64:65]
	v_fma_f64 v[60:61], v[4:5], v[10:11], -v[88:89]
	v_fma_f64 v[70:71], v[6:7], v[10:11], v[76:77]
	v_fma_f64 v[72:73], v[4:5], v[52:53], -v[78:79]
	v_fma_f64 v[74:75], v[6:7], v[52:53], v[80:81]
	ds_read_b128 v[4:7], v35 offset:112
	v_fma_f64 v[88:89], v[50:51], v[10:11], v[12:13]
	s_waitcnt lgkmcnt(3)
	v_mul_f64 v[76:77], v[16:17], v[20:21]
	v_mul_f64 v[78:79], v[14:15], v[20:21]
	s_waitcnt lgkmcnt(2)
	v_mul_f64 v[80:81], v[16:17], v[38:39]
	v_mul_f64 v[86:87], v[14:15], v[38:39]
	v_fma_f64 v[48:49], v[48:49], v[52:53], -v[84:85]
	v_fma_f64 v[50:51], v[50:51], v[52:53], v[54:55]
	v_add_f64 v[52:53], v[40:41], v[44:45]
	v_add_f64 v[46:47], v[46:47], v[42:43]
	s_waitcnt lgkmcnt(1)
	v_mul_f64 v[54:55], v[24:25], v[20:21]
	v_mul_f64 v[20:21], v[22:23], v[20:21]
	;; [unrolled: 1-line block ×4, first 2 shown]
	ds_read_b128 v[10:13], v35 offset:2160
	ds_read_b128 v[38:41], v34 offset:3584
	;; [unrolled: 1-line block ×3, first 2 shown]
	v_add_f64 v[66:67], v[66:67], v[82:83]
	s_waitcnt lgkmcnt(0)
	v_add_f64 v[56:57], v[56:57], v[60:61]
	v_add_f64 v[58:59], v[70:71], v[58:59]
	;; [unrolled: 1-line block ×4, first 2 shown]
	s_barrier
	v_add_f64 v[64:65], v[88:89], v[64:65]
	v_fma_f64 v[60:61], v[14:15], v[18:19], -v[76:77]
	v_fma_f64 v[70:71], v[16:17], v[18:19], v[78:79]
	v_fma_f64 v[14:15], v[14:15], v[36:37], -v[80:81]
	v_fma_f64 v[16:17], v[16:17], v[36:37], v[86:87]
	buffer_gl0_inv
	v_add_f64 v[48:49], v[52:53], v[48:49]
	v_add_f64 v[46:47], v[50:51], v[46:47]
	v_fma_f64 v[50:51], v[22:23], v[18:19], -v[54:55]
	v_fma_f64 v[18:19], v[24:25], v[18:19], v[20:21]
	v_fma_f64 v[20:21], v[22:23], v[36:37], -v[84:85]
	v_fma_f64 v[22:23], v[24:25], v[36:37], v[90:91]
	v_mul_f64 v[24:25], v[6:7], v[40:41]
	v_mul_f64 v[36:37], v[4:5], v[40:41]
	;; [unrolled: 1-line block ×8, first 2 shown]
	v_add_f64 v[56:57], v[56:57], v[60:61]
	v_add_f64 v[58:59], v[70:71], v[58:59]
	;; [unrolled: 1-line block ×8, first 2 shown]
	v_fma_f64 v[18:19], v[4:5], v[38:39], -v[24:25]
	v_fma_f64 v[20:21], v[6:7], v[38:39], v[36:37]
	v_fma_f64 v[4:5], v[4:5], v[42:43], -v[52:53]
	v_fma_f64 v[6:7], v[6:7], v[42:43], v[54:55]
	;; [unrolled: 2-line block ×4, first 2 shown]
	v_add_f64 v[22:23], v[56:57], v[18:19]
	v_add_f64 v[24:25], v[20:21], v[58:59]
	;; [unrolled: 1-line block ×8, first 2 shown]
	s_cbranch_vccz .LBB254_15
.LBB254_7:                              ; =>This Inner Loop Header: Depth=1
	s_mov_b32 s14, s7
	s_mov_b32 s10, 0
	s_and_saveexec_b32 s11, s0
	s_cbranch_execnz .LBB254_13
; %bb.8:                                ;   in Loop: Header=BB254_7 Depth=1
	s_or_b32 exec_lo, exec_lo, s11
	s_and_saveexec_b32 s11, s14
	s_xor_b32 s11, exec_lo, s11
	s_cbranch_execnz .LBB254_14
.LBB254_9:                              ;   in Loop: Header=BB254_7 Depth=1
	s_or_b32 exec_lo, exec_lo, s11
	s_and_saveexec_b32 s11, s10
	s_cbranch_execz .LBB254_11
.LBB254_10:                             ;   in Loop: Header=BB254_7 Depth=1
	v_mul_lo_u32 v2, s19, v8
	v_mul_lo_u32 v6, s18, v9
	v_mad_u64_u32 v[4:5], null, s18, v8, 0
	v_add3_u32 v5, v5, v6, v2
	v_lshlrev_b64 v[4:5], 4, v[4:5]
	v_add_co_u32 v4, vcc_lo, v29, v4
	v_add_co_ci_u32_e64 v5, null, v30, v5, vcc_lo
	global_load_dwordx4 v[4:7], v[4:5], off
	s_waitcnt vmcnt(0)
	ds_write2_b64 v28, v[4:5], v[6:7] offset1:1
.LBB254_11:                             ;   in Loop: Header=BB254_7 Depth=1
	s_or_b32 exec_lo, exec_lo, s11
	v_add_nc_u32_e32 v2, s2, v26
	v_mov_b32_e32 v4, 0
	v_mov_b32_e32 v6, 0
	;; [unrolled: 1-line block ×4, first 2 shown]
	v_cmp_gt_u64_e32 vcc_lo, s[12:13], v[2:3]
	s_and_b32 s11, vcc_lo, s1
	s_and_saveexec_b32 s10, s11
	s_cbranch_execz .LBB254_6
; %bb.12:                               ;   in Loop: Header=BB254_7 Depth=1
	v_mad_u64_u32 v[4:5], null, s24, v2, 0
	v_mad_u64_u32 v[5:6], null, s25, v2, v[5:6]
	v_lshlrev_b64 v[4:5], 4, v[4:5]
	v_add_co_u32 v4, vcc_lo, v32, v4
	v_add_co_ci_u32_e64 v5, null, v33, v5, vcc_lo
	global_load_dwordx4 v[4:7], v[4:5], off
	s_waitcnt vmcnt(0)
	v_xor_b32_e32 v7, 0x80000000, v7
	s_branch .LBB254_6
.LBB254_13:                             ;   in Loop: Header=BB254_7 Depth=1
	v_add_nc_u32_e32 v2, s2, v27
	v_mov_b32_e32 v9, v3
	s_andn2_b32 s14, s7, exec_lo
	s_mov_b32 s10, exec_lo
	v_cmp_le_u64_e32 vcc_lo, s[12:13], v[2:3]
	v_mov_b32_e32 v8, v2
	s_and_b32 s15, vcc_lo, exec_lo
	s_or_b32 s14, s14, s15
	s_or_b32 exec_lo, exec_lo, s11
	s_and_saveexec_b32 s11, s14
	s_xor_b32 s11, exec_lo, s11
	s_cbranch_execz .LBB254_9
.LBB254_14:                             ;   in Loop: Header=BB254_7 Depth=1
	v_mov_b32_e32 v2, v3
	v_mov_b32_e32 v4, v3
	;; [unrolled: 1-line block ×3, first 2 shown]
	s_andn2_b32 s10, s10, exec_lo
	ds_write_b128 v28, v[2:5]
	s_or_b32 exec_lo, exec_lo, s11
	s_and_saveexec_b32 s11, s10
	s_cbranch_execnz .LBB254_10
	s_branch .LBB254_11
.LBB254_15:
	v_add_nc_u32_e32 v27, s6, v1
	v_cmp_neq_f64_e64 s6, s[28:29], 0
	s_mul_i32 s1, s43, s8
	s_mul_hi_u32 s2, s42, s8
	s_mul_i32 s0, s42, s8
	v_ashrrev_i32_e32 v3, 31, v27
	v_mul_lo_u32 v5, s41, v27
	v_mad_u64_u32 v[1:2], null, s40, v27, 0
	s_add_i32 s1, s2, s1
	v_mul_lo_u32 v3, s40, v3
	v_add_nc_u32_e32 v4, s5, v0
	s_lshl_b64 s[2:3], s[0:1], 4
	s_waitcnt lgkmcnt(0)
	v_cmp_gt_i32_e64 s0, s4, v27
	s_add_u32 s2, s38, s2
	s_addc_u32 s3, s39, s3
	s_xor_b32 s5, s9, -1
	v_cmp_le_i32_e32 vcc_lo, v4, v27
	v_add3_u32 v2, v2, v3, v5
	v_ashrrev_i32_e32 v5, 31, v4
	s_or_b32 s5, s6, s5
	v_lshlrev_b64 v[0:1], 4, v[1:2]
	v_cndmask_b32_e64 v26, 0, 1, s5
	s_and_b32 s6, s0, vcc_lo
	v_add_co_u32 v8, s1, s2, v0
	v_add_co_ci_u32_e64 v9, null, s3, v1, s1
	s_and_saveexec_b32 s1, s6
	s_cbranch_execz .LBB254_19
; %bb.16:
	v_mul_f64 v[0:1], s[46:47], v[24:25]
	v_mul_f64 v[2:3], s[44:45], v[24:25]
	v_lshlrev_b64 v[6:7], 4, v[4:5]
	v_add_co_u32 v6, vcc_lo, v8, v6
	v_add_co_ci_u32_e64 v7, null, v9, v7, vcc_lo
	s_andn2_b32 vcc_lo, exec_lo, s5
	v_fma_f64 v[0:1], s[44:45], v[22:23], -v[0:1]
	v_fma_f64 v[2:3], s[46:47], v[22:23], v[2:3]
	s_cbranch_vccnz .LBB254_18
; %bb.17:
	global_load_dwordx4 v[22:25], v[6:7], off
	s_waitcnt vmcnt(0)
	v_mul_f64 v[28:29], s[30:31], v[24:25]
	v_mul_f64 v[24:25], s[28:29], v[24:25]
	v_fma_f64 v[28:29], s[28:29], v[22:23], -v[28:29]
	v_fma_f64 v[22:23], s[30:31], v[22:23], v[24:25]
	v_add_f64 v[0:1], v[0:1], v[28:29]
	v_add_f64 v[2:3], v[2:3], v[22:23]
.LBB254_18:
	global_store_dwordx4 v[6:7], v[0:3], off
.LBB254_19:
	s_or_b32 exec_lo, exec_lo, s1
	v_add_nc_u32_e32 v6, 16, v4
	v_cmp_le_i32_e32 vcc_lo, v6, v27
	v_ashrrev_i32_e32 v7, 31, v6
	s_and_b32 s0, s0, vcc_lo
	s_and_saveexec_b32 s1, s0
	s_cbranch_execz .LBB254_23
; %bb.20:
	v_mul_f64 v[0:1], s[46:47], v[20:21]
	v_mul_f64 v[2:3], s[44:45], v[20:21]
	v_cmp_ne_u32_e32 vcc_lo, 1, v26
	s_and_b32 vcc_lo, exec_lo, vcc_lo
	v_fma_f64 v[0:1], s[44:45], v[18:19], -v[0:1]
	v_fma_f64 v[2:3], s[46:47], v[18:19], v[2:3]
	v_lshlrev_b64 v[18:19], 4, v[6:7]
	v_add_co_u32 v8, s0, v8, v18
	v_add_co_ci_u32_e64 v9, null, v9, v19, s0
	s_cbranch_vccnz .LBB254_22
; %bb.21:
	global_load_dwordx4 v[18:21], v[8:9], off
	s_waitcnt vmcnt(0)
	v_mul_f64 v[22:23], s[30:31], v[20:21]
	v_mul_f64 v[20:21], s[28:29], v[20:21]
	v_fma_f64 v[22:23], s[28:29], v[18:19], -v[22:23]
	v_fma_f64 v[18:19], s[30:31], v[18:19], v[20:21]
	v_add_f64 v[0:1], v[0:1], v[22:23]
	v_add_f64 v[2:3], v[2:3], v[18:19]
.LBB254_22:
	global_store_dwordx4 v[8:9], v[0:3], off
.LBB254_23:
	s_or_b32 exec_lo, exec_lo, s1
	v_add_nc_u32_e32 v18, 16, v27
	v_ashrrev_i32_e32 v2, 31, v18
	v_mul_lo_u32 v3, s41, v18
	v_mad_u64_u32 v[0:1], null, s40, v18, 0
	v_cmp_gt_i32_e64 s0, s4, v18
	v_mul_lo_u32 v2, s40, v2
	v_cmp_le_i32_e32 vcc_lo, v4, v18
	v_add3_u32 v1, v1, v2, v3
	v_lshlrev_b64 v[0:1], 4, v[0:1]
	v_add_co_u32 v8, s1, s2, v0
	v_add_co_ci_u32_e64 v9, null, s3, v1, s1
	s_and_b32 s1, s0, vcc_lo
	s_and_saveexec_b32 s2, s1
	s_cbranch_execz .LBB254_27
; %bb.24:
	v_mul_f64 v[0:1], s[46:47], v[16:17]
	v_mul_f64 v[2:3], s[44:45], v[16:17]
	v_lshlrev_b64 v[4:5], 4, v[4:5]
	v_cmp_ne_u32_e32 vcc_lo, 1, v26
	s_and_b32 vcc_lo, exec_lo, vcc_lo
	v_add_co_u32 v4, s1, v8, v4
	v_add_co_ci_u32_e64 v5, null, v9, v5, s1
	v_fma_f64 v[0:1], s[44:45], v[14:15], -v[0:1]
	v_fma_f64 v[2:3], s[46:47], v[14:15], v[2:3]
	s_cbranch_vccnz .LBB254_26
; %bb.25:
	global_load_dwordx4 v[14:17], v[4:5], off
	s_waitcnt vmcnt(0)
	v_mul_f64 v[19:20], s[30:31], v[16:17]
	v_mul_f64 v[16:17], s[28:29], v[16:17]
	v_fma_f64 v[19:20], s[28:29], v[14:15], -v[19:20]
	v_fma_f64 v[14:15], s[30:31], v[14:15], v[16:17]
	v_add_f64 v[0:1], v[0:1], v[19:20]
	v_add_f64 v[2:3], v[2:3], v[14:15]
.LBB254_26:
	global_store_dwordx4 v[4:5], v[0:3], off
.LBB254_27:
	s_or_b32 exec_lo, exec_lo, s2
	v_cmp_le_i32_e32 vcc_lo, v6, v18
	s_and_b32 s0, s0, vcc_lo
	s_and_saveexec_b32 s1, s0
	s_cbranch_execz .LBB254_32
; %bb.28:
	v_mul_f64 v[0:1], s[46:47], v[10:11]
	v_mul_f64 v[2:3], s[44:45], v[10:11]
	v_lshlrev_b64 v[4:5], 4, v[6:7]
	v_cmp_ne_u32_e32 vcc_lo, 1, v26
	s_and_b32 vcc_lo, exec_lo, vcc_lo
	v_add_co_u32 v4, s0, v8, v4
	v_add_co_ci_u32_e64 v5, null, v9, v5, s0
	v_fma_f64 v[0:1], s[44:45], v[12:13], -v[0:1]
	v_fma_f64 v[2:3], s[46:47], v[12:13], v[2:3]
	s_cbranch_vccnz .LBB254_30
; %bb.29:
	global_load_dwordx4 v[6:9], v[4:5], off
	s_waitcnt vmcnt(0)
	v_mul_f64 v[10:11], s[30:31], v[8:9]
	v_mul_f64 v[8:9], s[28:29], v[8:9]
	v_fma_f64 v[10:11], s[28:29], v[6:7], -v[10:11]
	v_fma_f64 v[6:7], s[30:31], v[6:7], v[8:9]
	v_add_f64 v[0:1], v[0:1], v[10:11]
	v_add_f64 v[2:3], v[2:3], v[6:7]
.LBB254_30:
	global_store_dwordx4 v[4:5], v[0:3], off
	s_endpgm
.LBB254_31:
.LBB254_32:
	s_endpgm
	.section	.rodata,"a",@progbits
	.p2align	6, 0x0
	.amdhsa_kernel _ZL29rocblas_internal_gemmt_kernelIlLi16ELi32ELi8ELc78ELc67ELc85ELb0ELb1E19rocblas_complex_numIdEPKS1_S3_PS1_EviT_T9_T10_S5_lS7_S5_lS6_T11_S5_li
		.amdhsa_group_segment_fixed_size 8192
		.amdhsa_private_segment_fixed_size 0
		.amdhsa_kernarg_size 108
		.amdhsa_user_sgpr_count 6
		.amdhsa_user_sgpr_private_segment_buffer 1
		.amdhsa_user_sgpr_dispatch_ptr 0
		.amdhsa_user_sgpr_queue_ptr 0
		.amdhsa_user_sgpr_kernarg_segment_ptr 1
		.amdhsa_user_sgpr_dispatch_id 0
		.amdhsa_user_sgpr_flat_scratch_init 0
		.amdhsa_user_sgpr_private_segment_size 0
		.amdhsa_wavefront_size32 1
		.amdhsa_uses_dynamic_stack 0
		.amdhsa_system_sgpr_private_segment_wavefront_offset 0
		.amdhsa_system_sgpr_workgroup_id_x 1
		.amdhsa_system_sgpr_workgroup_id_y 1
		.amdhsa_system_sgpr_workgroup_id_z 1
		.amdhsa_system_sgpr_workgroup_info 0
		.amdhsa_system_vgpr_workitem_id 1
		.amdhsa_next_free_vgpr 120
		.amdhsa_next_free_sgpr 48
		.amdhsa_reserve_vcc 1
		.amdhsa_reserve_flat_scratch 0
		.amdhsa_float_round_mode_32 0
		.amdhsa_float_round_mode_16_64 0
		.amdhsa_float_denorm_mode_32 3
		.amdhsa_float_denorm_mode_16_64 3
		.amdhsa_dx10_clamp 1
		.amdhsa_ieee_mode 1
		.amdhsa_fp16_overflow 0
		.amdhsa_workgroup_processor_mode 1
		.amdhsa_memory_ordered 1
		.amdhsa_forward_progress 1
		.amdhsa_shared_vgpr_count 0
		.amdhsa_exception_fp_ieee_invalid_op 0
		.amdhsa_exception_fp_denorm_src 0
		.amdhsa_exception_fp_ieee_div_zero 0
		.amdhsa_exception_fp_ieee_overflow 0
		.amdhsa_exception_fp_ieee_underflow 0
		.amdhsa_exception_fp_ieee_inexact 0
		.amdhsa_exception_int_div_zero 0
	.end_amdhsa_kernel
	.section	.text._ZL29rocblas_internal_gemmt_kernelIlLi16ELi32ELi8ELc78ELc67ELc85ELb0ELb1E19rocblas_complex_numIdEPKS1_S3_PS1_EviT_T9_T10_S5_lS7_S5_lS6_T11_S5_li,"axG",@progbits,_ZL29rocblas_internal_gemmt_kernelIlLi16ELi32ELi8ELc78ELc67ELc85ELb0ELb1E19rocblas_complex_numIdEPKS1_S3_PS1_EviT_T9_T10_S5_lS7_S5_lS6_T11_S5_li,comdat
.Lfunc_end254:
	.size	_ZL29rocblas_internal_gemmt_kernelIlLi16ELi32ELi8ELc78ELc67ELc85ELb0ELb1E19rocblas_complex_numIdEPKS1_S3_PS1_EviT_T9_T10_S5_lS7_S5_lS6_T11_S5_li, .Lfunc_end254-_ZL29rocblas_internal_gemmt_kernelIlLi16ELi32ELi8ELc78ELc67ELc85ELb0ELb1E19rocblas_complex_numIdEPKS1_S3_PS1_EviT_T9_T10_S5_lS7_S5_lS6_T11_S5_li
                                        ; -- End function
	.set _ZL29rocblas_internal_gemmt_kernelIlLi16ELi32ELi8ELc78ELc67ELc85ELb0ELb1E19rocblas_complex_numIdEPKS1_S3_PS1_EviT_T9_T10_S5_lS7_S5_lS6_T11_S5_li.num_vgpr, 120
	.set _ZL29rocblas_internal_gemmt_kernelIlLi16ELi32ELi8ELc78ELc67ELc85ELb0ELb1E19rocblas_complex_numIdEPKS1_S3_PS1_EviT_T9_T10_S5_lS7_S5_lS6_T11_S5_li.num_agpr, 0
	.set _ZL29rocblas_internal_gemmt_kernelIlLi16ELi32ELi8ELc78ELc67ELc85ELb0ELb1E19rocblas_complex_numIdEPKS1_S3_PS1_EviT_T9_T10_S5_lS7_S5_lS6_T11_S5_li.numbered_sgpr, 48
	.set _ZL29rocblas_internal_gemmt_kernelIlLi16ELi32ELi8ELc78ELc67ELc85ELb0ELb1E19rocblas_complex_numIdEPKS1_S3_PS1_EviT_T9_T10_S5_lS7_S5_lS6_T11_S5_li.num_named_barrier, 0
	.set _ZL29rocblas_internal_gemmt_kernelIlLi16ELi32ELi8ELc78ELc67ELc85ELb0ELb1E19rocblas_complex_numIdEPKS1_S3_PS1_EviT_T9_T10_S5_lS7_S5_lS6_T11_S5_li.private_seg_size, 0
	.set _ZL29rocblas_internal_gemmt_kernelIlLi16ELi32ELi8ELc78ELc67ELc85ELb0ELb1E19rocblas_complex_numIdEPKS1_S3_PS1_EviT_T9_T10_S5_lS7_S5_lS6_T11_S5_li.uses_vcc, 1
	.set _ZL29rocblas_internal_gemmt_kernelIlLi16ELi32ELi8ELc78ELc67ELc85ELb0ELb1E19rocblas_complex_numIdEPKS1_S3_PS1_EviT_T9_T10_S5_lS7_S5_lS6_T11_S5_li.uses_flat_scratch, 0
	.set _ZL29rocblas_internal_gemmt_kernelIlLi16ELi32ELi8ELc78ELc67ELc85ELb0ELb1E19rocblas_complex_numIdEPKS1_S3_PS1_EviT_T9_T10_S5_lS7_S5_lS6_T11_S5_li.has_dyn_sized_stack, 0
	.set _ZL29rocblas_internal_gemmt_kernelIlLi16ELi32ELi8ELc78ELc67ELc85ELb0ELb1E19rocblas_complex_numIdEPKS1_S3_PS1_EviT_T9_T10_S5_lS7_S5_lS6_T11_S5_li.has_recursion, 0
	.set _ZL29rocblas_internal_gemmt_kernelIlLi16ELi32ELi8ELc78ELc67ELc85ELb0ELb1E19rocblas_complex_numIdEPKS1_S3_PS1_EviT_T9_T10_S5_lS7_S5_lS6_T11_S5_li.has_indirect_call, 0
	.section	.AMDGPU.csdata,"",@progbits
; Kernel info:
; codeLenInByte = 3628
; TotalNumSgprs: 50
; NumVgprs: 120
; ScratchSize: 0
; MemoryBound: 1
; FloatMode: 240
; IeeeMode: 1
; LDSByteSize: 8192 bytes/workgroup (compile time only)
; SGPRBlocks: 0
; VGPRBlocks: 14
; NumSGPRsForWavesPerEU: 50
; NumVGPRsForWavesPerEU: 120
; Occupancy: 8
; WaveLimiterHint : 0
; COMPUTE_PGM_RSRC2:SCRATCH_EN: 0
; COMPUTE_PGM_RSRC2:USER_SGPR: 6
; COMPUTE_PGM_RSRC2:TRAP_HANDLER: 0
; COMPUTE_PGM_RSRC2:TGID_X_EN: 1
; COMPUTE_PGM_RSRC2:TGID_Y_EN: 1
; COMPUTE_PGM_RSRC2:TGID_Z_EN: 1
; COMPUTE_PGM_RSRC2:TIDIG_COMP_CNT: 1
	.section	.text._ZL29rocblas_internal_gemmt_kernelIlLi16ELi32ELi8ELc84ELc78ELc85ELb0ELb0E19rocblas_complex_numIdEPKS1_S3_PS1_EviT_T9_T10_S5_lS7_S5_lS6_T11_S5_li,"axG",@progbits,_ZL29rocblas_internal_gemmt_kernelIlLi16ELi32ELi8ELc84ELc78ELc85ELb0ELb0E19rocblas_complex_numIdEPKS1_S3_PS1_EviT_T9_T10_S5_lS7_S5_lS6_T11_S5_li,comdat
	.globl	_ZL29rocblas_internal_gemmt_kernelIlLi16ELi32ELi8ELc84ELc78ELc85ELb0ELb0E19rocblas_complex_numIdEPKS1_S3_PS1_EviT_T9_T10_S5_lS7_S5_lS6_T11_S5_li ; -- Begin function _ZL29rocblas_internal_gemmt_kernelIlLi16ELi32ELi8ELc84ELc78ELc85ELb0ELb0E19rocblas_complex_numIdEPKS1_S3_PS1_EviT_T9_T10_S5_lS7_S5_lS6_T11_S5_li
	.p2align	8
	.type	_ZL29rocblas_internal_gemmt_kernelIlLi16ELi32ELi8ELc84ELc78ELc85ELb0ELb0E19rocblas_complex_numIdEPKS1_S3_PS1_EviT_T9_T10_S5_lS7_S5_lS6_T11_S5_li,@function
_ZL29rocblas_internal_gemmt_kernelIlLi16ELi32ELi8ELc84ELc78ELc85ELb0ELb0E19rocblas_complex_numIdEPKS1_S3_PS1_EviT_T9_T10_S5_lS7_S5_lS6_T11_S5_li: ; @_ZL29rocblas_internal_gemmt_kernelIlLi16ELi32ELi8ELc84ELc78ELc85ELb0ELb0E19rocblas_complex_numIdEPKS1_S3_PS1_EviT_T9_T10_S5_lS7_S5_lS6_T11_S5_li
; %bb.0:
	s_load_dwordx8 s[36:43], s[4:5], 0x48
	s_waitcnt lgkmcnt(0)
	s_load_dwordx4 s[28:31], s[36:37], 0x0
	s_load_dwordx16 s[12:27], s[4:5], 0x8
	s_waitcnt lgkmcnt(0)
	v_cmp_eq_f64_e64 s0, s[28:29], 1.0
	v_cmp_eq_f64_e64 s9, s[30:31], 0
	s_load_dwordx4 s[44:47], s[14:15], 0x0
	s_and_b32 s0, s0, s9
	s_andn2_b32 vcc_lo, exec_lo, s0
	s_mov_b32 s0, -1
	s_cbranch_vccnz .LBB255_3
; %bb.1:
	s_cmp_lg_u64 s[12:13], 0
	s_cbranch_scc0 .LBB255_33
; %bb.2:
	s_waitcnt lgkmcnt(0)
	v_cmp_neq_f64_e64 s0, s[44:45], 0
	v_cmp_neq_f64_e64 s1, s[46:47], 0
	s_or_b32 s0, s0, s1
.LBB255_3:
	s_and_b32 vcc_lo, exec_lo, s0
	s_cbranch_vccz .LBB255_34
; %bb.4:
	s_waitcnt lgkmcnt(0)
	v_cmp_eq_f64_e64 s0, s[44:45], 0
	v_cmp_eq_f64_e64 s1, s[46:47], 0
	s_load_dword s4, s[4:5], 0x0
	v_cmp_lt_i64_e64 s2, s[12:13], 1
	v_mov_b32_e32 v20, 0
	v_mov_b32_e32 v22, 0
	;; [unrolled: 1-line block ×16, first 2 shown]
	s_lshl_b32 s5, s6, 5
	s_lshl_b32 s6, s7, 5
	s_and_b32 s0, s0, s1
	s_or_b32 s0, s0, s2
	s_and_b32 vcc_lo, exec_lo, s0
	s_cbranch_vccnz .LBB255_17
; %bb.5:
	v_lshl_add_u32 v6, v1, 4, v0
	s_mul_i32 s1, s27, s8
	s_mul_hi_u32 s2, s26, s8
	s_mul_i32 s0, s26, s8
	s_add_i32 s1, s2, s1
	v_lshrrev_b32_e32 v7, 3, v6
	v_and_b32_e32 v8, 31, v6
	s_lshl_b64 s[0:1], s[0:1], 4
	s_mul_hi_u32 s3, s20, s8
	s_add_u32 s2, s22, s0
	v_add_nc_u32_e32 v9, s6, v7
	v_or_b32_e32 v10, s5, v8
	s_mul_i32 s0, s21, s8
	s_addc_u32 s10, s23, s1
	s_add_i32 s1, s3, s0
	v_ashrrev_i32_e32 v4, 31, v9
	s_mul_i32 s0, s20, s8
	v_mul_lo_u32 v11, s19, v10
	v_mad_u64_u32 v[2:3], null, s18, v10, 0
	s_lshl_b64 s[0:1], s[0:1], 4
	v_mul_lo_u32 v12, s24, v4
	v_mul_lo_u32 v13, s25, v9
	v_mad_u64_u32 v[4:5], null, s24, v9, 0
	s_add_u32 s3, s16, s0
	s_addc_u32 s1, s17, s1
	s_ashr_i32 s0, s5, 31
	v_and_b32_e32 v24, 7, v0
	s_mul_i32 s0, s18, s0
	v_lshrrev_b32_e32 v25, 5, v6
	v_add3_u32 v3, v3, s0, v11
	v_add3_u32 v5, v5, v12, v13
	v_lshlrev_b32_e32 v6, 4, v8
	v_lshlrev_b32_e32 v8, 4, v24
	s_waitcnt lgkmcnt(0)
	v_cmp_gt_i32_e64 s0, s4, v10
	v_lshlrev_b64 v[2:3], 4, v[2:3]
	v_lshlrev_b64 v[4:5], 4, v[4:5]
	v_lshl_or_b32 v26, v25, 9, v6
	v_lshl_or_b32 v6, v7, 7, v8
	v_cmp_le_i32_e64 s7, s4, v10
	v_mov_b32_e32 v10, 0
	v_add_co_u32 v27, vcc_lo, s3, v2
	v_add_co_ci_u32_e64 v28, null, s1, v3, vcc_lo
	v_cmp_gt_i32_e32 vcc_lo, s4, v9
	v_add_co_u32 v30, s1, s2, v4
	v_mov_b32_e32 v8, 0
	v_mov_b32_e32 v14, 0
	;; [unrolled: 1-line block ×7, first 2 shown]
	v_add_nc_u32_e32 v29, 0x1000, v6
	v_add_co_ci_u32_e64 v31, null, s10, v5, s1
	v_lshlrev_b32_e32 v32, 4, v0
	v_lshl_add_u32 v33, v1, 7, 0x1000
	v_mov_b32_e32 v9, 0
	v_mov_b32_e32 v11, 0
	;; [unrolled: 1-line block ×9, first 2 shown]
	s_mov_b64 s[2:3], 0
	s_xor_b32 s1, vcc_lo, -1
                                        ; implicit-def: $vgpr6_vgpr7
	s_branch .LBB255_7
.LBB255_6:                              ;   in Loop: Header=BB255_7 Depth=1
	s_or_b32 exec_lo, exec_lo, s10
	s_waitcnt lgkmcnt(0)
	s_barrier
	buffer_gl0_inv
	ds_read_b128 v[34:37], v33
	ds_read_b128 v[38:41], v33 offset:16
	ds_read_b128 v[42:45], v33 offset:32
	;; [unrolled: 1-line block ×3, first 2 shown]
	ds_read_b128 v[50:53], v32
	s_add_u32 s2, s2, 8
	s_addc_u32 s3, s3, 0
	v_cmp_gt_i64_e64 s10, s[12:13], s[2:3]
	s_and_b32 vcc_lo, exec_lo, s10
	s_waitcnt lgkmcnt(0)
	v_mul_f64 v[4:5], v[36:37], v[52:53]
	v_mul_f64 v[54:55], v[34:35], v[52:53]
	v_fma_f64 v[4:5], v[34:35], v[50:51], -v[4:5]
	v_fma_f64 v[54:55], v[36:37], v[50:51], v[54:55]
	v_add_f64 v[4:5], v[20:21], v[4:5]
	v_add_f64 v[54:55], v[54:55], v[22:23]
	ds_read_b128 v[20:23], v32 offset:256
	s_waitcnt lgkmcnt(0)
	v_mul_f64 v[56:57], v[36:37], v[22:23]
	v_fma_f64 v[56:57], v[34:35], v[20:21], -v[56:57]
	v_mul_f64 v[34:35], v[34:35], v[22:23]
	v_fma_f64 v[34:35], v[36:37], v[20:21], v[34:35]
	v_add_f64 v[36:37], v[16:17], v[56:57]
	v_add_f64 v[34:35], v[34:35], v[18:19]
	ds_read_b128 v[16:19], v33 offset:2048
	s_waitcnt lgkmcnt(0)
	v_mul_f64 v[56:57], v[18:19], v[52:53]
	v_mul_f64 v[52:53], v[16:17], v[52:53]
	v_fma_f64 v[56:57], v[16:17], v[50:51], -v[56:57]
	v_fma_f64 v[50:51], v[18:19], v[50:51], v[52:53]
	v_add_f64 v[52:53], v[12:13], v[56:57]
	v_add_f64 v[50:51], v[50:51], v[14:15]
	v_mul_f64 v[12:13], v[18:19], v[22:23]
	v_mul_f64 v[14:15], v[16:17], v[22:23]
	v_fma_f64 v[12:13], v[16:17], v[20:21], -v[12:13]
	v_fma_f64 v[14:15], v[18:19], v[20:21], v[14:15]
	v_add_f64 v[20:21], v[10:11], v[12:13]
	v_add_f64 v[22:23], v[14:15], v[8:9]
	ds_read_b128 v[8:11], v32 offset:512
	s_waitcnt lgkmcnt(0)
	v_mul_f64 v[12:13], v[40:41], v[10:11]
	v_mul_f64 v[14:15], v[38:39], v[10:11]
	v_fma_f64 v[12:13], v[38:39], v[8:9], -v[12:13]
	v_fma_f64 v[14:15], v[40:41], v[8:9], v[14:15]
	v_add_f64 v[4:5], v[4:5], v[12:13]
	v_add_f64 v[54:55], v[14:15], v[54:55]
	ds_read_b128 v[12:15], v32 offset:768
	s_waitcnt lgkmcnt(0)
	;; [unrolled: 8-line block ×3, first 2 shown]
	v_mul_f64 v[38:39], v[18:19], v[10:11]
	v_mul_f64 v[10:11], v[16:17], v[10:11]
	v_fma_f64 v[38:39], v[16:17], v[8:9], -v[38:39]
	v_fma_f64 v[8:9], v[18:19], v[8:9], v[10:11]
	v_mul_f64 v[10:11], v[16:17], v[14:15]
	v_add_f64 v[38:39], v[52:53], v[38:39]
	v_add_f64 v[40:41], v[8:9], v[50:51]
	v_mul_f64 v[8:9], v[18:19], v[14:15]
	v_fma_f64 v[10:11], v[18:19], v[12:13], v[10:11]
	v_fma_f64 v[8:9], v[16:17], v[12:13], -v[8:9]
	v_add_f64 v[22:23], v[10:11], v[22:23]
	v_add_f64 v[20:21], v[20:21], v[8:9]
	ds_read_b128 v[8:11], v32 offset:1024
	s_waitcnt lgkmcnt(0)
	v_mul_f64 v[12:13], v[44:45], v[10:11]
	v_mul_f64 v[14:15], v[42:43], v[10:11]
	v_fma_f64 v[12:13], v[42:43], v[8:9], -v[12:13]
	v_fma_f64 v[14:15], v[44:45], v[8:9], v[14:15]
	v_add_f64 v[4:5], v[4:5], v[12:13]
	v_add_f64 v[50:51], v[14:15], v[54:55]
	ds_read_b128 v[12:15], v32 offset:1280
	s_waitcnt lgkmcnt(0)
	v_mul_f64 v[16:17], v[44:45], v[14:15]
	v_mul_f64 v[18:19], v[42:43], v[14:15]
	v_fma_f64 v[16:17], v[42:43], v[12:13], -v[16:17]
	v_fma_f64 v[18:19], v[44:45], v[12:13], v[18:19]
	;; [unrolled: 8-line block ×3, first 2 shown]
	v_mul_f64 v[10:11], v[16:17], v[14:15]
	v_add_f64 v[38:39], v[38:39], v[42:43]
	v_add_f64 v[40:41], v[8:9], v[40:41]
	v_mul_f64 v[8:9], v[18:19], v[14:15]
	v_fma_f64 v[10:11], v[18:19], v[12:13], v[10:11]
	v_fma_f64 v[8:9], v[16:17], v[12:13], -v[8:9]
	v_add_f64 v[22:23], v[10:11], v[22:23]
	v_add_f64 v[20:21], v[20:21], v[8:9]
	ds_read_b128 v[8:11], v32 offset:1536
	s_waitcnt lgkmcnt(0)
	v_mul_f64 v[12:13], v[48:49], v[10:11]
	v_mul_f64 v[14:15], v[46:47], v[10:11]
	v_fma_f64 v[12:13], v[46:47], v[8:9], -v[12:13]
	v_fma_f64 v[14:15], v[48:49], v[8:9], v[14:15]
	v_add_f64 v[4:5], v[4:5], v[12:13]
	v_add_f64 v[42:43], v[14:15], v[50:51]
	ds_read_b128 v[12:15], v32 offset:1792
	s_waitcnt lgkmcnt(0)
	v_mul_f64 v[16:17], v[48:49], v[14:15]
	v_mul_f64 v[18:19], v[46:47], v[14:15]
	v_fma_f64 v[16:17], v[46:47], v[12:13], -v[16:17]
	v_fma_f64 v[18:19], v[48:49], v[12:13], v[18:19]
	;; [unrolled: 8-line block ×3, first 2 shown]
	v_mul_f64 v[10:11], v[16:17], v[14:15]
	v_add_f64 v[38:39], v[38:39], v[44:45]
	v_add_f64 v[40:41], v[8:9], v[40:41]
	v_mul_f64 v[8:9], v[18:19], v[14:15]
	v_fma_f64 v[10:11], v[18:19], v[12:13], v[10:11]
	v_fma_f64 v[8:9], v[16:17], v[12:13], -v[8:9]
	v_add_f64 v[22:23], v[10:11], v[22:23]
	v_add_f64 v[20:21], v[20:21], v[8:9]
	ds_read_b128 v[8:11], v33 offset:64
	ds_read_b128 v[12:15], v32 offset:2048
	s_waitcnt lgkmcnt(0)
	v_mul_f64 v[16:17], v[10:11], v[14:15]
	v_mul_f64 v[18:19], v[8:9], v[14:15]
	v_fma_f64 v[16:17], v[8:9], v[12:13], -v[16:17]
	v_fma_f64 v[18:19], v[10:11], v[12:13], v[18:19]
	v_add_f64 v[4:5], v[4:5], v[16:17]
	v_add_f64 v[42:43], v[18:19], v[42:43]
	ds_read_b128 v[16:19], v32 offset:2304
	s_waitcnt lgkmcnt(0)
	v_mul_f64 v[44:45], v[10:11], v[18:19]
	v_fma_f64 v[44:45], v[8:9], v[16:17], -v[44:45]
	v_mul_f64 v[8:9], v[8:9], v[18:19]
	v_add_f64 v[36:37], v[36:37], v[44:45]
	v_fma_f64 v[8:9], v[10:11], v[16:17], v[8:9]
	v_add_f64 v[34:35], v[8:9], v[34:35]
	ds_read_b128 v[8:11], v33 offset:2112
	s_waitcnt lgkmcnt(0)
	v_mul_f64 v[44:45], v[10:11], v[14:15]
	v_mul_f64 v[14:15], v[8:9], v[14:15]
	v_fma_f64 v[44:45], v[8:9], v[12:13], -v[44:45]
	v_fma_f64 v[12:13], v[10:11], v[12:13], v[14:15]
	v_add_f64 v[38:39], v[38:39], v[44:45]
	v_add_f64 v[40:41], v[12:13], v[40:41]
	v_mul_f64 v[12:13], v[10:11], v[18:19]
	v_fma_f64 v[12:13], v[8:9], v[16:17], -v[12:13]
	v_mul_f64 v[8:9], v[8:9], v[18:19]
	v_add_f64 v[20:21], v[20:21], v[12:13]
	v_fma_f64 v[8:9], v[10:11], v[16:17], v[8:9]
	v_add_f64 v[22:23], v[8:9], v[22:23]
	ds_read_b128 v[8:11], v33 offset:80
	ds_read_b128 v[12:15], v32 offset:2560
	s_waitcnt lgkmcnt(0)
	v_mul_f64 v[16:17], v[10:11], v[14:15]
	v_mul_f64 v[18:19], v[8:9], v[14:15]
	v_fma_f64 v[16:17], v[8:9], v[12:13], -v[16:17]
	v_fma_f64 v[18:19], v[10:11], v[12:13], v[18:19]
	v_add_f64 v[4:5], v[4:5], v[16:17]
	v_add_f64 v[42:43], v[18:19], v[42:43]
	ds_read_b128 v[16:19], v32 offset:2816
	s_waitcnt lgkmcnt(0)
	v_mul_f64 v[44:45], v[10:11], v[18:19]
	v_fma_f64 v[44:45], v[8:9], v[16:17], -v[44:45]
	v_mul_f64 v[8:9], v[8:9], v[18:19]
	v_add_f64 v[36:37], v[36:37], v[44:45]
	v_fma_f64 v[8:9], v[10:11], v[16:17], v[8:9]
	v_add_f64 v[34:35], v[8:9], v[34:35]
	ds_read_b128 v[8:11], v33 offset:2128
	s_waitcnt lgkmcnt(0)
	v_mul_f64 v[44:45], v[10:11], v[14:15]
	v_mul_f64 v[14:15], v[8:9], v[14:15]
	v_fma_f64 v[44:45], v[8:9], v[12:13], -v[44:45]
	v_fma_f64 v[12:13], v[10:11], v[12:13], v[14:15]
	v_add_f64 v[38:39], v[38:39], v[44:45]
	v_add_f64 v[40:41], v[12:13], v[40:41]
	v_mul_f64 v[12:13], v[10:11], v[18:19]
	v_fma_f64 v[12:13], v[8:9], v[16:17], -v[12:13]
	v_mul_f64 v[8:9], v[8:9], v[18:19]
	v_add_f64 v[20:21], v[20:21], v[12:13]
	v_fma_f64 v[8:9], v[10:11], v[16:17], v[8:9]
	;; [unrolled: 31-line block ×3, first 2 shown]
	v_add_f64 v[50:51], v[8:9], v[22:23]
	ds_read_b128 v[8:11], v33 offset:112
	ds_read_b128 v[12:15], v32 offset:3584
	;; [unrolled: 1-line block ×3, first 2 shown]
	s_waitcnt lgkmcnt(1)
	v_mul_f64 v[16:17], v[10:11], v[14:15]
	v_mul_f64 v[18:19], v[8:9], v[14:15]
	v_fma_f64 v[16:17], v[8:9], v[12:13], -v[16:17]
	v_fma_f64 v[18:19], v[10:11], v[12:13], v[18:19]
	v_add_f64 v[20:21], v[4:5], v[16:17]
	s_waitcnt lgkmcnt(0)
	v_mul_f64 v[4:5], v[10:11], v[36:37]
	v_add_f64 v[22:23], v[18:19], v[42:43]
	v_fma_f64 v[4:5], v[8:9], v[34:35], -v[4:5]
	v_mul_f64 v[8:9], v[8:9], v[36:37]
	v_add_f64 v[16:17], v[44:45], v[4:5]
	v_fma_f64 v[8:9], v[10:11], v[34:35], v[8:9]
	v_add_f64 v[18:19], v[8:9], v[46:47]
	ds_read_b128 v[8:11], v33 offset:2160
	s_waitcnt lgkmcnt(0)
	s_barrier
	buffer_gl0_inv
	v_mul_f64 v[4:5], v[10:11], v[14:15]
	v_mul_f64 v[14:15], v[8:9], v[14:15]
	v_fma_f64 v[4:5], v[8:9], v[12:13], -v[4:5]
	v_fma_f64 v[14:15], v[10:11], v[12:13], v[14:15]
	v_add_f64 v[12:13], v[38:39], v[4:5]
	v_mul_f64 v[4:5], v[10:11], v[36:37]
	v_add_f64 v[14:15], v[14:15], v[40:41]
	v_fma_f64 v[4:5], v[8:9], v[34:35], -v[4:5]
	v_mul_f64 v[8:9], v[8:9], v[36:37]
	v_fma_f64 v[8:9], v[10:11], v[34:35], v[8:9]
	v_add_f64 v[10:11], v[48:49], v[4:5]
	v_add_f64 v[8:9], v[8:9], v[50:51]
	s_cbranch_vccz .LBB255_17
.LBB255_7:                              ; =>This Inner Loop Header: Depth=1
	s_mov_b32 s14, s7
	s_mov_b32 s10, 0
	s_and_saveexec_b32 s11, s0
	s_cbranch_execnz .LBB255_15
; %bb.8:                                ;   in Loop: Header=BB255_7 Depth=1
	s_or_b32 exec_lo, exec_lo, s11
	s_and_saveexec_b32 s11, s14
	s_xor_b32 s11, exec_lo, s11
	s_cbranch_execnz .LBB255_16
.LBB255_9:                              ;   in Loop: Header=BB255_7 Depth=1
	s_or_b32 exec_lo, exec_lo, s11
	s_and_saveexec_b32 s11, s10
	s_cbranch_execz .LBB255_11
.LBB255_10:                             ;   in Loop: Header=BB255_7 Depth=1
	v_lshlrev_b64 v[4:5], 4, v[6:7]
	v_add_co_u32 v4, vcc_lo, v27, v4
	v_add_co_ci_u32_e64 v5, null, v28, v5, vcc_lo
	global_load_dwordx4 v[34:37], v[4:5], off
	s_waitcnt vmcnt(0)
	ds_write2_b64 v26, v[34:35], v[36:37] offset1:1
.LBB255_11:                             ;   in Loop: Header=BB255_7 Depth=1
	s_or_b32 exec_lo, exec_lo, s11
	v_add_nc_u32_e32 v2, s2, v24
	v_cmp_le_u64_e32 vcc_lo, s[12:13], v[2:3]
	s_or_b32 s10, vcc_lo, s1
	s_and_saveexec_b32 s11, s10
	s_xor_b32 s10, exec_lo, s11
	s_cbranch_execz .LBB255_13
; %bb.12:                               ;   in Loop: Header=BB255_7 Depth=1
	v_mov_b32_e32 v2, v3
	v_mov_b32_e32 v4, v3
	;; [unrolled: 1-line block ×3, first 2 shown]
	ds_write_b128 v29, v[2:5]
.LBB255_13:                             ;   in Loop: Header=BB255_7 Depth=1
	s_andn2_saveexec_b32 s10, s10
	s_cbranch_execz .LBB255_6
; %bb.14:                               ;   in Loop: Header=BB255_7 Depth=1
	v_lshlrev_b64 v[4:5], 4, v[2:3]
	v_add_co_u32 v4, vcc_lo, v30, v4
	v_add_co_ci_u32_e64 v5, null, v31, v5, vcc_lo
	global_load_dwordx4 v[34:37], v[4:5], off
	s_waitcnt vmcnt(0)
	ds_write2_b64 v29, v[34:35], v[36:37] offset1:1
	s_branch .LBB255_6
.LBB255_15:                             ;   in Loop: Header=BB255_7 Depth=1
	v_add_nc_u32_e32 v2, s2, v25
	v_mov_b32_e32 v7, v3
	s_andn2_b32 s14, s7, exec_lo
	s_mov_b32 s10, exec_lo
	v_cmp_le_u64_e32 vcc_lo, s[12:13], v[2:3]
	v_mov_b32_e32 v6, v2
	s_and_b32 s15, vcc_lo, exec_lo
	s_or_b32 s14, s14, s15
	s_or_b32 exec_lo, exec_lo, s11
	s_and_saveexec_b32 s11, s14
	s_xor_b32 s11, exec_lo, s11
	s_cbranch_execz .LBB255_9
.LBB255_16:                             ;   in Loop: Header=BB255_7 Depth=1
	v_mov_b32_e32 v2, v3
	v_mov_b32_e32 v4, v3
	;; [unrolled: 1-line block ×3, first 2 shown]
	s_andn2_b32 s10, s10, exec_lo
	ds_write_b128 v26, v[2:5]
	s_or_b32 exec_lo, exec_lo, s11
	s_and_saveexec_b32 s11, s10
	s_cbranch_execnz .LBB255_10
	s_branch .LBB255_11
.LBB255_17:
	v_add_nc_u32_e32 v25, s6, v1
	v_cmp_neq_f64_e64 s6, s[28:29], 0
	s_mul_i32 s1, s43, s8
	s_mul_hi_u32 s2, s42, s8
	s_mul_i32 s0, s42, s8
	v_ashrrev_i32_e32 v3, 31, v25
	v_mul_lo_u32 v5, s41, v25
	v_mad_u64_u32 v[1:2], null, s40, v25, 0
	s_add_i32 s1, s2, s1
	v_mul_lo_u32 v3, s40, v3
	v_add_nc_u32_e32 v4, s5, v0
	s_lshl_b64 s[2:3], s[0:1], 4
	s_waitcnt lgkmcnt(0)
	v_cmp_gt_i32_e64 s0, s4, v25
	s_add_u32 s2, s38, s2
	s_addc_u32 s3, s39, s3
	s_xor_b32 s5, s9, -1
	v_cmp_le_i32_e32 vcc_lo, v4, v25
	v_add3_u32 v2, v2, v3, v5
	v_ashrrev_i32_e32 v5, 31, v4
	s_or_b32 s5, s6, s5
	v_lshlrev_b64 v[0:1], 4, v[1:2]
	v_cndmask_b32_e64 v24, 0, 1, s5
	s_and_b32 s6, s0, vcc_lo
	v_add_co_u32 v26, s1, s2, v0
	v_add_co_ci_u32_e64 v27, null, s3, v1, s1
	s_and_saveexec_b32 s1, s6
	s_cbranch_execz .LBB255_21
; %bb.18:
	v_mul_f64 v[0:1], s[46:47], v[22:23]
	v_mul_f64 v[2:3], s[44:45], v[22:23]
	v_lshlrev_b64 v[6:7], 4, v[4:5]
	v_add_co_u32 v6, vcc_lo, v26, v6
	v_add_co_ci_u32_e64 v7, null, v27, v7, vcc_lo
	s_andn2_b32 vcc_lo, exec_lo, s5
	v_fma_f64 v[0:1], s[44:45], v[20:21], -v[0:1]
	v_fma_f64 v[2:3], s[46:47], v[20:21], v[2:3]
	s_cbranch_vccnz .LBB255_20
; %bb.19:
	global_load_dwordx4 v[20:23], v[6:7], off
	s_waitcnt vmcnt(0)
	v_mul_f64 v[28:29], s[30:31], v[22:23]
	v_mul_f64 v[22:23], s[28:29], v[22:23]
	v_fma_f64 v[28:29], s[28:29], v[20:21], -v[28:29]
	v_fma_f64 v[20:21], s[30:31], v[20:21], v[22:23]
	v_add_f64 v[0:1], v[0:1], v[28:29]
	v_add_f64 v[2:3], v[2:3], v[20:21]
.LBB255_20:
	global_store_dwordx4 v[6:7], v[0:3], off
.LBB255_21:
	s_or_b32 exec_lo, exec_lo, s1
	v_add_nc_u32_e32 v6, 16, v4
	v_cmp_le_i32_e32 vcc_lo, v6, v25
	v_ashrrev_i32_e32 v7, 31, v6
	s_and_b32 s0, s0, vcc_lo
	s_and_saveexec_b32 s1, s0
	s_cbranch_execz .LBB255_25
; %bb.22:
	v_mul_f64 v[0:1], s[46:47], v[18:19]
	v_mul_f64 v[2:3], s[44:45], v[18:19]
	v_cmp_ne_u32_e32 vcc_lo, 1, v24
	s_and_b32 vcc_lo, exec_lo, vcc_lo
	v_fma_f64 v[0:1], s[44:45], v[16:17], -v[0:1]
	v_fma_f64 v[2:3], s[46:47], v[16:17], v[2:3]
	v_lshlrev_b64 v[16:17], 4, v[6:7]
	v_add_co_u32 v16, s0, v26, v16
	v_add_co_ci_u32_e64 v17, null, v27, v17, s0
	s_cbranch_vccnz .LBB255_24
; %bb.23:
	global_load_dwordx4 v[18:21], v[16:17], off
	s_waitcnt vmcnt(0)
	v_mul_f64 v[22:23], s[30:31], v[20:21]
	v_mul_f64 v[20:21], s[28:29], v[20:21]
	v_fma_f64 v[22:23], s[28:29], v[18:19], -v[22:23]
	v_fma_f64 v[18:19], s[30:31], v[18:19], v[20:21]
	v_add_f64 v[0:1], v[0:1], v[22:23]
	v_add_f64 v[2:3], v[2:3], v[18:19]
.LBB255_24:
	global_store_dwordx4 v[16:17], v[0:3], off
.LBB255_25:
	s_or_b32 exec_lo, exec_lo, s1
	v_add_nc_u32_e32 v18, 16, v25
	v_ashrrev_i32_e32 v2, 31, v18
	v_mul_lo_u32 v3, s41, v18
	v_mad_u64_u32 v[0:1], null, s40, v18, 0
	v_cmp_gt_i32_e64 s0, s4, v18
	v_mul_lo_u32 v2, s40, v2
	v_cmp_le_i32_e32 vcc_lo, v4, v18
	v_add3_u32 v1, v1, v2, v3
	v_lshlrev_b64 v[0:1], 4, v[0:1]
	v_add_co_u32 v16, s1, s2, v0
	v_add_co_ci_u32_e64 v17, null, s3, v1, s1
	s_and_b32 s1, s0, vcc_lo
	s_and_saveexec_b32 s2, s1
	s_cbranch_execz .LBB255_29
; %bb.26:
	v_mul_f64 v[0:1], s[46:47], v[14:15]
	v_mul_f64 v[2:3], s[44:45], v[14:15]
	v_lshlrev_b64 v[4:5], 4, v[4:5]
	v_cmp_ne_u32_e32 vcc_lo, 1, v24
	s_and_b32 vcc_lo, exec_lo, vcc_lo
	v_add_co_u32 v4, s1, v16, v4
	v_add_co_ci_u32_e64 v5, null, v17, v5, s1
	v_fma_f64 v[0:1], s[44:45], v[12:13], -v[0:1]
	v_fma_f64 v[2:3], s[46:47], v[12:13], v[2:3]
	s_cbranch_vccnz .LBB255_28
; %bb.27:
	global_load_dwordx4 v[12:15], v[4:5], off
	s_waitcnt vmcnt(0)
	v_mul_f64 v[19:20], s[30:31], v[14:15]
	v_mul_f64 v[14:15], s[28:29], v[14:15]
	v_fma_f64 v[19:20], s[28:29], v[12:13], -v[19:20]
	v_fma_f64 v[12:13], s[30:31], v[12:13], v[14:15]
	v_add_f64 v[0:1], v[0:1], v[19:20]
	v_add_f64 v[2:3], v[2:3], v[12:13]
.LBB255_28:
	global_store_dwordx4 v[4:5], v[0:3], off
.LBB255_29:
	s_or_b32 exec_lo, exec_lo, s2
	v_cmp_le_i32_e32 vcc_lo, v6, v18
	s_and_b32 s0, s0, vcc_lo
	s_and_saveexec_b32 s1, s0
	s_cbranch_execz .LBB255_34
; %bb.30:
	v_mul_f64 v[0:1], s[46:47], v[8:9]
	v_mul_f64 v[2:3], s[44:45], v[8:9]
	v_lshlrev_b64 v[4:5], 4, v[6:7]
	v_cmp_ne_u32_e32 vcc_lo, 1, v24
	s_and_b32 vcc_lo, exec_lo, vcc_lo
	v_add_co_u32 v4, s0, v16, v4
	v_add_co_ci_u32_e64 v5, null, v17, v5, s0
	v_fma_f64 v[0:1], s[44:45], v[10:11], -v[0:1]
	v_fma_f64 v[2:3], s[46:47], v[10:11], v[2:3]
	s_cbranch_vccnz .LBB255_32
; %bb.31:
	global_load_dwordx4 v[6:9], v[4:5], off
	s_waitcnt vmcnt(0)
	v_mul_f64 v[10:11], s[30:31], v[8:9]
	v_mul_f64 v[8:9], s[28:29], v[8:9]
	v_fma_f64 v[10:11], s[28:29], v[6:7], -v[10:11]
	v_fma_f64 v[6:7], s[30:31], v[6:7], v[8:9]
	v_add_f64 v[0:1], v[0:1], v[10:11]
	v_add_f64 v[2:3], v[2:3], v[6:7]
.LBB255_32:
	global_store_dwordx4 v[4:5], v[0:3], off
	s_endpgm
.LBB255_33:
.LBB255_34:
	s_endpgm
	.section	.rodata,"a",@progbits
	.p2align	6, 0x0
	.amdhsa_kernel _ZL29rocblas_internal_gemmt_kernelIlLi16ELi32ELi8ELc84ELc78ELc85ELb0ELb0E19rocblas_complex_numIdEPKS1_S3_PS1_EviT_T9_T10_S5_lS7_S5_lS6_T11_S5_li
		.amdhsa_group_segment_fixed_size 8192
		.amdhsa_private_segment_fixed_size 0
		.amdhsa_kernarg_size 108
		.amdhsa_user_sgpr_count 6
		.amdhsa_user_sgpr_private_segment_buffer 1
		.amdhsa_user_sgpr_dispatch_ptr 0
		.amdhsa_user_sgpr_queue_ptr 0
		.amdhsa_user_sgpr_kernarg_segment_ptr 1
		.amdhsa_user_sgpr_dispatch_id 0
		.amdhsa_user_sgpr_flat_scratch_init 0
		.amdhsa_user_sgpr_private_segment_size 0
		.amdhsa_wavefront_size32 1
		.amdhsa_uses_dynamic_stack 0
		.amdhsa_system_sgpr_private_segment_wavefront_offset 0
		.amdhsa_system_sgpr_workgroup_id_x 1
		.amdhsa_system_sgpr_workgroup_id_y 1
		.amdhsa_system_sgpr_workgroup_id_z 1
		.amdhsa_system_sgpr_workgroup_info 0
		.amdhsa_system_vgpr_workitem_id 1
		.amdhsa_next_free_vgpr 58
		.amdhsa_next_free_sgpr 48
		.amdhsa_reserve_vcc 1
		.amdhsa_reserve_flat_scratch 0
		.amdhsa_float_round_mode_32 0
		.amdhsa_float_round_mode_16_64 0
		.amdhsa_float_denorm_mode_32 3
		.amdhsa_float_denorm_mode_16_64 3
		.amdhsa_dx10_clamp 1
		.amdhsa_ieee_mode 1
		.amdhsa_fp16_overflow 0
		.amdhsa_workgroup_processor_mode 1
		.amdhsa_memory_ordered 1
		.amdhsa_forward_progress 1
		.amdhsa_shared_vgpr_count 0
		.amdhsa_exception_fp_ieee_invalid_op 0
		.amdhsa_exception_fp_denorm_src 0
		.amdhsa_exception_fp_ieee_div_zero 0
		.amdhsa_exception_fp_ieee_overflow 0
		.amdhsa_exception_fp_ieee_underflow 0
		.amdhsa_exception_fp_ieee_inexact 0
		.amdhsa_exception_int_div_zero 0
	.end_amdhsa_kernel
	.section	.text._ZL29rocblas_internal_gemmt_kernelIlLi16ELi32ELi8ELc84ELc78ELc85ELb0ELb0E19rocblas_complex_numIdEPKS1_S3_PS1_EviT_T9_T10_S5_lS7_S5_lS6_T11_S5_li,"axG",@progbits,_ZL29rocblas_internal_gemmt_kernelIlLi16ELi32ELi8ELc84ELc78ELc85ELb0ELb0E19rocblas_complex_numIdEPKS1_S3_PS1_EviT_T9_T10_S5_lS7_S5_lS6_T11_S5_li,comdat
.Lfunc_end255:
	.size	_ZL29rocblas_internal_gemmt_kernelIlLi16ELi32ELi8ELc84ELc78ELc85ELb0ELb0E19rocblas_complex_numIdEPKS1_S3_PS1_EviT_T9_T10_S5_lS7_S5_lS6_T11_S5_li, .Lfunc_end255-_ZL29rocblas_internal_gemmt_kernelIlLi16ELi32ELi8ELc84ELc78ELc85ELb0ELb0E19rocblas_complex_numIdEPKS1_S3_PS1_EviT_T9_T10_S5_lS7_S5_lS6_T11_S5_li
                                        ; -- End function
	.set _ZL29rocblas_internal_gemmt_kernelIlLi16ELi32ELi8ELc84ELc78ELc85ELb0ELb0E19rocblas_complex_numIdEPKS1_S3_PS1_EviT_T9_T10_S5_lS7_S5_lS6_T11_S5_li.num_vgpr, 58
	.set _ZL29rocblas_internal_gemmt_kernelIlLi16ELi32ELi8ELc84ELc78ELc85ELb0ELb0E19rocblas_complex_numIdEPKS1_S3_PS1_EviT_T9_T10_S5_lS7_S5_lS6_T11_S5_li.num_agpr, 0
	.set _ZL29rocblas_internal_gemmt_kernelIlLi16ELi32ELi8ELc84ELc78ELc85ELb0ELb0E19rocblas_complex_numIdEPKS1_S3_PS1_EviT_T9_T10_S5_lS7_S5_lS6_T11_S5_li.numbered_sgpr, 48
	.set _ZL29rocblas_internal_gemmt_kernelIlLi16ELi32ELi8ELc84ELc78ELc85ELb0ELb0E19rocblas_complex_numIdEPKS1_S3_PS1_EviT_T9_T10_S5_lS7_S5_lS6_T11_S5_li.num_named_barrier, 0
	.set _ZL29rocblas_internal_gemmt_kernelIlLi16ELi32ELi8ELc84ELc78ELc85ELb0ELb0E19rocblas_complex_numIdEPKS1_S3_PS1_EviT_T9_T10_S5_lS7_S5_lS6_T11_S5_li.private_seg_size, 0
	.set _ZL29rocblas_internal_gemmt_kernelIlLi16ELi32ELi8ELc84ELc78ELc85ELb0ELb0E19rocblas_complex_numIdEPKS1_S3_PS1_EviT_T9_T10_S5_lS7_S5_lS6_T11_S5_li.uses_vcc, 1
	.set _ZL29rocblas_internal_gemmt_kernelIlLi16ELi32ELi8ELc84ELc78ELc85ELb0ELb0E19rocblas_complex_numIdEPKS1_S3_PS1_EviT_T9_T10_S5_lS7_S5_lS6_T11_S5_li.uses_flat_scratch, 0
	.set _ZL29rocblas_internal_gemmt_kernelIlLi16ELi32ELi8ELc84ELc78ELc85ELb0ELb0E19rocblas_complex_numIdEPKS1_S3_PS1_EviT_T9_T10_S5_lS7_S5_lS6_T11_S5_li.has_dyn_sized_stack, 0
	.set _ZL29rocblas_internal_gemmt_kernelIlLi16ELi32ELi8ELc84ELc78ELc85ELb0ELb0E19rocblas_complex_numIdEPKS1_S3_PS1_EviT_T9_T10_S5_lS7_S5_lS6_T11_S5_li.has_recursion, 0
	.set _ZL29rocblas_internal_gemmt_kernelIlLi16ELi32ELi8ELc84ELc78ELc85ELb0ELb0E19rocblas_complex_numIdEPKS1_S3_PS1_EviT_T9_T10_S5_lS7_S5_lS6_T11_S5_li.has_indirect_call, 0
	.section	.AMDGPU.csdata,"",@progbits
; Kernel info:
; codeLenInByte = 3656
; TotalNumSgprs: 50
; NumVgprs: 58
; ScratchSize: 0
; MemoryBound: 0
; FloatMode: 240
; IeeeMode: 1
; LDSByteSize: 8192 bytes/workgroup (compile time only)
; SGPRBlocks: 0
; VGPRBlocks: 7
; NumSGPRsForWavesPerEU: 50
; NumVGPRsForWavesPerEU: 58
; Occupancy: 16
; WaveLimiterHint : 0
; COMPUTE_PGM_RSRC2:SCRATCH_EN: 0
; COMPUTE_PGM_RSRC2:USER_SGPR: 6
; COMPUTE_PGM_RSRC2:TRAP_HANDLER: 0
; COMPUTE_PGM_RSRC2:TGID_X_EN: 1
; COMPUTE_PGM_RSRC2:TGID_Y_EN: 1
; COMPUTE_PGM_RSRC2:TGID_Z_EN: 1
; COMPUTE_PGM_RSRC2:TIDIG_COMP_CNT: 1
	.section	.text._ZL29rocblas_internal_gemmt_kernelIlLi16ELi32ELi8ELc84ELc84ELc85ELb0ELb0E19rocblas_complex_numIdEPKS1_S3_PS1_EviT_T9_T10_S5_lS7_S5_lS6_T11_S5_li,"axG",@progbits,_ZL29rocblas_internal_gemmt_kernelIlLi16ELi32ELi8ELc84ELc84ELc85ELb0ELb0E19rocblas_complex_numIdEPKS1_S3_PS1_EviT_T9_T10_S5_lS7_S5_lS6_T11_S5_li,comdat
	.globl	_ZL29rocblas_internal_gemmt_kernelIlLi16ELi32ELi8ELc84ELc84ELc85ELb0ELb0E19rocblas_complex_numIdEPKS1_S3_PS1_EviT_T9_T10_S5_lS7_S5_lS6_T11_S5_li ; -- Begin function _ZL29rocblas_internal_gemmt_kernelIlLi16ELi32ELi8ELc84ELc84ELc85ELb0ELb0E19rocblas_complex_numIdEPKS1_S3_PS1_EviT_T9_T10_S5_lS7_S5_lS6_T11_S5_li
	.p2align	8
	.type	_ZL29rocblas_internal_gemmt_kernelIlLi16ELi32ELi8ELc84ELc84ELc85ELb0ELb0E19rocblas_complex_numIdEPKS1_S3_PS1_EviT_T9_T10_S5_lS7_S5_lS6_T11_S5_li,@function
_ZL29rocblas_internal_gemmt_kernelIlLi16ELi32ELi8ELc84ELc84ELc85ELb0ELb0E19rocblas_complex_numIdEPKS1_S3_PS1_EviT_T9_T10_S5_lS7_S5_lS6_T11_S5_li: ; @_ZL29rocblas_internal_gemmt_kernelIlLi16ELi32ELi8ELc84ELc84ELc85ELb0ELb0E19rocblas_complex_numIdEPKS1_S3_PS1_EviT_T9_T10_S5_lS7_S5_lS6_T11_S5_li
; %bb.0:
	s_load_dwordx8 s[36:43], s[4:5], 0x48
	s_waitcnt lgkmcnt(0)
	s_load_dwordx4 s[28:31], s[36:37], 0x0
	s_load_dwordx16 s[12:27], s[4:5], 0x8
	s_waitcnt lgkmcnt(0)
	v_cmp_eq_f64_e64 s0, s[28:29], 1.0
	v_cmp_eq_f64_e64 s9, s[30:31], 0
	s_load_dwordx4 s[44:47], s[14:15], 0x0
	s_and_b32 s0, s0, s9
	s_andn2_b32 vcc_lo, exec_lo, s0
	s_mov_b32 s0, -1
	s_cbranch_vccnz .LBB256_3
; %bb.1:
	s_cmp_lg_u64 s[12:13], 0
	s_cbranch_scc0 .LBB256_33
; %bb.2:
	s_waitcnt lgkmcnt(0)
	v_cmp_neq_f64_e64 s0, s[44:45], 0
	v_cmp_neq_f64_e64 s1, s[46:47], 0
	s_or_b32 s0, s0, s1
.LBB256_3:
	s_and_b32 vcc_lo, exec_lo, s0
	s_cbranch_vccz .LBB256_34
; %bb.4:
	s_waitcnt lgkmcnt(0)
	v_cmp_eq_f64_e64 s0, s[44:45], 0
	v_cmp_eq_f64_e64 s1, s[46:47], 0
	s_load_dword s4, s[4:5], 0x0
	v_cmp_lt_i64_e64 s2, s[12:13], 1
	v_mov_b32_e32 v20, 0
	v_mov_b32_e32 v22, 0
	;; [unrolled: 1-line block ×16, first 2 shown]
	s_lshl_b32 s5, s6, 5
	s_lshl_b32 s6, s7, 5
	s_and_b32 s0, s0, s1
	s_or_b32 s0, s0, s2
	s_and_b32 vcc_lo, exec_lo, s0
	s_cbranch_vccnz .LBB256_17
; %bb.5:
	v_lshl_add_u32 v4, v1, 4, v0
	s_mul_i32 s1, s27, s8
	s_mul_hi_u32 s2, s26, s8
	s_mul_i32 s0, s26, s8
	s_add_i32 s1, s2, s1
	v_and_b32_e32 v5, 31, v4
	s_lshl_b64 s[0:1], s[0:1], 4
	s_mul_i32 s2, s21, s8
	s_mul_hi_u32 s3, s20, s8
	s_add_u32 s10, s22, s0
	v_or_b32_e32 v6, s5, v5
	s_addc_u32 s11, s23, s1
	s_add_i32 s1, s3, s2
	s_mul_i32 s0, s20, s8
	v_lshrrev_b32_e32 v8, 3, v4
	v_mul_lo_u32 v7, s19, v6
	v_mad_u64_u32 v[2:3], null, s18, v6, 0
	s_lshl_b64 s[0:1], s[0:1], 4
	v_lshrrev_b32_e32 v25, 5, v4
	s_add_u32 s2, s16, s0
	s_addc_u32 s1, s17, s1
	s_ashr_i32 s0, s5, 31
	v_add_nc_u32_e32 v4, s6, v8
	s_mul_i32 s0, s18, s0
	v_and_b32_e32 v24, 7, v0
	v_add3_u32 v3, v3, s0, v7
	v_lshlrev_b32_e32 v7, 4, v5
	v_ashrrev_i32_e32 v5, 31, v4
	s_waitcnt lgkmcnt(0)
	v_cmp_gt_i32_e64 s0, s4, v6
	v_lshlrev_b32_e32 v9, 4, v24
	v_lshlrev_b64 v[2:3], 4, v[2:3]
	v_cmp_le_i32_e64 s7, s4, v6
	v_lshlrev_b64 v[5:6], 4, v[4:5]
	v_lshl_or_b32 v26, v25, 9, v7
	v_lshl_or_b32 v7, v8, 7, v9
	v_mov_b32_e32 v8, 0
	v_add_co_u32 v27, vcc_lo, s2, v2
	v_add_co_ci_u32_e64 v28, null, s1, v3, vcc_lo
	v_cmp_gt_i32_e32 vcc_lo, s4, v4
	v_add_co_u32 v30, s1, s10, v5
	v_mov_b32_e32 v10, 0
	v_mov_b32_e32 v14, 0
	;; [unrolled: 1-line block ×7, first 2 shown]
	v_add_nc_u32_e32 v29, 0x1000, v7
	v_add_co_ci_u32_e64 v31, null, s11, v6, s1
	v_lshlrev_b32_e32 v32, 4, v0
	v_lshl_add_u32 v33, v1, 7, 0x1000
	v_mov_b32_e32 v9, 0
	v_mov_b32_e32 v11, 0
	;; [unrolled: 1-line block ×9, first 2 shown]
	s_mov_b64 s[2:3], 0
	s_xor_b32 s1, vcc_lo, -1
                                        ; implicit-def: $vgpr6_vgpr7
	s_branch .LBB256_7
.LBB256_6:                              ;   in Loop: Header=BB256_7 Depth=1
	s_or_b32 exec_lo, exec_lo, s10
	s_waitcnt lgkmcnt(0)
	s_barrier
	buffer_gl0_inv
	ds_read_b128 v[34:37], v33
	ds_read_b128 v[38:41], v33 offset:16
	ds_read_b128 v[42:45], v33 offset:32
	;; [unrolled: 1-line block ×3, first 2 shown]
	ds_read_b128 v[50:53], v32
	s_add_u32 s2, s2, 8
	s_addc_u32 s3, s3, 0
	v_cmp_gt_i64_e64 s10, s[12:13], s[2:3]
	s_and_b32 vcc_lo, exec_lo, s10
	s_waitcnt lgkmcnt(0)
	v_mul_f64 v[4:5], v[36:37], v[52:53]
	v_mul_f64 v[54:55], v[34:35], v[52:53]
	v_fma_f64 v[4:5], v[34:35], v[50:51], -v[4:5]
	v_fma_f64 v[54:55], v[36:37], v[50:51], v[54:55]
	v_add_f64 v[4:5], v[20:21], v[4:5]
	v_add_f64 v[54:55], v[54:55], v[22:23]
	ds_read_b128 v[20:23], v32 offset:256
	s_waitcnt lgkmcnt(0)
	v_mul_f64 v[56:57], v[36:37], v[22:23]
	v_fma_f64 v[56:57], v[34:35], v[20:21], -v[56:57]
	v_mul_f64 v[34:35], v[34:35], v[22:23]
	v_fma_f64 v[34:35], v[36:37], v[20:21], v[34:35]
	v_add_f64 v[36:37], v[16:17], v[56:57]
	v_add_f64 v[34:35], v[34:35], v[18:19]
	ds_read_b128 v[16:19], v33 offset:2048
	s_waitcnt lgkmcnt(0)
	v_mul_f64 v[56:57], v[18:19], v[52:53]
	v_mul_f64 v[52:53], v[16:17], v[52:53]
	v_fma_f64 v[56:57], v[16:17], v[50:51], -v[56:57]
	v_fma_f64 v[50:51], v[18:19], v[50:51], v[52:53]
	v_add_f64 v[52:53], v[12:13], v[56:57]
	v_add_f64 v[50:51], v[50:51], v[14:15]
	v_mul_f64 v[12:13], v[18:19], v[22:23]
	v_mul_f64 v[14:15], v[16:17], v[22:23]
	v_fma_f64 v[12:13], v[16:17], v[20:21], -v[12:13]
	v_fma_f64 v[14:15], v[18:19], v[20:21], v[14:15]
	v_add_f64 v[20:21], v[10:11], v[12:13]
	v_add_f64 v[22:23], v[14:15], v[8:9]
	ds_read_b128 v[8:11], v32 offset:512
	s_waitcnt lgkmcnt(0)
	v_mul_f64 v[12:13], v[40:41], v[10:11]
	v_mul_f64 v[14:15], v[38:39], v[10:11]
	v_fma_f64 v[12:13], v[38:39], v[8:9], -v[12:13]
	v_fma_f64 v[14:15], v[40:41], v[8:9], v[14:15]
	v_add_f64 v[4:5], v[4:5], v[12:13]
	v_add_f64 v[54:55], v[14:15], v[54:55]
	ds_read_b128 v[12:15], v32 offset:768
	s_waitcnt lgkmcnt(0)
	;; [unrolled: 8-line block ×3, first 2 shown]
	v_mul_f64 v[38:39], v[18:19], v[10:11]
	v_mul_f64 v[10:11], v[16:17], v[10:11]
	v_fma_f64 v[38:39], v[16:17], v[8:9], -v[38:39]
	v_fma_f64 v[8:9], v[18:19], v[8:9], v[10:11]
	v_mul_f64 v[10:11], v[16:17], v[14:15]
	v_add_f64 v[38:39], v[52:53], v[38:39]
	v_add_f64 v[40:41], v[8:9], v[50:51]
	v_mul_f64 v[8:9], v[18:19], v[14:15]
	v_fma_f64 v[10:11], v[18:19], v[12:13], v[10:11]
	v_fma_f64 v[8:9], v[16:17], v[12:13], -v[8:9]
	v_add_f64 v[22:23], v[10:11], v[22:23]
	v_add_f64 v[20:21], v[20:21], v[8:9]
	ds_read_b128 v[8:11], v32 offset:1024
	s_waitcnt lgkmcnt(0)
	v_mul_f64 v[12:13], v[44:45], v[10:11]
	v_mul_f64 v[14:15], v[42:43], v[10:11]
	v_fma_f64 v[12:13], v[42:43], v[8:9], -v[12:13]
	v_fma_f64 v[14:15], v[44:45], v[8:9], v[14:15]
	v_add_f64 v[4:5], v[4:5], v[12:13]
	v_add_f64 v[50:51], v[14:15], v[54:55]
	ds_read_b128 v[12:15], v32 offset:1280
	s_waitcnt lgkmcnt(0)
	v_mul_f64 v[16:17], v[44:45], v[14:15]
	v_mul_f64 v[18:19], v[42:43], v[14:15]
	v_fma_f64 v[16:17], v[42:43], v[12:13], -v[16:17]
	v_fma_f64 v[18:19], v[44:45], v[12:13], v[18:19]
	;; [unrolled: 8-line block ×3, first 2 shown]
	v_mul_f64 v[10:11], v[16:17], v[14:15]
	v_add_f64 v[38:39], v[38:39], v[42:43]
	v_add_f64 v[40:41], v[8:9], v[40:41]
	v_mul_f64 v[8:9], v[18:19], v[14:15]
	v_fma_f64 v[10:11], v[18:19], v[12:13], v[10:11]
	v_fma_f64 v[8:9], v[16:17], v[12:13], -v[8:9]
	v_add_f64 v[22:23], v[10:11], v[22:23]
	v_add_f64 v[20:21], v[20:21], v[8:9]
	ds_read_b128 v[8:11], v32 offset:1536
	s_waitcnt lgkmcnt(0)
	v_mul_f64 v[12:13], v[48:49], v[10:11]
	v_mul_f64 v[14:15], v[46:47], v[10:11]
	v_fma_f64 v[12:13], v[46:47], v[8:9], -v[12:13]
	v_fma_f64 v[14:15], v[48:49], v[8:9], v[14:15]
	v_add_f64 v[4:5], v[4:5], v[12:13]
	v_add_f64 v[42:43], v[14:15], v[50:51]
	ds_read_b128 v[12:15], v32 offset:1792
	s_waitcnt lgkmcnt(0)
	v_mul_f64 v[16:17], v[48:49], v[14:15]
	v_mul_f64 v[18:19], v[46:47], v[14:15]
	v_fma_f64 v[16:17], v[46:47], v[12:13], -v[16:17]
	v_fma_f64 v[18:19], v[48:49], v[12:13], v[18:19]
	v_add_f64 v[36:37], v[36:37], v[16:17]
	v_add_f64 v[34:35], v[18:19], v[34:35]
	ds_read_b128 v[16:19], v33 offset:2096
	s_waitcnt lgkmcnt(0)
	v_mul_f64 v[44:45], v[18:19], v[10:11]
	v_mul_f64 v[10:11], v[16:17], v[10:11]
	v_fma_f64 v[44:45], v[16:17], v[8:9], -v[44:45]
	v_fma_f64 v[8:9], v[18:19], v[8:9], v[10:11]
	v_mul_f64 v[10:11], v[16:17], v[14:15]
	v_add_f64 v[38:39], v[38:39], v[44:45]
	v_add_f64 v[40:41], v[8:9], v[40:41]
	v_mul_f64 v[8:9], v[18:19], v[14:15]
	v_fma_f64 v[10:11], v[18:19], v[12:13], v[10:11]
	v_fma_f64 v[8:9], v[16:17], v[12:13], -v[8:9]
	v_add_f64 v[22:23], v[10:11], v[22:23]
	v_add_f64 v[20:21], v[20:21], v[8:9]
	ds_read_b128 v[8:11], v33 offset:64
	ds_read_b128 v[12:15], v32 offset:2048
	s_waitcnt lgkmcnt(0)
	v_mul_f64 v[16:17], v[10:11], v[14:15]
	v_mul_f64 v[18:19], v[8:9], v[14:15]
	v_fma_f64 v[16:17], v[8:9], v[12:13], -v[16:17]
	v_fma_f64 v[18:19], v[10:11], v[12:13], v[18:19]
	v_add_f64 v[4:5], v[4:5], v[16:17]
	v_add_f64 v[42:43], v[18:19], v[42:43]
	ds_read_b128 v[16:19], v32 offset:2304
	s_waitcnt lgkmcnt(0)
	v_mul_f64 v[44:45], v[10:11], v[18:19]
	v_fma_f64 v[44:45], v[8:9], v[16:17], -v[44:45]
	v_mul_f64 v[8:9], v[8:9], v[18:19]
	v_add_f64 v[36:37], v[36:37], v[44:45]
	v_fma_f64 v[8:9], v[10:11], v[16:17], v[8:9]
	v_add_f64 v[34:35], v[8:9], v[34:35]
	ds_read_b128 v[8:11], v33 offset:2112
	s_waitcnt lgkmcnt(0)
	v_mul_f64 v[44:45], v[10:11], v[14:15]
	v_mul_f64 v[14:15], v[8:9], v[14:15]
	v_fma_f64 v[44:45], v[8:9], v[12:13], -v[44:45]
	v_fma_f64 v[12:13], v[10:11], v[12:13], v[14:15]
	v_add_f64 v[38:39], v[38:39], v[44:45]
	v_add_f64 v[40:41], v[12:13], v[40:41]
	v_mul_f64 v[12:13], v[10:11], v[18:19]
	v_fma_f64 v[12:13], v[8:9], v[16:17], -v[12:13]
	v_mul_f64 v[8:9], v[8:9], v[18:19]
	v_add_f64 v[20:21], v[20:21], v[12:13]
	v_fma_f64 v[8:9], v[10:11], v[16:17], v[8:9]
	v_add_f64 v[22:23], v[8:9], v[22:23]
	ds_read_b128 v[8:11], v33 offset:80
	ds_read_b128 v[12:15], v32 offset:2560
	s_waitcnt lgkmcnt(0)
	v_mul_f64 v[16:17], v[10:11], v[14:15]
	v_mul_f64 v[18:19], v[8:9], v[14:15]
	v_fma_f64 v[16:17], v[8:9], v[12:13], -v[16:17]
	v_fma_f64 v[18:19], v[10:11], v[12:13], v[18:19]
	v_add_f64 v[4:5], v[4:5], v[16:17]
	v_add_f64 v[42:43], v[18:19], v[42:43]
	ds_read_b128 v[16:19], v32 offset:2816
	s_waitcnt lgkmcnt(0)
	v_mul_f64 v[44:45], v[10:11], v[18:19]
	v_fma_f64 v[44:45], v[8:9], v[16:17], -v[44:45]
	v_mul_f64 v[8:9], v[8:9], v[18:19]
	v_add_f64 v[36:37], v[36:37], v[44:45]
	v_fma_f64 v[8:9], v[10:11], v[16:17], v[8:9]
	v_add_f64 v[34:35], v[8:9], v[34:35]
	ds_read_b128 v[8:11], v33 offset:2128
	s_waitcnt lgkmcnt(0)
	v_mul_f64 v[44:45], v[10:11], v[14:15]
	v_mul_f64 v[14:15], v[8:9], v[14:15]
	v_fma_f64 v[44:45], v[8:9], v[12:13], -v[44:45]
	v_fma_f64 v[12:13], v[10:11], v[12:13], v[14:15]
	v_add_f64 v[38:39], v[38:39], v[44:45]
	v_add_f64 v[40:41], v[12:13], v[40:41]
	v_mul_f64 v[12:13], v[10:11], v[18:19]
	v_fma_f64 v[12:13], v[8:9], v[16:17], -v[12:13]
	v_mul_f64 v[8:9], v[8:9], v[18:19]
	v_add_f64 v[20:21], v[20:21], v[12:13]
	v_fma_f64 v[8:9], v[10:11], v[16:17], v[8:9]
	;; [unrolled: 31-line block ×3, first 2 shown]
	v_add_f64 v[50:51], v[8:9], v[22:23]
	ds_read_b128 v[8:11], v33 offset:112
	ds_read_b128 v[12:15], v32 offset:3584
	;; [unrolled: 1-line block ×3, first 2 shown]
	s_waitcnt lgkmcnt(1)
	v_mul_f64 v[16:17], v[10:11], v[14:15]
	v_mul_f64 v[18:19], v[8:9], v[14:15]
	v_fma_f64 v[16:17], v[8:9], v[12:13], -v[16:17]
	v_fma_f64 v[18:19], v[10:11], v[12:13], v[18:19]
	v_add_f64 v[20:21], v[4:5], v[16:17]
	s_waitcnt lgkmcnt(0)
	v_mul_f64 v[4:5], v[10:11], v[36:37]
	v_add_f64 v[22:23], v[18:19], v[42:43]
	v_fma_f64 v[4:5], v[8:9], v[34:35], -v[4:5]
	v_mul_f64 v[8:9], v[8:9], v[36:37]
	v_add_f64 v[16:17], v[44:45], v[4:5]
	v_fma_f64 v[8:9], v[10:11], v[34:35], v[8:9]
	v_add_f64 v[18:19], v[8:9], v[46:47]
	ds_read_b128 v[8:11], v33 offset:2160
	s_waitcnt lgkmcnt(0)
	s_barrier
	buffer_gl0_inv
	v_mul_f64 v[4:5], v[10:11], v[14:15]
	v_mul_f64 v[14:15], v[8:9], v[14:15]
	v_fma_f64 v[4:5], v[8:9], v[12:13], -v[4:5]
	v_fma_f64 v[14:15], v[10:11], v[12:13], v[14:15]
	v_add_f64 v[12:13], v[38:39], v[4:5]
	v_mul_f64 v[4:5], v[10:11], v[36:37]
	v_add_f64 v[14:15], v[14:15], v[40:41]
	v_fma_f64 v[4:5], v[8:9], v[34:35], -v[4:5]
	v_mul_f64 v[8:9], v[8:9], v[36:37]
	v_fma_f64 v[8:9], v[10:11], v[34:35], v[8:9]
	v_add_f64 v[10:11], v[48:49], v[4:5]
	v_add_f64 v[8:9], v[8:9], v[50:51]
	s_cbranch_vccz .LBB256_17
.LBB256_7:                              ; =>This Inner Loop Header: Depth=1
	s_mov_b32 s14, s7
	s_mov_b32 s10, 0
	s_and_saveexec_b32 s11, s0
	s_cbranch_execnz .LBB256_15
; %bb.8:                                ;   in Loop: Header=BB256_7 Depth=1
	s_or_b32 exec_lo, exec_lo, s11
	s_and_saveexec_b32 s11, s14
	s_xor_b32 s11, exec_lo, s11
	s_cbranch_execnz .LBB256_16
.LBB256_9:                              ;   in Loop: Header=BB256_7 Depth=1
	s_or_b32 exec_lo, exec_lo, s11
	s_and_saveexec_b32 s11, s10
	s_cbranch_execz .LBB256_11
.LBB256_10:                             ;   in Loop: Header=BB256_7 Depth=1
	v_lshlrev_b64 v[4:5], 4, v[6:7]
	v_add_co_u32 v4, vcc_lo, v27, v4
	v_add_co_ci_u32_e64 v5, null, v28, v5, vcc_lo
	global_load_dwordx4 v[34:37], v[4:5], off
	s_waitcnt vmcnt(0)
	ds_write2_b64 v26, v[34:35], v[36:37] offset1:1
.LBB256_11:                             ;   in Loop: Header=BB256_7 Depth=1
	s_or_b32 exec_lo, exec_lo, s11
	v_add_nc_u32_e32 v2, s2, v24
	v_cmp_le_u64_e32 vcc_lo, s[12:13], v[2:3]
	s_or_b32 s10, vcc_lo, s1
	s_and_saveexec_b32 s11, s10
	s_xor_b32 s10, exec_lo, s11
	s_cbranch_execz .LBB256_13
; %bb.12:                               ;   in Loop: Header=BB256_7 Depth=1
	v_mov_b32_e32 v2, v3
	v_mov_b32_e32 v4, v3
	;; [unrolled: 1-line block ×3, first 2 shown]
	ds_write_b128 v29, v[2:5]
.LBB256_13:                             ;   in Loop: Header=BB256_7 Depth=1
	s_andn2_saveexec_b32 s10, s10
	s_cbranch_execz .LBB256_6
; %bb.14:                               ;   in Loop: Header=BB256_7 Depth=1
	v_mad_u64_u32 v[4:5], null, s24, v2, 0
	v_mad_u64_u32 v[34:35], null, s25, v2, v[5:6]
	v_mov_b32_e32 v5, v34
	v_lshlrev_b64 v[4:5], 4, v[4:5]
	v_add_co_u32 v4, vcc_lo, v30, v4
	v_add_co_ci_u32_e64 v5, null, v31, v5, vcc_lo
	global_load_dwordx4 v[34:37], v[4:5], off
	s_waitcnt vmcnt(0)
	ds_write2_b64 v29, v[34:35], v[36:37] offset1:1
	s_branch .LBB256_6
.LBB256_15:                             ;   in Loop: Header=BB256_7 Depth=1
	v_add_nc_u32_e32 v2, s2, v25
	v_mov_b32_e32 v7, v3
	s_andn2_b32 s14, s7, exec_lo
	s_mov_b32 s10, exec_lo
	v_cmp_le_u64_e32 vcc_lo, s[12:13], v[2:3]
	v_mov_b32_e32 v6, v2
	s_and_b32 s15, vcc_lo, exec_lo
	s_or_b32 s14, s14, s15
	s_or_b32 exec_lo, exec_lo, s11
	s_and_saveexec_b32 s11, s14
	s_xor_b32 s11, exec_lo, s11
	s_cbranch_execz .LBB256_9
.LBB256_16:                             ;   in Loop: Header=BB256_7 Depth=1
	v_mov_b32_e32 v2, v3
	v_mov_b32_e32 v4, v3
	;; [unrolled: 1-line block ×3, first 2 shown]
	s_andn2_b32 s10, s10, exec_lo
	ds_write_b128 v26, v[2:5]
	s_or_b32 exec_lo, exec_lo, s11
	s_and_saveexec_b32 s11, s10
	s_cbranch_execnz .LBB256_10
	s_branch .LBB256_11
.LBB256_17:
	v_add_nc_u32_e32 v25, s6, v1
	v_cmp_neq_f64_e64 s6, s[28:29], 0
	s_mul_i32 s1, s43, s8
	s_mul_hi_u32 s2, s42, s8
	s_mul_i32 s0, s42, s8
	v_ashrrev_i32_e32 v3, 31, v25
	v_mul_lo_u32 v5, s41, v25
	v_mad_u64_u32 v[1:2], null, s40, v25, 0
	s_add_i32 s1, s2, s1
	v_mul_lo_u32 v3, s40, v3
	v_add_nc_u32_e32 v4, s5, v0
	s_lshl_b64 s[2:3], s[0:1], 4
	s_waitcnt lgkmcnt(0)
	v_cmp_gt_i32_e64 s0, s4, v25
	s_add_u32 s2, s38, s2
	s_addc_u32 s3, s39, s3
	s_xor_b32 s5, s9, -1
	v_cmp_le_i32_e32 vcc_lo, v4, v25
	v_add3_u32 v2, v2, v3, v5
	v_ashrrev_i32_e32 v5, 31, v4
	s_or_b32 s5, s6, s5
	v_lshlrev_b64 v[0:1], 4, v[1:2]
	v_cndmask_b32_e64 v24, 0, 1, s5
	s_and_b32 s6, s0, vcc_lo
	v_add_co_u32 v26, s1, s2, v0
	v_add_co_ci_u32_e64 v27, null, s3, v1, s1
	s_and_saveexec_b32 s1, s6
	s_cbranch_execz .LBB256_21
; %bb.18:
	v_mul_f64 v[0:1], s[46:47], v[22:23]
	v_mul_f64 v[2:3], s[44:45], v[22:23]
	v_lshlrev_b64 v[6:7], 4, v[4:5]
	v_add_co_u32 v6, vcc_lo, v26, v6
	v_add_co_ci_u32_e64 v7, null, v27, v7, vcc_lo
	s_andn2_b32 vcc_lo, exec_lo, s5
	v_fma_f64 v[0:1], s[44:45], v[20:21], -v[0:1]
	v_fma_f64 v[2:3], s[46:47], v[20:21], v[2:3]
	s_cbranch_vccnz .LBB256_20
; %bb.19:
	global_load_dwordx4 v[20:23], v[6:7], off
	s_waitcnt vmcnt(0)
	v_mul_f64 v[28:29], s[30:31], v[22:23]
	v_mul_f64 v[22:23], s[28:29], v[22:23]
	v_fma_f64 v[28:29], s[28:29], v[20:21], -v[28:29]
	v_fma_f64 v[20:21], s[30:31], v[20:21], v[22:23]
	v_add_f64 v[0:1], v[0:1], v[28:29]
	v_add_f64 v[2:3], v[2:3], v[20:21]
.LBB256_20:
	global_store_dwordx4 v[6:7], v[0:3], off
.LBB256_21:
	s_or_b32 exec_lo, exec_lo, s1
	v_add_nc_u32_e32 v6, 16, v4
	v_cmp_le_i32_e32 vcc_lo, v6, v25
	v_ashrrev_i32_e32 v7, 31, v6
	s_and_b32 s0, s0, vcc_lo
	s_and_saveexec_b32 s1, s0
	s_cbranch_execz .LBB256_25
; %bb.22:
	v_mul_f64 v[0:1], s[46:47], v[18:19]
	v_mul_f64 v[2:3], s[44:45], v[18:19]
	v_cmp_ne_u32_e32 vcc_lo, 1, v24
	s_and_b32 vcc_lo, exec_lo, vcc_lo
	v_fma_f64 v[0:1], s[44:45], v[16:17], -v[0:1]
	v_fma_f64 v[2:3], s[46:47], v[16:17], v[2:3]
	v_lshlrev_b64 v[16:17], 4, v[6:7]
	v_add_co_u32 v16, s0, v26, v16
	v_add_co_ci_u32_e64 v17, null, v27, v17, s0
	s_cbranch_vccnz .LBB256_24
; %bb.23:
	global_load_dwordx4 v[18:21], v[16:17], off
	s_waitcnt vmcnt(0)
	v_mul_f64 v[22:23], s[30:31], v[20:21]
	v_mul_f64 v[20:21], s[28:29], v[20:21]
	v_fma_f64 v[22:23], s[28:29], v[18:19], -v[22:23]
	v_fma_f64 v[18:19], s[30:31], v[18:19], v[20:21]
	v_add_f64 v[0:1], v[0:1], v[22:23]
	v_add_f64 v[2:3], v[2:3], v[18:19]
.LBB256_24:
	global_store_dwordx4 v[16:17], v[0:3], off
.LBB256_25:
	s_or_b32 exec_lo, exec_lo, s1
	v_add_nc_u32_e32 v18, 16, v25
	v_ashrrev_i32_e32 v2, 31, v18
	v_mul_lo_u32 v3, s41, v18
	v_mad_u64_u32 v[0:1], null, s40, v18, 0
	v_cmp_gt_i32_e64 s0, s4, v18
	v_mul_lo_u32 v2, s40, v2
	v_cmp_le_i32_e32 vcc_lo, v4, v18
	v_add3_u32 v1, v1, v2, v3
	v_lshlrev_b64 v[0:1], 4, v[0:1]
	v_add_co_u32 v16, s1, s2, v0
	v_add_co_ci_u32_e64 v17, null, s3, v1, s1
	s_and_b32 s1, s0, vcc_lo
	s_and_saveexec_b32 s2, s1
	s_cbranch_execz .LBB256_29
; %bb.26:
	v_mul_f64 v[0:1], s[46:47], v[14:15]
	v_mul_f64 v[2:3], s[44:45], v[14:15]
	v_lshlrev_b64 v[4:5], 4, v[4:5]
	v_cmp_ne_u32_e32 vcc_lo, 1, v24
	s_and_b32 vcc_lo, exec_lo, vcc_lo
	v_add_co_u32 v4, s1, v16, v4
	v_add_co_ci_u32_e64 v5, null, v17, v5, s1
	v_fma_f64 v[0:1], s[44:45], v[12:13], -v[0:1]
	v_fma_f64 v[2:3], s[46:47], v[12:13], v[2:3]
	s_cbranch_vccnz .LBB256_28
; %bb.27:
	global_load_dwordx4 v[12:15], v[4:5], off
	s_waitcnt vmcnt(0)
	v_mul_f64 v[19:20], s[30:31], v[14:15]
	v_mul_f64 v[14:15], s[28:29], v[14:15]
	v_fma_f64 v[19:20], s[28:29], v[12:13], -v[19:20]
	v_fma_f64 v[12:13], s[30:31], v[12:13], v[14:15]
	v_add_f64 v[0:1], v[0:1], v[19:20]
	v_add_f64 v[2:3], v[2:3], v[12:13]
.LBB256_28:
	global_store_dwordx4 v[4:5], v[0:3], off
.LBB256_29:
	s_or_b32 exec_lo, exec_lo, s2
	v_cmp_le_i32_e32 vcc_lo, v6, v18
	s_and_b32 s0, s0, vcc_lo
	s_and_saveexec_b32 s1, s0
	s_cbranch_execz .LBB256_34
; %bb.30:
	v_mul_f64 v[0:1], s[46:47], v[8:9]
	v_mul_f64 v[2:3], s[44:45], v[8:9]
	v_lshlrev_b64 v[4:5], 4, v[6:7]
	v_cmp_ne_u32_e32 vcc_lo, 1, v24
	s_and_b32 vcc_lo, exec_lo, vcc_lo
	v_add_co_u32 v4, s0, v16, v4
	v_add_co_ci_u32_e64 v5, null, v17, v5, s0
	v_fma_f64 v[0:1], s[44:45], v[10:11], -v[0:1]
	v_fma_f64 v[2:3], s[46:47], v[10:11], v[2:3]
	s_cbranch_vccnz .LBB256_32
; %bb.31:
	global_load_dwordx4 v[6:9], v[4:5], off
	s_waitcnt vmcnt(0)
	v_mul_f64 v[10:11], s[30:31], v[8:9]
	v_mul_f64 v[8:9], s[28:29], v[8:9]
	v_fma_f64 v[10:11], s[28:29], v[6:7], -v[10:11]
	v_fma_f64 v[6:7], s[30:31], v[6:7], v[8:9]
	v_add_f64 v[0:1], v[0:1], v[10:11]
	v_add_f64 v[2:3], v[2:3], v[6:7]
.LBB256_32:
	global_store_dwordx4 v[4:5], v[0:3], off
	s_endpgm
.LBB256_33:
.LBB256_34:
	s_endpgm
	.section	.rodata,"a",@progbits
	.p2align	6, 0x0
	.amdhsa_kernel _ZL29rocblas_internal_gemmt_kernelIlLi16ELi32ELi8ELc84ELc84ELc85ELb0ELb0E19rocblas_complex_numIdEPKS1_S3_PS1_EviT_T9_T10_S5_lS7_S5_lS6_T11_S5_li
		.amdhsa_group_segment_fixed_size 8192
		.amdhsa_private_segment_fixed_size 0
		.amdhsa_kernarg_size 108
		.amdhsa_user_sgpr_count 6
		.amdhsa_user_sgpr_private_segment_buffer 1
		.amdhsa_user_sgpr_dispatch_ptr 0
		.amdhsa_user_sgpr_queue_ptr 0
		.amdhsa_user_sgpr_kernarg_segment_ptr 1
		.amdhsa_user_sgpr_dispatch_id 0
		.amdhsa_user_sgpr_flat_scratch_init 0
		.amdhsa_user_sgpr_private_segment_size 0
		.amdhsa_wavefront_size32 1
		.amdhsa_uses_dynamic_stack 0
		.amdhsa_system_sgpr_private_segment_wavefront_offset 0
		.amdhsa_system_sgpr_workgroup_id_x 1
		.amdhsa_system_sgpr_workgroup_id_y 1
		.amdhsa_system_sgpr_workgroup_id_z 1
		.amdhsa_system_sgpr_workgroup_info 0
		.amdhsa_system_vgpr_workitem_id 1
		.amdhsa_next_free_vgpr 58
		.amdhsa_next_free_sgpr 48
		.amdhsa_reserve_vcc 1
		.amdhsa_reserve_flat_scratch 0
		.amdhsa_float_round_mode_32 0
		.amdhsa_float_round_mode_16_64 0
		.amdhsa_float_denorm_mode_32 3
		.amdhsa_float_denorm_mode_16_64 3
		.amdhsa_dx10_clamp 1
		.amdhsa_ieee_mode 1
		.amdhsa_fp16_overflow 0
		.amdhsa_workgroup_processor_mode 1
		.amdhsa_memory_ordered 1
		.amdhsa_forward_progress 1
		.amdhsa_shared_vgpr_count 0
		.amdhsa_exception_fp_ieee_invalid_op 0
		.amdhsa_exception_fp_denorm_src 0
		.amdhsa_exception_fp_ieee_div_zero 0
		.amdhsa_exception_fp_ieee_overflow 0
		.amdhsa_exception_fp_ieee_underflow 0
		.amdhsa_exception_fp_ieee_inexact 0
		.amdhsa_exception_int_div_zero 0
	.end_amdhsa_kernel
	.section	.text._ZL29rocblas_internal_gemmt_kernelIlLi16ELi32ELi8ELc84ELc84ELc85ELb0ELb0E19rocblas_complex_numIdEPKS1_S3_PS1_EviT_T9_T10_S5_lS7_S5_lS6_T11_S5_li,"axG",@progbits,_ZL29rocblas_internal_gemmt_kernelIlLi16ELi32ELi8ELc84ELc84ELc85ELb0ELb0E19rocblas_complex_numIdEPKS1_S3_PS1_EviT_T9_T10_S5_lS7_S5_lS6_T11_S5_li,comdat
.Lfunc_end256:
	.size	_ZL29rocblas_internal_gemmt_kernelIlLi16ELi32ELi8ELc84ELc84ELc85ELb0ELb0E19rocblas_complex_numIdEPKS1_S3_PS1_EviT_T9_T10_S5_lS7_S5_lS6_T11_S5_li, .Lfunc_end256-_ZL29rocblas_internal_gemmt_kernelIlLi16ELi32ELi8ELc84ELc84ELc85ELb0ELb0E19rocblas_complex_numIdEPKS1_S3_PS1_EviT_T9_T10_S5_lS7_S5_lS6_T11_S5_li
                                        ; -- End function
	.set _ZL29rocblas_internal_gemmt_kernelIlLi16ELi32ELi8ELc84ELc84ELc85ELb0ELb0E19rocblas_complex_numIdEPKS1_S3_PS1_EviT_T9_T10_S5_lS7_S5_lS6_T11_S5_li.num_vgpr, 58
	.set _ZL29rocblas_internal_gemmt_kernelIlLi16ELi32ELi8ELc84ELc84ELc85ELb0ELb0E19rocblas_complex_numIdEPKS1_S3_PS1_EviT_T9_T10_S5_lS7_S5_lS6_T11_S5_li.num_agpr, 0
	.set _ZL29rocblas_internal_gemmt_kernelIlLi16ELi32ELi8ELc84ELc84ELc85ELb0ELb0E19rocblas_complex_numIdEPKS1_S3_PS1_EviT_T9_T10_S5_lS7_S5_lS6_T11_S5_li.numbered_sgpr, 48
	.set _ZL29rocblas_internal_gemmt_kernelIlLi16ELi32ELi8ELc84ELc84ELc85ELb0ELb0E19rocblas_complex_numIdEPKS1_S3_PS1_EviT_T9_T10_S5_lS7_S5_lS6_T11_S5_li.num_named_barrier, 0
	.set _ZL29rocblas_internal_gemmt_kernelIlLi16ELi32ELi8ELc84ELc84ELc85ELb0ELb0E19rocblas_complex_numIdEPKS1_S3_PS1_EviT_T9_T10_S5_lS7_S5_lS6_T11_S5_li.private_seg_size, 0
	.set _ZL29rocblas_internal_gemmt_kernelIlLi16ELi32ELi8ELc84ELc84ELc85ELb0ELb0E19rocblas_complex_numIdEPKS1_S3_PS1_EviT_T9_T10_S5_lS7_S5_lS6_T11_S5_li.uses_vcc, 1
	.set _ZL29rocblas_internal_gemmt_kernelIlLi16ELi32ELi8ELc84ELc84ELc85ELb0ELb0E19rocblas_complex_numIdEPKS1_S3_PS1_EviT_T9_T10_S5_lS7_S5_lS6_T11_S5_li.uses_flat_scratch, 0
	.set _ZL29rocblas_internal_gemmt_kernelIlLi16ELi32ELi8ELc84ELc84ELc85ELb0ELb0E19rocblas_complex_numIdEPKS1_S3_PS1_EviT_T9_T10_S5_lS7_S5_lS6_T11_S5_li.has_dyn_sized_stack, 0
	.set _ZL29rocblas_internal_gemmt_kernelIlLi16ELi32ELi8ELc84ELc84ELc85ELb0ELb0E19rocblas_complex_numIdEPKS1_S3_PS1_EviT_T9_T10_S5_lS7_S5_lS6_T11_S5_li.has_recursion, 0
	.set _ZL29rocblas_internal_gemmt_kernelIlLi16ELi32ELi8ELc84ELc84ELc85ELb0ELb0E19rocblas_complex_numIdEPKS1_S3_PS1_EviT_T9_T10_S5_lS7_S5_lS6_T11_S5_li.has_indirect_call, 0
	.section	.AMDGPU.csdata,"",@progbits
; Kernel info:
; codeLenInByte = 3644
; TotalNumSgprs: 50
; NumVgprs: 58
; ScratchSize: 0
; MemoryBound: 0
; FloatMode: 240
; IeeeMode: 1
; LDSByteSize: 8192 bytes/workgroup (compile time only)
; SGPRBlocks: 0
; VGPRBlocks: 7
; NumSGPRsForWavesPerEU: 50
; NumVGPRsForWavesPerEU: 58
; Occupancy: 16
; WaveLimiterHint : 0
; COMPUTE_PGM_RSRC2:SCRATCH_EN: 0
; COMPUTE_PGM_RSRC2:USER_SGPR: 6
; COMPUTE_PGM_RSRC2:TRAP_HANDLER: 0
; COMPUTE_PGM_RSRC2:TGID_X_EN: 1
; COMPUTE_PGM_RSRC2:TGID_Y_EN: 1
; COMPUTE_PGM_RSRC2:TGID_Z_EN: 1
; COMPUTE_PGM_RSRC2:TIDIG_COMP_CNT: 1
	.section	.text._ZL29rocblas_internal_gemmt_kernelIlLi16ELi32ELi8ELc84ELc67ELc85ELb0ELb1E19rocblas_complex_numIdEPKS1_S3_PS1_EviT_T9_T10_S5_lS7_S5_lS6_T11_S5_li,"axG",@progbits,_ZL29rocblas_internal_gemmt_kernelIlLi16ELi32ELi8ELc84ELc67ELc85ELb0ELb1E19rocblas_complex_numIdEPKS1_S3_PS1_EviT_T9_T10_S5_lS7_S5_lS6_T11_S5_li,comdat
	.globl	_ZL29rocblas_internal_gemmt_kernelIlLi16ELi32ELi8ELc84ELc67ELc85ELb0ELb1E19rocblas_complex_numIdEPKS1_S3_PS1_EviT_T9_T10_S5_lS7_S5_lS6_T11_S5_li ; -- Begin function _ZL29rocblas_internal_gemmt_kernelIlLi16ELi32ELi8ELc84ELc67ELc85ELb0ELb1E19rocblas_complex_numIdEPKS1_S3_PS1_EviT_T9_T10_S5_lS7_S5_lS6_T11_S5_li
	.p2align	8
	.type	_ZL29rocblas_internal_gemmt_kernelIlLi16ELi32ELi8ELc84ELc67ELc85ELb0ELb1E19rocblas_complex_numIdEPKS1_S3_PS1_EviT_T9_T10_S5_lS7_S5_lS6_T11_S5_li,@function
_ZL29rocblas_internal_gemmt_kernelIlLi16ELi32ELi8ELc84ELc67ELc85ELb0ELb1E19rocblas_complex_numIdEPKS1_S3_PS1_EviT_T9_T10_S5_lS7_S5_lS6_T11_S5_li: ; @_ZL29rocblas_internal_gemmt_kernelIlLi16ELi32ELi8ELc84ELc67ELc85ELb0ELb1E19rocblas_complex_numIdEPKS1_S3_PS1_EviT_T9_T10_S5_lS7_S5_lS6_T11_S5_li
; %bb.0:
	s_load_dwordx8 s[36:43], s[4:5], 0x48
	s_waitcnt lgkmcnt(0)
	s_load_dwordx4 s[28:31], s[36:37], 0x0
	s_load_dwordx16 s[12:27], s[4:5], 0x8
	s_waitcnt lgkmcnt(0)
	v_cmp_eq_f64_e64 s0, s[28:29], 1.0
	v_cmp_eq_f64_e64 s9, s[30:31], 0
	s_load_dwordx4 s[44:47], s[14:15], 0x0
	s_and_b32 s0, s0, s9
	s_andn2_b32 vcc_lo, exec_lo, s0
	s_mov_b32 s0, -1
	s_cbranch_vccnz .LBB257_3
; %bb.1:
	s_cmp_lg_u64 s[12:13], 0
	s_cbranch_scc0 .LBB257_31
; %bb.2:
	s_waitcnt lgkmcnt(0)
	v_cmp_neq_f64_e64 s0, s[44:45], 0
	v_cmp_neq_f64_e64 s1, s[46:47], 0
	s_or_b32 s0, s0, s1
.LBB257_3:
	s_and_b32 vcc_lo, exec_lo, s0
	s_cbranch_vccz .LBB257_32
; %bb.4:
	s_waitcnt lgkmcnt(0)
	v_cmp_eq_f64_e64 s0, s[44:45], 0
	v_cmp_eq_f64_e64 s1, s[46:47], 0
	s_load_dword s4, s[4:5], 0x0
	v_cmp_lt_i64_e64 s2, s[12:13], 1
	v_mov_b32_e32 v22, 0
	v_mov_b32_e32 v24, 0
	;; [unrolled: 1-line block ×16, first 2 shown]
	s_lshl_b32 s5, s6, 5
	s_lshl_b32 s6, s7, 5
	s_and_b32 s0, s0, s1
	s_or_b32 s0, s0, s2
	s_and_b32 vcc_lo, exec_lo, s0
	s_cbranch_vccnz .LBB257_15
; %bb.5:
	v_lshl_add_u32 v4, v1, 4, v0
	s_mul_i32 s1, s27, s8
	s_mul_hi_u32 s2, s26, s8
	s_mul_i32 s0, s26, s8
	s_add_i32 s1, s2, s1
	v_and_b32_e32 v5, 31, v4
	s_lshl_b64 s[0:1], s[0:1], 4
	s_mul_i32 s2, s21, s8
	s_mul_hi_u32 s3, s20, s8
	s_add_u32 s10, s22, s0
	v_or_b32_e32 v6, s5, v5
	s_addc_u32 s11, s23, s1
	s_add_i32 s1, s3, s2
	s_mul_i32 s0, s20, s8
	v_lshrrev_b32_e32 v8, 3, v4
	v_mul_lo_u32 v7, s19, v6
	v_mad_u64_u32 v[2:3], null, s18, v6, 0
	s_lshl_b64 s[0:1], s[0:1], 4
	v_lshrrev_b32_e32 v27, 5, v4
	s_add_u32 s2, s16, s0
	s_addc_u32 s1, s17, s1
	s_ashr_i32 s0, s5, 31
	v_add_nc_u32_e32 v4, s6, v8
	s_mul_i32 s0, s18, s0
	v_and_b32_e32 v26, 7, v0
	v_add3_u32 v3, v3, s0, v7
	v_lshlrev_b32_e32 v7, 4, v5
	v_ashrrev_i32_e32 v5, 31, v4
	s_waitcnt lgkmcnt(0)
	v_cmp_gt_i32_e64 s0, s4, v6
	v_lshlrev_b32_e32 v9, 4, v26
	v_lshlrev_b64 v[2:3], 4, v[2:3]
	v_cmp_le_i32_e64 s7, s4, v6
	v_lshlrev_b64 v[5:6], 4, v[4:5]
	v_lshl_or_b32 v28, v27, 9, v7
	v_lshl_or_b32 v7, v8, 7, v9
	v_mov_b32_e32 v10, 0
	v_add_co_u32 v29, vcc_lo, s2, v2
	v_add_co_ci_u32_e64 v30, null, s1, v3, vcc_lo
	v_add_co_u32 v32, vcc_lo, s10, v5
	v_mov_b32_e32 v12, 0
	v_mov_b32_e32 v16, 0
	;; [unrolled: 1-line block ×7, first 2 shown]
	v_cmp_gt_i32_e64 s1, s4, v4
	v_add_nc_u32_e32 v31, 0x1000, v7
	v_add_co_ci_u32_e64 v33, null, s11, v6, vcc_lo
	v_lshlrev_b32_e32 v34, 4, v0
	v_lshl_add_u32 v35, v1, 7, 0x1000
	v_mov_b32_e32 v11, 0
	v_mov_b32_e32 v13, 0
	;; [unrolled: 1-line block ×9, first 2 shown]
	s_mov_b64 s[2:3], 0
                                        ; implicit-def: $vgpr8_vgpr9
	s_branch .LBB257_7
.LBB257_6:                              ;   in Loop: Header=BB257_7 Depth=1
	s_or_b32 exec_lo, exec_lo, s10
	ds_write_b128 v31, v[4:7]
	s_waitcnt lgkmcnt(0)
	s_barrier
	buffer_gl0_inv
	ds_read_b128 v[4:7], v35
	ds_read_b128 v[36:39], v34
	ds_read_b128 v[40:43], v34 offset:256
	ds_read_b128 v[44:47], v35 offset:2048
	;; [unrolled: 1-line block ×11, first 2 shown]
	s_add_u32 s2, s2, 8
	s_addc_u32 s3, s3, 0
	v_cmp_gt_i64_e64 s10, s[12:13], s[2:3]
	s_waitcnt lgkmcnt(11)
	v_mul_f64 v[84:85], v[6:7], v[38:39]
	v_mul_f64 v[86:87], v[4:5], v[38:39]
	s_waitcnt lgkmcnt(10)
	v_mul_f64 v[88:89], v[6:7], v[42:43]
	v_mul_f64 v[90:91], v[4:5], v[42:43]
	;; [unrolled: 3-line block ×3, first 2 shown]
	v_mul_f64 v[94:95], v[46:47], v[42:43]
	v_mul_f64 v[42:43], v[44:45], v[42:43]
	s_waitcnt lgkmcnt(7)
	v_mul_f64 v[96:97], v[50:51], v[54:55]
	v_mul_f64 v[98:99], v[48:49], v[54:55]
	s_waitcnt lgkmcnt(6)
	v_mul_f64 v[100:101], v[50:51], v[58:59]
	s_waitcnt lgkmcnt(5)
	v_mul_f64 v[104:105], v[62:63], v[54:55]
	v_mul_f64 v[54:55], v[60:61], v[54:55]
	v_mul_f64 v[102:103], v[48:49], v[58:59]
	v_mul_f64 v[106:107], v[62:63], v[58:59]
	v_mul_f64 v[58:59], v[60:61], v[58:59]
	s_waitcnt lgkmcnt(3)
	v_mul_f64 v[108:109], v[70:71], v[66:67]
	v_mul_f64 v[110:111], v[68:69], v[66:67]
	s_and_b32 vcc_lo, exec_lo, s10
	v_fma_f64 v[84:85], v[4:5], v[36:37], -v[84:85]
	v_fma_f64 v[86:87], v[6:7], v[36:37], v[86:87]
	v_fma_f64 v[88:89], v[4:5], v[40:41], -v[88:89]
	v_fma_f64 v[90:91], v[6:7], v[40:41], v[90:91]
	v_fma_f64 v[92:93], v[44:45], v[36:37], -v[92:93]
	v_fma_f64 v[116:117], v[46:47], v[36:37], v[38:39]
	v_fma_f64 v[94:95], v[44:45], v[40:41], -v[94:95]
	ds_read_b128 v[4:7], v34 offset:1536
	s_waitcnt lgkmcnt(3)
	v_mul_f64 v[112:113], v[70:71], v[74:75]
	v_mul_f64 v[114:115], v[68:69], v[74:75]
	v_fma_f64 v[118:119], v[46:47], v[40:41], v[42:43]
	v_fma_f64 v[96:97], v[48:49], v[52:53], -v[96:97]
	v_fma_f64 v[98:99], v[50:51], v[52:53], v[98:99]
	v_fma_f64 v[48:49], v[48:49], v[56:57], -v[100:101]
	s_waitcnt lgkmcnt(2)
	v_mul_f64 v[44:45], v[78:79], v[66:67]
	v_fma_f64 v[100:101], v[60:61], v[52:53], -v[104:105]
	v_fma_f64 v[52:53], v[62:63], v[52:53], v[54:55]
	v_mul_f64 v[46:47], v[76:77], v[66:67]
	v_mul_f64 v[54:55], v[78:79], v[74:75]
	;; [unrolled: 1-line block ×3, first 2 shown]
	v_fma_f64 v[50:51], v[50:51], v[56:57], v[102:103]
	v_fma_f64 v[60:61], v[60:61], v[56:57], -v[106:107]
	v_fma_f64 v[56:57], v[62:63], v[56:57], v[58:59]
	v_fma_f64 v[58:59], v[68:69], v[64:65], -v[108:109]
	v_fma_f64 v[62:63], v[70:71], v[64:65], v[110:111]
	v_add_f64 v[84:85], v[22:23], v[84:85]
	v_add_f64 v[86:87], v[86:87], v[24:25]
	;; [unrolled: 1-line block ×5, first 2 shown]
	v_fma_f64 v[68:69], v[68:69], v[72:73], -v[112:113]
	v_fma_f64 v[70:71], v[70:71], v[72:73], v[114:115]
	v_add_f64 v[106:107], v[116:117], v[16:17]
	ds_read_b128 v[36:39], v34 offset:1792
	ds_read_b128 v[40:43], v35 offset:2096
	s_waitcnt lgkmcnt(2)
	v_mul_f64 v[74:75], v[82:83], v[6:7]
	v_mul_f64 v[102:103], v[80:81], v[6:7]
	v_fma_f64 v[110:111], v[76:77], v[64:65], -v[44:45]
	ds_read_b128 v[14:17], v35 offset:64
	v_fma_f64 v[64:65], v[78:79], v[64:65], v[46:47]
	v_fma_f64 v[76:77], v[76:77], v[72:73], -v[54:55]
	v_fma_f64 v[66:67], v[78:79], v[72:73], v[66:67]
	v_add_f64 v[54:55], v[12:13], v[94:95]
	v_add_f64 v[72:73], v[118:119], v[10:11]
	ds_read_b128 v[18:21], v34 offset:2048
	ds_read_b128 v[22:25], v34 offset:2304
	;; [unrolled: 1-line block ×4, first 2 shown]
	v_add_f64 v[84:85], v[84:85], v[96:97]
	v_add_f64 v[86:87], v[98:99], v[86:87]
	;; [unrolled: 1-line block ×5, first 2 shown]
	s_waitcnt lgkmcnt(6)
	v_mul_f64 v[104:105], v[82:83], v[38:39]
	v_mul_f64 v[108:109], v[80:81], v[38:39]
	s_waitcnt lgkmcnt(5)
	v_mul_f64 v[112:113], v[42:43], v[6:7]
	v_mul_f64 v[6:7], v[40:41], v[6:7]
	v_add_f64 v[52:53], v[52:53], v[106:107]
	v_mul_f64 v[94:95], v[42:43], v[38:39]
	v_mul_f64 v[38:39], v[40:41], v[38:39]
	v_fma_f64 v[74:75], v[80:81], v[4:5], -v[74:75]
	v_fma_f64 v[78:79], v[82:83], v[4:5], v[102:103]
	ds_read_b128 v[48:51], v35 offset:2128
	s_waitcnt lgkmcnt(4)
	v_mul_f64 v[100:101], v[16:17], v[20:21]
	v_mul_f64 v[102:103], v[14:15], v[20:21]
	v_add_f64 v[60:61], v[54:55], v[60:61]
	v_add_f64 v[56:57], v[56:57], v[72:73]
	s_waitcnt lgkmcnt(3)
	v_mul_f64 v[106:107], v[14:15], v[24:25]
	s_waitcnt lgkmcnt(2)
	v_mul_f64 v[72:73], v[46:47], v[20:21]
	v_mul_f64 v[20:21], v[44:45], v[20:21]
	v_add_f64 v[58:59], v[84:85], v[58:59]
	v_add_f64 v[62:63], v[62:63], v[86:87]
	;; [unrolled: 1-line block ×5, first 2 shown]
	v_fma_f64 v[80:81], v[80:81], v[36:37], -v[104:105]
	v_fma_f64 v[82:83], v[82:83], v[36:37], v[108:109]
	v_fma_f64 v[96:97], v[40:41], v[4:5], -v[112:113]
	v_fma_f64 v[98:99], v[42:43], v[4:5], v[6:7]
	v_mul_f64 v[104:105], v[16:17], v[24:25]
	v_add_f64 v[64:65], v[64:65], v[52:53]
	v_mul_f64 v[86:87], v[46:47], v[24:25]
	v_mul_f64 v[24:25], v[44:45], v[24:25]
	v_fma_f64 v[40:41], v[40:41], v[36:37], -v[94:95]
	v_fma_f64 v[42:43], v[42:43], v[36:37], v[38:39]
	ds_read_b128 v[4:7], v35 offset:80
	ds_read_b128 v[52:55], v34 offset:2816
	v_add_f64 v[60:61], v[60:61], v[76:77]
	v_add_f64 v[56:57], v[66:67], v[56:57]
	v_fma_f64 v[90:91], v[14:15], v[18:19], -v[100:101]
	v_fma_f64 v[92:93], v[16:17], v[18:19], v[102:103]
	v_fma_f64 v[100:101], v[16:17], v[22:23], v[106:107]
	v_fma_f64 v[66:67], v[44:45], v[18:19], -v[72:73]
	v_add_f64 v[58:59], v[58:59], v[74:75]
	v_add_f64 v[62:63], v[78:79], v[62:63]
	v_fma_f64 v[72:73], v[46:47], v[18:19], v[20:21]
	v_add_f64 v[68:69], v[68:69], v[80:81]
	v_add_f64 v[70:71], v[82:83], v[70:71]
	;; [unrolled: 1-line block ×3, first 2 shown]
	s_waitcnt lgkmcnt(2)
	v_mul_f64 v[82:83], v[50:51], v[12:13]
	v_fma_f64 v[94:95], v[14:15], v[22:23], -v[104:105]
	v_add_f64 v[64:65], v[98:99], v[64:65]
	v_fma_f64 v[44:45], v[44:45], v[22:23], -v[86:87]
	v_fma_f64 v[46:47], v[46:47], v[22:23], v[24:25]
	s_waitcnt lgkmcnt(1)
	v_mul_f64 v[88:89], v[6:7], v[12:13]
	v_mul_f64 v[76:77], v[4:5], v[12:13]
	s_waitcnt lgkmcnt(0)
	v_mul_f64 v[78:79], v[6:7], v[54:55]
	v_mul_f64 v[80:81], v[4:5], v[54:55]
	;; [unrolled: 1-line block ×5, first 2 shown]
	v_add_f64 v[40:41], v[60:61], v[40:41]
	v_add_f64 v[42:43], v[42:43], v[56:57]
	ds_read_b128 v[14:17], v35 offset:96
	ds_read_b128 v[18:21], v34 offset:3072
	;; [unrolled: 1-line block ×4, first 2 shown]
	v_add_f64 v[56:57], v[58:59], v[90:91]
	v_add_f64 v[58:59], v[92:93], v[62:63]
	;; [unrolled: 1-line block ×3, first 2 shown]
	v_fma_f64 v[82:83], v[48:49], v[10:11], -v[82:83]
	v_add_f64 v[62:63], v[68:69], v[94:95]
	v_add_f64 v[68:69], v[100:101], v[70:71]
	;; [unrolled: 1-line block ×3, first 2 shown]
	v_fma_f64 v[60:61], v[4:5], v[10:11], -v[88:89]
	v_fma_f64 v[70:71], v[6:7], v[10:11], v[76:77]
	v_fma_f64 v[72:73], v[4:5], v[52:53], -v[78:79]
	v_fma_f64 v[74:75], v[6:7], v[52:53], v[80:81]
	ds_read_b128 v[4:7], v35 offset:112
	v_fma_f64 v[88:89], v[50:51], v[10:11], v[12:13]
	s_waitcnt lgkmcnt(3)
	v_mul_f64 v[76:77], v[16:17], v[20:21]
	v_mul_f64 v[78:79], v[14:15], v[20:21]
	s_waitcnt lgkmcnt(2)
	v_mul_f64 v[80:81], v[16:17], v[38:39]
	v_mul_f64 v[86:87], v[14:15], v[38:39]
	v_fma_f64 v[48:49], v[48:49], v[52:53], -v[84:85]
	v_fma_f64 v[50:51], v[50:51], v[52:53], v[54:55]
	v_add_f64 v[52:53], v[40:41], v[44:45]
	v_add_f64 v[46:47], v[46:47], v[42:43]
	s_waitcnt lgkmcnt(1)
	v_mul_f64 v[54:55], v[24:25], v[20:21]
	v_mul_f64 v[20:21], v[22:23], v[20:21]
	v_mul_f64 v[84:85], v[24:25], v[38:39]
	v_mul_f64 v[90:91], v[22:23], v[38:39]
	ds_read_b128 v[10:13], v35 offset:2160
	ds_read_b128 v[38:41], v34 offset:3584
	;; [unrolled: 1-line block ×3, first 2 shown]
	v_add_f64 v[66:67], v[66:67], v[82:83]
	s_waitcnt lgkmcnt(0)
	v_add_f64 v[56:57], v[56:57], v[60:61]
	v_add_f64 v[58:59], v[70:71], v[58:59]
	;; [unrolled: 1-line block ×4, first 2 shown]
	s_barrier
	v_add_f64 v[64:65], v[88:89], v[64:65]
	v_fma_f64 v[60:61], v[14:15], v[18:19], -v[76:77]
	v_fma_f64 v[70:71], v[16:17], v[18:19], v[78:79]
	v_fma_f64 v[14:15], v[14:15], v[36:37], -v[80:81]
	v_fma_f64 v[16:17], v[16:17], v[36:37], v[86:87]
	buffer_gl0_inv
	v_add_f64 v[48:49], v[52:53], v[48:49]
	v_add_f64 v[46:47], v[50:51], v[46:47]
	v_fma_f64 v[50:51], v[22:23], v[18:19], -v[54:55]
	v_fma_f64 v[18:19], v[24:25], v[18:19], v[20:21]
	v_fma_f64 v[20:21], v[22:23], v[36:37], -v[84:85]
	v_fma_f64 v[22:23], v[24:25], v[36:37], v[90:91]
	v_mul_f64 v[24:25], v[6:7], v[40:41]
	v_mul_f64 v[36:37], v[4:5], v[40:41]
	;; [unrolled: 1-line block ×8, first 2 shown]
	v_add_f64 v[56:57], v[56:57], v[60:61]
	v_add_f64 v[58:59], v[70:71], v[58:59]
	;; [unrolled: 1-line block ×8, first 2 shown]
	v_fma_f64 v[18:19], v[4:5], v[38:39], -v[24:25]
	v_fma_f64 v[20:21], v[6:7], v[38:39], v[36:37]
	v_fma_f64 v[4:5], v[4:5], v[42:43], -v[52:53]
	v_fma_f64 v[6:7], v[6:7], v[42:43], v[54:55]
	;; [unrolled: 2-line block ×4, first 2 shown]
	v_add_f64 v[22:23], v[56:57], v[18:19]
	v_add_f64 v[24:25], v[20:21], v[58:59]
	;; [unrolled: 1-line block ×8, first 2 shown]
	s_cbranch_vccz .LBB257_15
.LBB257_7:                              ; =>This Inner Loop Header: Depth=1
	s_mov_b32 s14, s7
	s_mov_b32 s10, 0
	s_and_saveexec_b32 s11, s0
	s_cbranch_execnz .LBB257_13
; %bb.8:                                ;   in Loop: Header=BB257_7 Depth=1
	s_or_b32 exec_lo, exec_lo, s11
	s_and_saveexec_b32 s11, s14
	s_xor_b32 s11, exec_lo, s11
	s_cbranch_execnz .LBB257_14
.LBB257_9:                              ;   in Loop: Header=BB257_7 Depth=1
	s_or_b32 exec_lo, exec_lo, s11
	s_and_saveexec_b32 s11, s10
	s_cbranch_execz .LBB257_11
.LBB257_10:                             ;   in Loop: Header=BB257_7 Depth=1
	v_lshlrev_b64 v[4:5], 4, v[8:9]
	v_add_co_u32 v4, vcc_lo, v29, v4
	v_add_co_ci_u32_e64 v5, null, v30, v5, vcc_lo
	global_load_dwordx4 v[4:7], v[4:5], off
	s_waitcnt vmcnt(0)
	ds_write2_b64 v28, v[4:5], v[6:7] offset1:1
.LBB257_11:                             ;   in Loop: Header=BB257_7 Depth=1
	s_or_b32 exec_lo, exec_lo, s11
	v_add_nc_u32_e32 v2, s2, v26
	v_mov_b32_e32 v4, 0
	v_mov_b32_e32 v6, 0
	;; [unrolled: 1-line block ×4, first 2 shown]
	v_cmp_gt_u64_e32 vcc_lo, s[12:13], v[2:3]
	s_and_b32 s11, vcc_lo, s1
	s_and_saveexec_b32 s10, s11
	s_cbranch_execz .LBB257_6
; %bb.12:                               ;   in Loop: Header=BB257_7 Depth=1
	v_mad_u64_u32 v[4:5], null, s24, v2, 0
	v_mad_u64_u32 v[5:6], null, s25, v2, v[5:6]
	v_lshlrev_b64 v[4:5], 4, v[4:5]
	v_add_co_u32 v4, vcc_lo, v32, v4
	v_add_co_ci_u32_e64 v5, null, v33, v5, vcc_lo
	global_load_dwordx4 v[4:7], v[4:5], off
	s_waitcnt vmcnt(0)
	v_xor_b32_e32 v7, 0x80000000, v7
	s_branch .LBB257_6
.LBB257_13:                             ;   in Loop: Header=BB257_7 Depth=1
	v_add_nc_u32_e32 v2, s2, v27
	v_mov_b32_e32 v9, v3
	s_andn2_b32 s14, s7, exec_lo
	s_mov_b32 s10, exec_lo
	v_cmp_le_u64_e32 vcc_lo, s[12:13], v[2:3]
	v_mov_b32_e32 v8, v2
	s_and_b32 s15, vcc_lo, exec_lo
	s_or_b32 s14, s14, s15
	s_or_b32 exec_lo, exec_lo, s11
	s_and_saveexec_b32 s11, s14
	s_xor_b32 s11, exec_lo, s11
	s_cbranch_execz .LBB257_9
.LBB257_14:                             ;   in Loop: Header=BB257_7 Depth=1
	v_mov_b32_e32 v2, v3
	v_mov_b32_e32 v4, v3
	;; [unrolled: 1-line block ×3, first 2 shown]
	s_andn2_b32 s10, s10, exec_lo
	ds_write_b128 v28, v[2:5]
	s_or_b32 exec_lo, exec_lo, s11
	s_and_saveexec_b32 s11, s10
	s_cbranch_execnz .LBB257_10
	s_branch .LBB257_11
.LBB257_15:
	v_add_nc_u32_e32 v27, s6, v1
	v_cmp_neq_f64_e64 s6, s[28:29], 0
	s_mul_i32 s1, s43, s8
	s_mul_hi_u32 s2, s42, s8
	s_mul_i32 s0, s42, s8
	v_ashrrev_i32_e32 v3, 31, v27
	v_mul_lo_u32 v5, s41, v27
	v_mad_u64_u32 v[1:2], null, s40, v27, 0
	s_add_i32 s1, s2, s1
	v_mul_lo_u32 v3, s40, v3
	v_add_nc_u32_e32 v4, s5, v0
	s_lshl_b64 s[2:3], s[0:1], 4
	s_waitcnt lgkmcnt(0)
	v_cmp_gt_i32_e64 s0, s4, v27
	s_add_u32 s2, s38, s2
	s_addc_u32 s3, s39, s3
	s_xor_b32 s5, s9, -1
	v_cmp_le_i32_e32 vcc_lo, v4, v27
	v_add3_u32 v2, v2, v3, v5
	v_ashrrev_i32_e32 v5, 31, v4
	s_or_b32 s5, s6, s5
	v_lshlrev_b64 v[0:1], 4, v[1:2]
	v_cndmask_b32_e64 v26, 0, 1, s5
	s_and_b32 s6, s0, vcc_lo
	v_add_co_u32 v8, s1, s2, v0
	v_add_co_ci_u32_e64 v9, null, s3, v1, s1
	s_and_saveexec_b32 s1, s6
	s_cbranch_execz .LBB257_19
; %bb.16:
	v_mul_f64 v[0:1], s[46:47], v[24:25]
	v_mul_f64 v[2:3], s[44:45], v[24:25]
	v_lshlrev_b64 v[6:7], 4, v[4:5]
	v_add_co_u32 v6, vcc_lo, v8, v6
	v_add_co_ci_u32_e64 v7, null, v9, v7, vcc_lo
	s_andn2_b32 vcc_lo, exec_lo, s5
	v_fma_f64 v[0:1], s[44:45], v[22:23], -v[0:1]
	v_fma_f64 v[2:3], s[46:47], v[22:23], v[2:3]
	s_cbranch_vccnz .LBB257_18
; %bb.17:
	global_load_dwordx4 v[22:25], v[6:7], off
	s_waitcnt vmcnt(0)
	v_mul_f64 v[28:29], s[30:31], v[24:25]
	v_mul_f64 v[24:25], s[28:29], v[24:25]
	v_fma_f64 v[28:29], s[28:29], v[22:23], -v[28:29]
	v_fma_f64 v[22:23], s[30:31], v[22:23], v[24:25]
	v_add_f64 v[0:1], v[0:1], v[28:29]
	v_add_f64 v[2:3], v[2:3], v[22:23]
.LBB257_18:
	global_store_dwordx4 v[6:7], v[0:3], off
.LBB257_19:
	s_or_b32 exec_lo, exec_lo, s1
	v_add_nc_u32_e32 v6, 16, v4
	v_cmp_le_i32_e32 vcc_lo, v6, v27
	v_ashrrev_i32_e32 v7, 31, v6
	s_and_b32 s0, s0, vcc_lo
	s_and_saveexec_b32 s1, s0
	s_cbranch_execz .LBB257_23
; %bb.20:
	v_mul_f64 v[0:1], s[46:47], v[20:21]
	v_mul_f64 v[2:3], s[44:45], v[20:21]
	v_cmp_ne_u32_e32 vcc_lo, 1, v26
	s_and_b32 vcc_lo, exec_lo, vcc_lo
	v_fma_f64 v[0:1], s[44:45], v[18:19], -v[0:1]
	v_fma_f64 v[2:3], s[46:47], v[18:19], v[2:3]
	v_lshlrev_b64 v[18:19], 4, v[6:7]
	v_add_co_u32 v8, s0, v8, v18
	v_add_co_ci_u32_e64 v9, null, v9, v19, s0
	s_cbranch_vccnz .LBB257_22
; %bb.21:
	global_load_dwordx4 v[18:21], v[8:9], off
	s_waitcnt vmcnt(0)
	v_mul_f64 v[22:23], s[30:31], v[20:21]
	v_mul_f64 v[20:21], s[28:29], v[20:21]
	v_fma_f64 v[22:23], s[28:29], v[18:19], -v[22:23]
	v_fma_f64 v[18:19], s[30:31], v[18:19], v[20:21]
	v_add_f64 v[0:1], v[0:1], v[22:23]
	v_add_f64 v[2:3], v[2:3], v[18:19]
.LBB257_22:
	global_store_dwordx4 v[8:9], v[0:3], off
.LBB257_23:
	s_or_b32 exec_lo, exec_lo, s1
	v_add_nc_u32_e32 v18, 16, v27
	v_ashrrev_i32_e32 v2, 31, v18
	v_mul_lo_u32 v3, s41, v18
	v_mad_u64_u32 v[0:1], null, s40, v18, 0
	v_cmp_gt_i32_e64 s0, s4, v18
	v_mul_lo_u32 v2, s40, v2
	v_cmp_le_i32_e32 vcc_lo, v4, v18
	v_add3_u32 v1, v1, v2, v3
	v_lshlrev_b64 v[0:1], 4, v[0:1]
	v_add_co_u32 v8, s1, s2, v0
	v_add_co_ci_u32_e64 v9, null, s3, v1, s1
	s_and_b32 s1, s0, vcc_lo
	s_and_saveexec_b32 s2, s1
	s_cbranch_execz .LBB257_27
; %bb.24:
	v_mul_f64 v[0:1], s[46:47], v[16:17]
	v_mul_f64 v[2:3], s[44:45], v[16:17]
	v_lshlrev_b64 v[4:5], 4, v[4:5]
	v_cmp_ne_u32_e32 vcc_lo, 1, v26
	s_and_b32 vcc_lo, exec_lo, vcc_lo
	v_add_co_u32 v4, s1, v8, v4
	v_add_co_ci_u32_e64 v5, null, v9, v5, s1
	v_fma_f64 v[0:1], s[44:45], v[14:15], -v[0:1]
	v_fma_f64 v[2:3], s[46:47], v[14:15], v[2:3]
	s_cbranch_vccnz .LBB257_26
; %bb.25:
	global_load_dwordx4 v[14:17], v[4:5], off
	s_waitcnt vmcnt(0)
	v_mul_f64 v[19:20], s[30:31], v[16:17]
	v_mul_f64 v[16:17], s[28:29], v[16:17]
	v_fma_f64 v[19:20], s[28:29], v[14:15], -v[19:20]
	v_fma_f64 v[14:15], s[30:31], v[14:15], v[16:17]
	v_add_f64 v[0:1], v[0:1], v[19:20]
	v_add_f64 v[2:3], v[2:3], v[14:15]
.LBB257_26:
	global_store_dwordx4 v[4:5], v[0:3], off
.LBB257_27:
	s_or_b32 exec_lo, exec_lo, s2
	v_cmp_le_i32_e32 vcc_lo, v6, v18
	s_and_b32 s0, s0, vcc_lo
	s_and_saveexec_b32 s1, s0
	s_cbranch_execz .LBB257_32
; %bb.28:
	v_mul_f64 v[0:1], s[46:47], v[10:11]
	v_mul_f64 v[2:3], s[44:45], v[10:11]
	v_lshlrev_b64 v[4:5], 4, v[6:7]
	v_cmp_ne_u32_e32 vcc_lo, 1, v26
	s_and_b32 vcc_lo, exec_lo, vcc_lo
	v_add_co_u32 v4, s0, v8, v4
	v_add_co_ci_u32_e64 v5, null, v9, v5, s0
	v_fma_f64 v[0:1], s[44:45], v[12:13], -v[0:1]
	v_fma_f64 v[2:3], s[46:47], v[12:13], v[2:3]
	s_cbranch_vccnz .LBB257_30
; %bb.29:
	global_load_dwordx4 v[6:9], v[4:5], off
	s_waitcnt vmcnt(0)
	v_mul_f64 v[10:11], s[30:31], v[8:9]
	v_mul_f64 v[8:9], s[28:29], v[8:9]
	v_fma_f64 v[10:11], s[28:29], v[6:7], -v[10:11]
	v_fma_f64 v[6:7], s[30:31], v[6:7], v[8:9]
	v_add_f64 v[0:1], v[0:1], v[10:11]
	v_add_f64 v[2:3], v[2:3], v[6:7]
.LBB257_30:
	global_store_dwordx4 v[4:5], v[0:3], off
	s_endpgm
.LBB257_31:
.LBB257_32:
	s_endpgm
	.section	.rodata,"a",@progbits
	.p2align	6, 0x0
	.amdhsa_kernel _ZL29rocblas_internal_gemmt_kernelIlLi16ELi32ELi8ELc84ELc67ELc85ELb0ELb1E19rocblas_complex_numIdEPKS1_S3_PS1_EviT_T9_T10_S5_lS7_S5_lS6_T11_S5_li
		.amdhsa_group_segment_fixed_size 8192
		.amdhsa_private_segment_fixed_size 0
		.amdhsa_kernarg_size 108
		.amdhsa_user_sgpr_count 6
		.amdhsa_user_sgpr_private_segment_buffer 1
		.amdhsa_user_sgpr_dispatch_ptr 0
		.amdhsa_user_sgpr_queue_ptr 0
		.amdhsa_user_sgpr_kernarg_segment_ptr 1
		.amdhsa_user_sgpr_dispatch_id 0
		.amdhsa_user_sgpr_flat_scratch_init 0
		.amdhsa_user_sgpr_private_segment_size 0
		.amdhsa_wavefront_size32 1
		.amdhsa_uses_dynamic_stack 0
		.amdhsa_system_sgpr_private_segment_wavefront_offset 0
		.amdhsa_system_sgpr_workgroup_id_x 1
		.amdhsa_system_sgpr_workgroup_id_y 1
		.amdhsa_system_sgpr_workgroup_id_z 1
		.amdhsa_system_sgpr_workgroup_info 0
		.amdhsa_system_vgpr_workitem_id 1
		.amdhsa_next_free_vgpr 120
		.amdhsa_next_free_sgpr 48
		.amdhsa_reserve_vcc 1
		.amdhsa_reserve_flat_scratch 0
		.amdhsa_float_round_mode_32 0
		.amdhsa_float_round_mode_16_64 0
		.amdhsa_float_denorm_mode_32 3
		.amdhsa_float_denorm_mode_16_64 3
		.amdhsa_dx10_clamp 1
		.amdhsa_ieee_mode 1
		.amdhsa_fp16_overflow 0
		.amdhsa_workgroup_processor_mode 1
		.amdhsa_memory_ordered 1
		.amdhsa_forward_progress 1
		.amdhsa_shared_vgpr_count 0
		.amdhsa_exception_fp_ieee_invalid_op 0
		.amdhsa_exception_fp_denorm_src 0
		.amdhsa_exception_fp_ieee_div_zero 0
		.amdhsa_exception_fp_ieee_overflow 0
		.amdhsa_exception_fp_ieee_underflow 0
		.amdhsa_exception_fp_ieee_inexact 0
		.amdhsa_exception_int_div_zero 0
	.end_amdhsa_kernel
	.section	.text._ZL29rocblas_internal_gemmt_kernelIlLi16ELi32ELi8ELc84ELc67ELc85ELb0ELb1E19rocblas_complex_numIdEPKS1_S3_PS1_EviT_T9_T10_S5_lS7_S5_lS6_T11_S5_li,"axG",@progbits,_ZL29rocblas_internal_gemmt_kernelIlLi16ELi32ELi8ELc84ELc67ELc85ELb0ELb1E19rocblas_complex_numIdEPKS1_S3_PS1_EviT_T9_T10_S5_lS7_S5_lS6_T11_S5_li,comdat
.Lfunc_end257:
	.size	_ZL29rocblas_internal_gemmt_kernelIlLi16ELi32ELi8ELc84ELc67ELc85ELb0ELb1E19rocblas_complex_numIdEPKS1_S3_PS1_EviT_T9_T10_S5_lS7_S5_lS6_T11_S5_li, .Lfunc_end257-_ZL29rocblas_internal_gemmt_kernelIlLi16ELi32ELi8ELc84ELc67ELc85ELb0ELb1E19rocblas_complex_numIdEPKS1_S3_PS1_EviT_T9_T10_S5_lS7_S5_lS6_T11_S5_li
                                        ; -- End function
	.set _ZL29rocblas_internal_gemmt_kernelIlLi16ELi32ELi8ELc84ELc67ELc85ELb0ELb1E19rocblas_complex_numIdEPKS1_S3_PS1_EviT_T9_T10_S5_lS7_S5_lS6_T11_S5_li.num_vgpr, 120
	.set _ZL29rocblas_internal_gemmt_kernelIlLi16ELi32ELi8ELc84ELc67ELc85ELb0ELb1E19rocblas_complex_numIdEPKS1_S3_PS1_EviT_T9_T10_S5_lS7_S5_lS6_T11_S5_li.num_agpr, 0
	.set _ZL29rocblas_internal_gemmt_kernelIlLi16ELi32ELi8ELc84ELc67ELc85ELb0ELb1E19rocblas_complex_numIdEPKS1_S3_PS1_EviT_T9_T10_S5_lS7_S5_lS6_T11_S5_li.numbered_sgpr, 48
	.set _ZL29rocblas_internal_gemmt_kernelIlLi16ELi32ELi8ELc84ELc67ELc85ELb0ELb1E19rocblas_complex_numIdEPKS1_S3_PS1_EviT_T9_T10_S5_lS7_S5_lS6_T11_S5_li.num_named_barrier, 0
	.set _ZL29rocblas_internal_gemmt_kernelIlLi16ELi32ELi8ELc84ELc67ELc85ELb0ELb1E19rocblas_complex_numIdEPKS1_S3_PS1_EviT_T9_T10_S5_lS7_S5_lS6_T11_S5_li.private_seg_size, 0
	.set _ZL29rocblas_internal_gemmt_kernelIlLi16ELi32ELi8ELc84ELc67ELc85ELb0ELb1E19rocblas_complex_numIdEPKS1_S3_PS1_EviT_T9_T10_S5_lS7_S5_lS6_T11_S5_li.uses_vcc, 1
	.set _ZL29rocblas_internal_gemmt_kernelIlLi16ELi32ELi8ELc84ELc67ELc85ELb0ELb1E19rocblas_complex_numIdEPKS1_S3_PS1_EviT_T9_T10_S5_lS7_S5_lS6_T11_S5_li.uses_flat_scratch, 0
	.set _ZL29rocblas_internal_gemmt_kernelIlLi16ELi32ELi8ELc84ELc67ELc85ELb0ELb1E19rocblas_complex_numIdEPKS1_S3_PS1_EviT_T9_T10_S5_lS7_S5_lS6_T11_S5_li.has_dyn_sized_stack, 0
	.set _ZL29rocblas_internal_gemmt_kernelIlLi16ELi32ELi8ELc84ELc67ELc85ELb0ELb1E19rocblas_complex_numIdEPKS1_S3_PS1_EviT_T9_T10_S5_lS7_S5_lS6_T11_S5_li.has_recursion, 0
	.set _ZL29rocblas_internal_gemmt_kernelIlLi16ELi32ELi8ELc84ELc67ELc85ELb0ELb1E19rocblas_complex_numIdEPKS1_S3_PS1_EviT_T9_T10_S5_lS7_S5_lS6_T11_S5_li.has_indirect_call, 0
	.section	.AMDGPU.csdata,"",@progbits
; Kernel info:
; codeLenInByte = 3624
; TotalNumSgprs: 50
; NumVgprs: 120
; ScratchSize: 0
; MemoryBound: 1
; FloatMode: 240
; IeeeMode: 1
; LDSByteSize: 8192 bytes/workgroup (compile time only)
; SGPRBlocks: 0
; VGPRBlocks: 14
; NumSGPRsForWavesPerEU: 50
; NumVGPRsForWavesPerEU: 120
; Occupancy: 8
; WaveLimiterHint : 0
; COMPUTE_PGM_RSRC2:SCRATCH_EN: 0
; COMPUTE_PGM_RSRC2:USER_SGPR: 6
; COMPUTE_PGM_RSRC2:TRAP_HANDLER: 0
; COMPUTE_PGM_RSRC2:TGID_X_EN: 1
; COMPUTE_PGM_RSRC2:TGID_Y_EN: 1
; COMPUTE_PGM_RSRC2:TGID_Z_EN: 1
; COMPUTE_PGM_RSRC2:TIDIG_COMP_CNT: 1
	.section	.text._ZL29rocblas_internal_gemmt_kernelIlLi16ELi32ELi8ELc67ELc78ELc85ELb1ELb0E19rocblas_complex_numIdEPKS1_S3_PS1_EviT_T9_T10_S5_lS7_S5_lS6_T11_S5_li,"axG",@progbits,_ZL29rocblas_internal_gemmt_kernelIlLi16ELi32ELi8ELc67ELc78ELc85ELb1ELb0E19rocblas_complex_numIdEPKS1_S3_PS1_EviT_T9_T10_S5_lS7_S5_lS6_T11_S5_li,comdat
	.globl	_ZL29rocblas_internal_gemmt_kernelIlLi16ELi32ELi8ELc67ELc78ELc85ELb1ELb0E19rocblas_complex_numIdEPKS1_S3_PS1_EviT_T9_T10_S5_lS7_S5_lS6_T11_S5_li ; -- Begin function _ZL29rocblas_internal_gemmt_kernelIlLi16ELi32ELi8ELc67ELc78ELc85ELb1ELb0E19rocblas_complex_numIdEPKS1_S3_PS1_EviT_T9_T10_S5_lS7_S5_lS6_T11_S5_li
	.p2align	8
	.type	_ZL29rocblas_internal_gemmt_kernelIlLi16ELi32ELi8ELc67ELc78ELc85ELb1ELb0E19rocblas_complex_numIdEPKS1_S3_PS1_EviT_T9_T10_S5_lS7_S5_lS6_T11_S5_li,@function
_ZL29rocblas_internal_gemmt_kernelIlLi16ELi32ELi8ELc67ELc78ELc85ELb1ELb0E19rocblas_complex_numIdEPKS1_S3_PS1_EviT_T9_T10_S5_lS7_S5_lS6_T11_S5_li: ; @_ZL29rocblas_internal_gemmt_kernelIlLi16ELi32ELi8ELc67ELc78ELc85ELb1ELb0E19rocblas_complex_numIdEPKS1_S3_PS1_EviT_T9_T10_S5_lS7_S5_lS6_T11_S5_li
; %bb.0:
	s_load_dwordx8 s[36:43], s[4:5], 0x48
	s_waitcnt lgkmcnt(0)
	s_load_dwordx4 s[28:31], s[36:37], 0x0
	s_load_dwordx16 s[12:27], s[4:5], 0x8
	s_waitcnt lgkmcnt(0)
	v_cmp_eq_f64_e64 s0, s[28:29], 1.0
	v_cmp_eq_f64_e64 s9, s[30:31], 0
	s_load_dwordx4 s[44:47], s[14:15], 0x0
	s_and_b32 s0, s0, s9
	s_andn2_b32 vcc_lo, exec_lo, s0
	s_mov_b32 s0, -1
	s_cbranch_vccnz .LBB258_3
; %bb.1:
	s_cmp_lg_u64 s[12:13], 0
	s_cbranch_scc0 .LBB258_31
; %bb.2:
	s_waitcnt lgkmcnt(0)
	v_cmp_neq_f64_e64 s0, s[44:45], 0
	v_cmp_neq_f64_e64 s1, s[46:47], 0
	s_or_b32 s0, s0, s1
.LBB258_3:
	s_and_b32 vcc_lo, exec_lo, s0
	s_cbranch_vccz .LBB258_32
; %bb.4:
	s_waitcnt lgkmcnt(0)
	v_cmp_eq_f64_e64 s0, s[44:45], 0
	v_cmp_eq_f64_e64 s1, s[46:47], 0
	s_load_dword s4, s[4:5], 0x0
	v_cmp_lt_i64_e64 s2, s[12:13], 1
	v_mov_b32_e32 v20, 0
	v_mov_b32_e32 v22, 0
	;; [unrolled: 1-line block ×16, first 2 shown]
	s_lshl_b32 s5, s6, 5
	s_lshl_b32 s6, s7, 5
	s_and_b32 s0, s0, s1
	s_or_b32 s0, s0, s2
	s_and_b32 vcc_lo, exec_lo, s0
	s_cbranch_vccnz .LBB258_15
; %bb.5:
	v_lshl_add_u32 v6, v1, 4, v0
	s_mul_i32 s1, s27, s8
	s_mul_hi_u32 s2, s26, s8
	s_mul_i32 s0, s26, s8
	s_add_i32 s1, s2, s1
	v_lshrrev_b32_e32 v7, 3, v6
	v_and_b32_e32 v8, 31, v6
	s_lshl_b64 s[0:1], s[0:1], 4
	s_mul_hi_u32 s3, s20, s8
	s_add_u32 s2, s22, s0
	v_add_nc_u32_e32 v9, s6, v7
	v_or_b32_e32 v10, s5, v8
	s_mul_i32 s0, s21, s8
	s_addc_u32 s7, s23, s1
	s_add_i32 s1, s3, s0
	v_ashrrev_i32_e32 v4, 31, v9
	s_mul_i32 s0, s20, s8
	v_mul_lo_u32 v11, s19, v10
	v_mad_u64_u32 v[2:3], null, s18, v10, 0
	s_lshl_b64 s[0:1], s[0:1], 4
	v_mul_lo_u32 v12, s24, v4
	v_mul_lo_u32 v13, s25, v9
	v_mad_u64_u32 v[4:5], null, s24, v9, 0
	s_add_u32 s3, s16, s0
	s_addc_u32 s1, s17, s1
	s_ashr_i32 s0, s5, 31
	v_and_b32_e32 v24, 7, v0
	s_mul_i32 s0, s18, s0
	v_lshrrev_b32_e32 v25, 5, v6
	v_add3_u32 v3, v3, s0, v11
	v_add3_u32 v5, v5, v12, v13
	v_lshlrev_b32_e32 v6, 4, v8
	v_lshlrev_b32_e32 v8, 4, v24
	s_waitcnt lgkmcnt(0)
	v_cmp_gt_i32_e64 s0, s4, v10
	v_lshlrev_b64 v[2:3], 4, v[2:3]
	v_lshlrev_b64 v[4:5], 4, v[4:5]
	v_lshl_or_b32 v26, v25, 9, v6
	v_lshl_or_b32 v6, v7, 7, v8
	v_mov_b32_e32 v10, 0
	v_mov_b32_e32 v12, 0
	v_add_co_u32 v27, vcc_lo, s3, v2
	v_add_co_ci_u32_e64 v28, null, s1, v3, vcc_lo
	v_cmp_gt_i32_e32 vcc_lo, s4, v9
	v_add_co_u32 v30, s1, s2, v4
	v_mov_b32_e32 v8, 0
	v_mov_b32_e32 v14, 0
	v_mov_b32_e32 v18, 0
	v_mov_b32_e32 v16, 0
	v_mov_b32_e32 v22, 0
	v_mov_b32_e32 v20, 0
	v_add_nc_u32_e32 v29, 0x1000, v6
	v_add_co_ci_u32_e64 v31, null, s7, v5, s1
	v_lshlrev_b32_e32 v32, 4, v0
	v_lshl_add_u32 v33, v1, 7, 0x1000
	v_mov_b32_e32 v9, 0
	v_mov_b32_e32 v11, 0
	;; [unrolled: 1-line block ×9, first 2 shown]
	s_mov_b64 s[2:3], 0
	s_xor_b32 s1, vcc_lo, -1
	s_branch .LBB258_7
.LBB258_6:                              ;   in Loop: Header=BB258_7 Depth=1
	s_or_b32 exec_lo, exec_lo, s7
	s_waitcnt lgkmcnt(0)
	s_barrier
	buffer_gl0_inv
	ds_read_b128 v[4:7], v33
	ds_read_b128 v[34:37], v32
	ds_read_b128 v[38:41], v32 offset:256
	ds_read_b128 v[42:45], v33 offset:2048
	;; [unrolled: 1-line block ×12, first 2 shown]
	s_add_u32 s2, s2, 8
	s_addc_u32 s3, s3, 0
	v_cmp_gt_i64_e64 s7, s[12:13], s[2:3]
	s_and_b32 vcc_lo, exec_lo, s7
	s_waitcnt lgkmcnt(12)
	v_mul_f64 v[86:87], v[6:7], v[36:37]
	v_mul_f64 v[88:89], v[4:5], v[36:37]
	s_waitcnt lgkmcnt(11)
	v_mul_f64 v[90:91], v[6:7], v[40:41]
	v_mul_f64 v[92:93], v[4:5], v[40:41]
	;; [unrolled: 3-line block ×3, first 2 shown]
	v_mul_f64 v[96:97], v[44:45], v[40:41]
	v_mul_f64 v[40:41], v[42:43], v[40:41]
	s_waitcnt lgkmcnt(8)
	v_mul_f64 v[98:99], v[48:49], v[52:53]
	v_mul_f64 v[100:101], v[46:47], v[52:53]
	s_waitcnt lgkmcnt(7)
	;; [unrolled: 3-line block ×3, first 2 shown]
	v_mul_f64 v[106:107], v[60:61], v[52:53]
	v_mul_f64 v[52:53], v[58:59], v[52:53]
	;; [unrolled: 1-line block ×4, first 2 shown]
	s_waitcnt lgkmcnt(3)
	v_mul_f64 v[112:113], v[72:73], v[64:65]
	v_mul_f64 v[116:117], v[70:71], v[64:65]
	;; [unrolled: 1-line block ×4, first 2 shown]
	s_waitcnt lgkmcnt(1)
	v_mul_f64 v[122:123], v[80:81], v[64:65]
	v_mul_f64 v[64:65], v[78:79], v[64:65]
	v_fma_f64 v[86:87], v[4:5], v[34:35], -v[86:87]
	v_fma_f64 v[88:89], v[6:7], v[34:35], v[88:89]
	v_fma_f64 v[90:91], v[4:5], v[38:39], -v[90:91]
	v_fma_f64 v[92:93], v[6:7], v[38:39], v[92:93]
	v_fma_f64 v[94:95], v[42:43], v[34:35], -v[94:95]
	v_fma_f64 v[110:111], v[44:45], v[34:35], v[36:37]
	v_fma_f64 v[96:97], v[42:43], v[38:39], -v[96:97]
	v_fma_f64 v[114:115], v[44:45], v[38:39], v[40:41]
	v_fma_f64 v[98:99], v[46:47], v[50:51], -v[98:99]
	v_fma_f64 v[100:101], v[48:49], v[50:51], v[100:101]
	v_fma_f64 v[102:103], v[46:47], v[54:55], -v[102:103]
	v_fma_f64 v[104:105], v[48:49], v[54:55], v[104:105]
	v_fma_f64 v[106:107], v[58:59], v[50:51], -v[106:107]
	v_fma_f64 v[124:125], v[60:61], v[50:51], v[52:53]
	v_fma_f64 v[58:59], v[58:59], v[54:55], -v[108:109]
	v_fma_f64 v[60:61], v[60:61], v[54:55], v[56:57]
	ds_read_b128 v[4:7], v32 offset:1536
	ds_read_b128 v[34:37], v32 offset:1792
	;; [unrolled: 1-line block ×6, first 2 shown]
	v_add_f64 v[54:55], v[20:21], v[86:87]
	v_add_f64 v[22:23], v[88:89], v[22:23]
	;; [unrolled: 1-line block ×3, first 2 shown]
	v_mul_f64 v[86:87], v[80:81], v[68:69]
	v_mul_f64 v[68:69], v[78:79], v[68:69]
	v_add_f64 v[88:89], v[92:93], v[18:19]
	v_add_f64 v[92:93], v[14:15], v[94:95]
	;; [unrolled: 1-line block ×5, first 2 shown]
	v_fma_f64 v[90:91], v[70:71], v[62:63], -v[112:113]
	v_fma_f64 v[94:95], v[72:73], v[62:63], v[116:117]
	v_fma_f64 v[70:71], v[70:71], v[66:67], -v[118:119]
	v_fma_f64 v[72:73], v[72:73], v[66:67], v[120:121]
	s_waitcnt lgkmcnt(5)
	v_mul_f64 v[108:109], v[76:77], v[6:7]
	v_mul_f64 v[110:111], v[74:75], v[6:7]
	v_fma_f64 v[112:113], v[78:79], v[62:63], -v[122:123]
	v_fma_f64 v[62:63], v[80:81], v[62:63], v[64:65]
	s_waitcnt lgkmcnt(4)
	v_mul_f64 v[64:65], v[76:77], v[36:37]
	v_mul_f64 v[116:117], v[74:75], v[36:37]
	ds_read_b128 v[14:17], v32 offset:2560
	ds_read_b128 v[18:21], v32 offset:2816
	v_add_f64 v[98:99], v[54:55], v[98:99]
	v_add_f64 v[22:23], v[100:101], v[22:23]
	;; [unrolled: 1-line block ×3, first 2 shown]
	v_mul_f64 v[102:103], v[84:85], v[6:7]
	v_mul_f64 v[6:7], v[82:83], v[6:7]
	v_add_f64 v[88:89], v[104:105], v[88:89]
	v_add_f64 v[92:93], v[92:93], v[106:107]
	v_fma_f64 v[78:79], v[78:79], v[66:67], -v[86:87]
	v_fma_f64 v[66:67], v[80:81], v[66:67], v[68:69]
	v_mul_f64 v[68:69], v[84:85], v[36:37]
	v_mul_f64 v[36:37], v[82:83], v[36:37]
	v_add_f64 v[12:13], v[124:125], v[12:13]
	v_add_f64 v[58:59], v[96:97], v[58:59]
	;; [unrolled: 1-line block ×3, first 2 shown]
	ds_read_b128 v[8:11], v33 offset:2112
	ds_read_b128 v[54:57], v33 offset:2128
	s_waitcnt lgkmcnt(5)
	v_mul_f64 v[80:81], v[48:49], v[40:41]
	v_mul_f64 v[86:87], v[46:47], v[40:41]
	;; [unrolled: 1-line block ×4, first 2 shown]
	v_fma_f64 v[106:107], v[74:75], v[4:5], -v[108:109]
	v_fma_f64 v[108:109], v[76:77], v[4:5], v[110:111]
	v_fma_f64 v[64:65], v[74:75], v[34:35], -v[64:65]
	v_fma_f64 v[74:75], v[76:77], v[34:35], v[116:117]
	v_add_f64 v[90:91], v[98:99], v[90:91]
	v_add_f64 v[22:23], v[94:95], v[22:23]
	;; [unrolled: 1-line block ×3, first 2 shown]
	v_fma_f64 v[94:95], v[82:83], v[4:5], -v[102:103]
	v_add_f64 v[72:73], v[72:73], v[88:89]
	v_add_f64 v[88:89], v[92:93], v[112:113]
	v_fma_f64 v[4:5], v[84:85], v[4:5], v[6:7]
	s_waitcnt lgkmcnt(3)
	v_mul_f64 v[98:99], v[52:53], v[16:17]
	v_fma_f64 v[6:7], v[82:83], v[34:35], -v[68:69]
	v_fma_f64 v[68:69], v[84:85], v[34:35], v[36:37]
	s_waitcnt lgkmcnt(1)
	v_mul_f64 v[76:77], v[10:11], v[40:41]
	v_mul_f64 v[40:41], v[8:9], v[40:41]
	;; [unrolled: 1-line block ×4, first 2 shown]
	v_add_f64 v[12:13], v[62:63], v[12:13]
	v_add_f64 v[58:59], v[58:59], v[78:79]
	v_add_f64 v[60:61], v[66:67], v[60:61]
	v_mul_f64 v[100:101], v[50:51], v[16:17]
	v_mul_f64 v[62:63], v[52:53], v[20:21]
	v_fma_f64 v[78:79], v[46:47], v[38:39], -v[80:81]
	v_fma_f64 v[80:81], v[48:49], v[38:39], v[86:87]
	v_fma_f64 v[46:47], v[46:47], v[42:43], -v[104:105]
	v_fma_f64 v[48:49], v[48:49], v[42:43], v[96:97]
	v_add_f64 v[66:67], v[90:91], v[106:107]
	v_add_f64 v[82:83], v[108:109], v[22:23]
	;; [unrolled: 1-line block ×5, first 2 shown]
	s_waitcnt lgkmcnt(0)
	v_mul_f64 v[84:85], v[56:57], v[16:17]
	v_mul_f64 v[16:17], v[54:55], v[16:17]
	;; [unrolled: 1-line block ×4, first 2 shown]
	v_fma_f64 v[70:71], v[8:9], v[38:39], -v[76:77]
	v_mul_f64 v[76:77], v[50:51], v[20:21]
	v_fma_f64 v[90:91], v[10:11], v[38:39], v[40:41]
	v_fma_f64 v[8:9], v[8:9], v[42:43], -v[92:93]
	v_add_f64 v[12:13], v[4:5], v[12:13]
	v_add_f64 v[58:59], v[58:59], v[6:7]
	v_fma_f64 v[42:43], v[10:11], v[42:43], v[44:45]
	v_add_f64 v[44:45], v[68:69], v[60:61]
	ds_read_b128 v[4:7], v33 offset:96
	ds_read_b128 v[20:23], v32 offset:3072
	;; [unrolled: 1-line block ×4, first 2 shown]
	v_add_f64 v[60:61], v[66:67], v[78:79]
	v_add_f64 v[66:67], v[80:81], v[82:83]
	;; [unrolled: 1-line block ×3, first 2 shown]
	v_fma_f64 v[64:65], v[50:51], v[14:15], -v[98:99]
	v_add_f64 v[48:49], v[48:49], v[72:73]
	v_fma_f64 v[50:51], v[50:51], v[18:19], -v[62:63]
	v_fma_f64 v[62:63], v[54:55], v[14:15], -v[84:85]
	v_fma_f64 v[72:73], v[56:57], v[14:15], v[16:17]
	v_fma_f64 v[54:55], v[54:55], v[18:19], -v[86:87]
	v_add_f64 v[68:69], v[74:75], v[70:71]
	v_fma_f64 v[70:71], v[52:53], v[14:15], v[100:101]
	v_fma_f64 v[52:53], v[52:53], v[18:19], v[76:77]
	;; [unrolled: 1-line block ×3, first 2 shown]
	v_add_f64 v[74:75], v[90:91], v[12:13]
	v_add_f64 v[58:59], v[58:59], v[8:9]
	s_waitcnt lgkmcnt(2)
	v_mul_f64 v[76:77], v[6:7], v[22:23]
	v_mul_f64 v[78:79], v[4:5], v[22:23]
	s_waitcnt lgkmcnt(1)
	v_mul_f64 v[80:81], v[6:7], v[36:37]
	v_mul_f64 v[82:83], v[4:5], v[36:37]
	;; [unrolled: 3-line block ×3, first 2 shown]
	v_mul_f64 v[86:87], v[40:41], v[36:37]
	v_add_f64 v[88:89], v[42:43], v[44:45]
	v_mul_f64 v[36:37], v[38:39], v[36:37]
	ds_read_b128 v[8:11], v33 offset:112
	ds_read_b128 v[12:15], v33 offset:2160
	;; [unrolled: 1-line block ×4, first 2 shown]
	v_add_f64 v[60:61], v[60:61], v[64:65]
	v_add_f64 v[46:47], v[46:47], v[50:51]
	s_waitcnt lgkmcnt(0)
	s_barrier
	v_add_f64 v[50:51], v[68:69], v[62:63]
	v_add_f64 v[64:65], v[70:71], v[66:67]
	;; [unrolled: 1-line block ×3, first 2 shown]
	buffer_gl0_inv
	v_add_f64 v[52:53], v[72:73], v[74:75]
	v_add_f64 v[54:55], v[58:59], v[54:55]
	v_fma_f64 v[58:59], v[4:5], v[20:21], -v[76:77]
	v_fma_f64 v[62:63], v[6:7], v[20:21], v[78:79]
	v_fma_f64 v[4:5], v[4:5], v[34:35], -v[80:81]
	v_fma_f64 v[6:7], v[6:7], v[34:35], v[82:83]
	;; [unrolled: 2-line block ×3, first 2 shown]
	v_fma_f64 v[22:23], v[38:39], v[34:35], -v[86:87]
	v_add_f64 v[38:39], v[56:57], v[88:89]
	v_fma_f64 v[34:35], v[40:41], v[34:35], v[36:37]
	v_mul_f64 v[36:37], v[10:11], v[18:19]
	v_mul_f64 v[40:41], v[8:9], v[18:19]
	;; [unrolled: 1-line block ×8, first 2 shown]
	v_add_f64 v[58:59], v[60:61], v[58:59]
	v_add_f64 v[60:61], v[62:63], v[64:65]
	;; [unrolled: 1-line block ×8, first 2 shown]
	v_fma_f64 v[20:21], v[8:9], v[16:17], -v[36:37]
	v_fma_f64 v[22:23], v[10:11], v[16:17], v[40:41]
	v_fma_f64 v[8:9], v[8:9], v[42:43], -v[56:57]
	v_fma_f64 v[10:11], v[10:11], v[42:43], v[68:69]
	;; [unrolled: 2-line block ×4, first 2 shown]
	v_add_f64 v[20:21], v[58:59], v[20:21]
	v_add_f64 v[22:23], v[22:23], v[60:61]
	;; [unrolled: 1-line block ×8, first 2 shown]
	s_cbranch_vccz .LBB258_15
.LBB258_7:                              ; =>This Inner Loop Header: Depth=1
	v_mov_b32_e32 v4, 0
	v_mov_b32_e32 v6, 0
	v_mov_b32_e32 v5, 0
	v_mov_b32_e32 v7, 0
	s_and_saveexec_b32 s7, s0
	s_cbranch_execz .LBB258_11
; %bb.8:                                ;   in Loop: Header=BB258_7 Depth=1
	v_mov_b32_e32 v6, 0
	v_mov_b32_e32 v4, 0
	v_add_nc_u32_e32 v2, s2, v25
	v_mov_b32_e32 v7, 0
	v_mov_b32_e32 v5, 0
	s_mov_b32 s10, exec_lo
	v_cmpx_gt_u64_e64 s[12:13], v[2:3]
	s_cbranch_execz .LBB258_10
; %bb.9:                                ;   in Loop: Header=BB258_7 Depth=1
	v_lshlrev_b64 v[4:5], 4, v[2:3]
	v_add_co_u32 v4, vcc_lo, v27, v4
	v_add_co_ci_u32_e64 v5, null, v28, v5, vcc_lo
	global_load_dwordx4 v[4:7], v[4:5], off
	s_waitcnt vmcnt(0)
	v_xor_b32_e32 v7, 0x80000000, v7
.LBB258_10:                             ;   in Loop: Header=BB258_7 Depth=1
	s_or_b32 exec_lo, exec_lo, s10
.LBB258_11:                             ;   in Loop: Header=BB258_7 Depth=1
	s_or_b32 exec_lo, exec_lo, s7
	v_add_nc_u32_e32 v2, s2, v24
	ds_write_b128 v26, v[4:7]
	v_cmp_le_u64_e32 vcc_lo, s[12:13], v[2:3]
	s_or_b32 s7, vcc_lo, s1
	s_and_saveexec_b32 s10, s7
	s_xor_b32 s7, exec_lo, s10
	s_cbranch_execz .LBB258_13
; %bb.12:                               ;   in Loop: Header=BB258_7 Depth=1
	v_mov_b32_e32 v2, v3
	v_mov_b32_e32 v4, v3
	;; [unrolled: 1-line block ×3, first 2 shown]
	ds_write_b128 v29, v[2:5]
.LBB258_13:                             ;   in Loop: Header=BB258_7 Depth=1
	s_andn2_saveexec_b32 s7, s7
	s_cbranch_execz .LBB258_6
; %bb.14:                               ;   in Loop: Header=BB258_7 Depth=1
	v_lshlrev_b64 v[4:5], 4, v[2:3]
	v_add_co_u32 v4, vcc_lo, v30, v4
	v_add_co_ci_u32_e64 v5, null, v31, v5, vcc_lo
	global_load_dwordx4 v[4:7], v[4:5], off
	s_waitcnt vmcnt(0)
	ds_write2_b64 v29, v[4:5], v[6:7] offset1:1
	s_branch .LBB258_6
.LBB258_15:
	v_add_nc_u32_e32 v25, s6, v1
	v_cmp_neq_f64_e64 s6, s[28:29], 0
	s_mul_i32 s1, s43, s8
	s_mul_hi_u32 s2, s42, s8
	s_mul_i32 s0, s42, s8
	v_ashrrev_i32_e32 v3, 31, v25
	v_mul_lo_u32 v5, s41, v25
	v_mad_u64_u32 v[1:2], null, s40, v25, 0
	s_add_i32 s1, s2, s1
	v_mul_lo_u32 v3, s40, v3
	v_add_nc_u32_e32 v4, s5, v0
	s_lshl_b64 s[2:3], s[0:1], 4
	s_waitcnt lgkmcnt(0)
	v_cmp_gt_i32_e64 s0, s4, v25
	s_add_u32 s2, s38, s2
	s_addc_u32 s3, s39, s3
	s_xor_b32 s5, s9, -1
	v_cmp_le_i32_e32 vcc_lo, v4, v25
	v_add3_u32 v2, v2, v3, v5
	v_ashrrev_i32_e32 v5, 31, v4
	s_or_b32 s5, s6, s5
	v_lshlrev_b64 v[0:1], 4, v[1:2]
	v_cndmask_b32_e64 v24, 0, 1, s5
	s_and_b32 s6, s0, vcc_lo
	v_add_co_u32 v26, s1, s2, v0
	v_add_co_ci_u32_e64 v27, null, s3, v1, s1
	s_and_saveexec_b32 s1, s6
	s_cbranch_execz .LBB258_19
; %bb.16:
	v_mul_f64 v[0:1], s[46:47], v[22:23]
	v_mul_f64 v[2:3], s[44:45], v[22:23]
	v_lshlrev_b64 v[6:7], 4, v[4:5]
	v_add_co_u32 v6, vcc_lo, v26, v6
	v_add_co_ci_u32_e64 v7, null, v27, v7, vcc_lo
	s_andn2_b32 vcc_lo, exec_lo, s5
	v_fma_f64 v[0:1], s[44:45], v[20:21], -v[0:1]
	v_fma_f64 v[2:3], s[46:47], v[20:21], v[2:3]
	s_cbranch_vccnz .LBB258_18
; %bb.17:
	global_load_dwordx4 v[20:23], v[6:7], off
	s_waitcnt vmcnt(0)
	v_mul_f64 v[28:29], s[30:31], v[22:23]
	v_mul_f64 v[22:23], s[28:29], v[22:23]
	v_fma_f64 v[28:29], s[28:29], v[20:21], -v[28:29]
	v_fma_f64 v[20:21], s[30:31], v[20:21], v[22:23]
	v_add_f64 v[0:1], v[0:1], v[28:29]
	v_add_f64 v[2:3], v[2:3], v[20:21]
.LBB258_18:
	global_store_dwordx4 v[6:7], v[0:3], off
.LBB258_19:
	s_or_b32 exec_lo, exec_lo, s1
	v_add_nc_u32_e32 v6, 16, v4
	v_cmp_le_i32_e32 vcc_lo, v6, v25
	v_ashrrev_i32_e32 v7, 31, v6
	s_and_b32 s0, s0, vcc_lo
	s_and_saveexec_b32 s1, s0
	s_cbranch_execz .LBB258_23
; %bb.20:
	v_mul_f64 v[0:1], s[46:47], v[18:19]
	v_mul_f64 v[2:3], s[44:45], v[18:19]
	v_cmp_ne_u32_e32 vcc_lo, 1, v24
	s_and_b32 vcc_lo, exec_lo, vcc_lo
	v_fma_f64 v[0:1], s[44:45], v[16:17], -v[0:1]
	v_fma_f64 v[2:3], s[46:47], v[16:17], v[2:3]
	v_lshlrev_b64 v[16:17], 4, v[6:7]
	v_add_co_u32 v16, s0, v26, v16
	v_add_co_ci_u32_e64 v17, null, v27, v17, s0
	s_cbranch_vccnz .LBB258_22
; %bb.21:
	global_load_dwordx4 v[18:21], v[16:17], off
	s_waitcnt vmcnt(0)
	v_mul_f64 v[22:23], s[30:31], v[20:21]
	v_mul_f64 v[20:21], s[28:29], v[20:21]
	v_fma_f64 v[22:23], s[28:29], v[18:19], -v[22:23]
	v_fma_f64 v[18:19], s[30:31], v[18:19], v[20:21]
	v_add_f64 v[0:1], v[0:1], v[22:23]
	v_add_f64 v[2:3], v[2:3], v[18:19]
.LBB258_22:
	global_store_dwordx4 v[16:17], v[0:3], off
.LBB258_23:
	s_or_b32 exec_lo, exec_lo, s1
	v_add_nc_u32_e32 v18, 16, v25
	v_ashrrev_i32_e32 v2, 31, v18
	v_mul_lo_u32 v3, s41, v18
	v_mad_u64_u32 v[0:1], null, s40, v18, 0
	v_cmp_gt_i32_e64 s0, s4, v18
	v_mul_lo_u32 v2, s40, v2
	v_cmp_le_i32_e32 vcc_lo, v4, v18
	v_add3_u32 v1, v1, v2, v3
	v_lshlrev_b64 v[0:1], 4, v[0:1]
	v_add_co_u32 v16, s1, s2, v0
	v_add_co_ci_u32_e64 v17, null, s3, v1, s1
	s_and_b32 s1, s0, vcc_lo
	s_and_saveexec_b32 s2, s1
	s_cbranch_execz .LBB258_27
; %bb.24:
	v_mul_f64 v[0:1], s[46:47], v[12:13]
	v_mul_f64 v[2:3], s[44:45], v[12:13]
	v_lshlrev_b64 v[4:5], 4, v[4:5]
	v_cmp_ne_u32_e32 vcc_lo, 1, v24
	s_and_b32 vcc_lo, exec_lo, vcc_lo
	v_add_co_u32 v4, s1, v16, v4
	v_add_co_ci_u32_e64 v5, null, v17, v5, s1
	v_fma_f64 v[0:1], s[44:45], v[14:15], -v[0:1]
	v_fma_f64 v[2:3], s[46:47], v[14:15], v[2:3]
	s_cbranch_vccnz .LBB258_26
; %bb.25:
	global_load_dwordx4 v[12:15], v[4:5], off
	s_waitcnt vmcnt(0)
	v_mul_f64 v[19:20], s[30:31], v[14:15]
	v_mul_f64 v[14:15], s[28:29], v[14:15]
	v_fma_f64 v[19:20], s[28:29], v[12:13], -v[19:20]
	v_fma_f64 v[12:13], s[30:31], v[12:13], v[14:15]
	v_add_f64 v[0:1], v[0:1], v[19:20]
	v_add_f64 v[2:3], v[2:3], v[12:13]
.LBB258_26:
	global_store_dwordx4 v[4:5], v[0:3], off
.LBB258_27:
	s_or_b32 exec_lo, exec_lo, s2
	v_cmp_le_i32_e32 vcc_lo, v6, v18
	s_and_b32 s0, s0, vcc_lo
	s_and_saveexec_b32 s1, s0
	s_cbranch_execz .LBB258_32
; %bb.28:
	v_mul_f64 v[0:1], s[46:47], v[8:9]
	v_mul_f64 v[2:3], s[44:45], v[8:9]
	v_lshlrev_b64 v[4:5], 4, v[6:7]
	v_cmp_ne_u32_e32 vcc_lo, 1, v24
	s_and_b32 vcc_lo, exec_lo, vcc_lo
	v_add_co_u32 v4, s0, v16, v4
	v_add_co_ci_u32_e64 v5, null, v17, v5, s0
	v_fma_f64 v[0:1], s[44:45], v[10:11], -v[0:1]
	v_fma_f64 v[2:3], s[46:47], v[10:11], v[2:3]
	s_cbranch_vccnz .LBB258_30
; %bb.29:
	global_load_dwordx4 v[6:9], v[4:5], off
	s_waitcnt vmcnt(0)
	v_mul_f64 v[10:11], s[30:31], v[8:9]
	v_mul_f64 v[8:9], s[28:29], v[8:9]
	v_fma_f64 v[10:11], s[28:29], v[6:7], -v[10:11]
	v_fma_f64 v[6:7], s[30:31], v[6:7], v[8:9]
	v_add_f64 v[0:1], v[0:1], v[10:11]
	v_add_f64 v[2:3], v[2:3], v[6:7]
.LBB258_30:
	global_store_dwordx4 v[4:5], v[0:3], off
	s_endpgm
.LBB258_31:
.LBB258_32:
	s_endpgm
	.section	.rodata,"a",@progbits
	.p2align	6, 0x0
	.amdhsa_kernel _ZL29rocblas_internal_gemmt_kernelIlLi16ELi32ELi8ELc67ELc78ELc85ELb1ELb0E19rocblas_complex_numIdEPKS1_S3_PS1_EviT_T9_T10_S5_lS7_S5_lS6_T11_S5_li
		.amdhsa_group_segment_fixed_size 8192
		.amdhsa_private_segment_fixed_size 0
		.amdhsa_kernarg_size 108
		.amdhsa_user_sgpr_count 6
		.amdhsa_user_sgpr_private_segment_buffer 1
		.amdhsa_user_sgpr_dispatch_ptr 0
		.amdhsa_user_sgpr_queue_ptr 0
		.amdhsa_user_sgpr_kernarg_segment_ptr 1
		.amdhsa_user_sgpr_dispatch_id 0
		.amdhsa_user_sgpr_flat_scratch_init 0
		.amdhsa_user_sgpr_private_segment_size 0
		.amdhsa_wavefront_size32 1
		.amdhsa_uses_dynamic_stack 0
		.amdhsa_system_sgpr_private_segment_wavefront_offset 0
		.amdhsa_system_sgpr_workgroup_id_x 1
		.amdhsa_system_sgpr_workgroup_id_y 1
		.amdhsa_system_sgpr_workgroup_id_z 1
		.amdhsa_system_sgpr_workgroup_info 0
		.amdhsa_system_vgpr_workitem_id 1
		.amdhsa_next_free_vgpr 126
		.amdhsa_next_free_sgpr 48
		.amdhsa_reserve_vcc 1
		.amdhsa_reserve_flat_scratch 0
		.amdhsa_float_round_mode_32 0
		.amdhsa_float_round_mode_16_64 0
		.amdhsa_float_denorm_mode_32 3
		.amdhsa_float_denorm_mode_16_64 3
		.amdhsa_dx10_clamp 1
		.amdhsa_ieee_mode 1
		.amdhsa_fp16_overflow 0
		.amdhsa_workgroup_processor_mode 1
		.amdhsa_memory_ordered 1
		.amdhsa_forward_progress 1
		.amdhsa_shared_vgpr_count 0
		.amdhsa_exception_fp_ieee_invalid_op 0
		.amdhsa_exception_fp_denorm_src 0
		.amdhsa_exception_fp_ieee_div_zero 0
		.amdhsa_exception_fp_ieee_overflow 0
		.amdhsa_exception_fp_ieee_underflow 0
		.amdhsa_exception_fp_ieee_inexact 0
		.amdhsa_exception_int_div_zero 0
	.end_amdhsa_kernel
	.section	.text._ZL29rocblas_internal_gemmt_kernelIlLi16ELi32ELi8ELc67ELc78ELc85ELb1ELb0E19rocblas_complex_numIdEPKS1_S3_PS1_EviT_T9_T10_S5_lS7_S5_lS6_T11_S5_li,"axG",@progbits,_ZL29rocblas_internal_gemmt_kernelIlLi16ELi32ELi8ELc67ELc78ELc85ELb1ELb0E19rocblas_complex_numIdEPKS1_S3_PS1_EviT_T9_T10_S5_lS7_S5_lS6_T11_S5_li,comdat
.Lfunc_end258:
	.size	_ZL29rocblas_internal_gemmt_kernelIlLi16ELi32ELi8ELc67ELc78ELc85ELb1ELb0E19rocblas_complex_numIdEPKS1_S3_PS1_EviT_T9_T10_S5_lS7_S5_lS6_T11_S5_li, .Lfunc_end258-_ZL29rocblas_internal_gemmt_kernelIlLi16ELi32ELi8ELc67ELc78ELc85ELb1ELb0E19rocblas_complex_numIdEPKS1_S3_PS1_EviT_T9_T10_S5_lS7_S5_lS6_T11_S5_li
                                        ; -- End function
	.set _ZL29rocblas_internal_gemmt_kernelIlLi16ELi32ELi8ELc67ELc78ELc85ELb1ELb0E19rocblas_complex_numIdEPKS1_S3_PS1_EviT_T9_T10_S5_lS7_S5_lS6_T11_S5_li.num_vgpr, 126
	.set _ZL29rocblas_internal_gemmt_kernelIlLi16ELi32ELi8ELc67ELc78ELc85ELb1ELb0E19rocblas_complex_numIdEPKS1_S3_PS1_EviT_T9_T10_S5_lS7_S5_lS6_T11_S5_li.num_agpr, 0
	.set _ZL29rocblas_internal_gemmt_kernelIlLi16ELi32ELi8ELc67ELc78ELc85ELb1ELb0E19rocblas_complex_numIdEPKS1_S3_PS1_EviT_T9_T10_S5_lS7_S5_lS6_T11_S5_li.numbered_sgpr, 48
	.set _ZL29rocblas_internal_gemmt_kernelIlLi16ELi32ELi8ELc67ELc78ELc85ELb1ELb0E19rocblas_complex_numIdEPKS1_S3_PS1_EviT_T9_T10_S5_lS7_S5_lS6_T11_S5_li.num_named_barrier, 0
	.set _ZL29rocblas_internal_gemmt_kernelIlLi16ELi32ELi8ELc67ELc78ELc85ELb1ELb0E19rocblas_complex_numIdEPKS1_S3_PS1_EviT_T9_T10_S5_lS7_S5_lS6_T11_S5_li.private_seg_size, 0
	.set _ZL29rocblas_internal_gemmt_kernelIlLi16ELi32ELi8ELc67ELc78ELc85ELb1ELb0E19rocblas_complex_numIdEPKS1_S3_PS1_EviT_T9_T10_S5_lS7_S5_lS6_T11_S5_li.uses_vcc, 1
	.set _ZL29rocblas_internal_gemmt_kernelIlLi16ELi32ELi8ELc67ELc78ELc85ELb1ELb0E19rocblas_complex_numIdEPKS1_S3_PS1_EviT_T9_T10_S5_lS7_S5_lS6_T11_S5_li.uses_flat_scratch, 0
	.set _ZL29rocblas_internal_gemmt_kernelIlLi16ELi32ELi8ELc67ELc78ELc85ELb1ELb0E19rocblas_complex_numIdEPKS1_S3_PS1_EviT_T9_T10_S5_lS7_S5_lS6_T11_S5_li.has_dyn_sized_stack, 0
	.set _ZL29rocblas_internal_gemmt_kernelIlLi16ELi32ELi8ELc67ELc78ELc85ELb1ELb0E19rocblas_complex_numIdEPKS1_S3_PS1_EviT_T9_T10_S5_lS7_S5_lS6_T11_S5_li.has_recursion, 0
	.set _ZL29rocblas_internal_gemmt_kernelIlLi16ELi32ELi8ELc67ELc78ELc85ELb1ELb0E19rocblas_complex_numIdEPKS1_S3_PS1_EviT_T9_T10_S5_lS7_S5_lS6_T11_S5_li.has_indirect_call, 0
	.section	.AMDGPU.csdata,"",@progbits
; Kernel info:
; codeLenInByte = 3564
; TotalNumSgprs: 50
; NumVgprs: 126
; ScratchSize: 0
; MemoryBound: 1
; FloatMode: 240
; IeeeMode: 1
; LDSByteSize: 8192 bytes/workgroup (compile time only)
; SGPRBlocks: 0
; VGPRBlocks: 15
; NumSGPRsForWavesPerEU: 50
; NumVGPRsForWavesPerEU: 126
; Occupancy: 8
; WaveLimiterHint : 0
; COMPUTE_PGM_RSRC2:SCRATCH_EN: 0
; COMPUTE_PGM_RSRC2:USER_SGPR: 6
; COMPUTE_PGM_RSRC2:TRAP_HANDLER: 0
; COMPUTE_PGM_RSRC2:TGID_X_EN: 1
; COMPUTE_PGM_RSRC2:TGID_Y_EN: 1
; COMPUTE_PGM_RSRC2:TGID_Z_EN: 1
; COMPUTE_PGM_RSRC2:TIDIG_COMP_CNT: 1
	.section	.text._ZL29rocblas_internal_gemmt_kernelIlLi16ELi32ELi8ELc67ELc84ELc85ELb1ELb0E19rocblas_complex_numIdEPKS1_S3_PS1_EviT_T9_T10_S5_lS7_S5_lS6_T11_S5_li,"axG",@progbits,_ZL29rocblas_internal_gemmt_kernelIlLi16ELi32ELi8ELc67ELc84ELc85ELb1ELb0E19rocblas_complex_numIdEPKS1_S3_PS1_EviT_T9_T10_S5_lS7_S5_lS6_T11_S5_li,comdat
	.globl	_ZL29rocblas_internal_gemmt_kernelIlLi16ELi32ELi8ELc67ELc84ELc85ELb1ELb0E19rocblas_complex_numIdEPKS1_S3_PS1_EviT_T9_T10_S5_lS7_S5_lS6_T11_S5_li ; -- Begin function _ZL29rocblas_internal_gemmt_kernelIlLi16ELi32ELi8ELc67ELc84ELc85ELb1ELb0E19rocblas_complex_numIdEPKS1_S3_PS1_EviT_T9_T10_S5_lS7_S5_lS6_T11_S5_li
	.p2align	8
	.type	_ZL29rocblas_internal_gemmt_kernelIlLi16ELi32ELi8ELc67ELc84ELc85ELb1ELb0E19rocblas_complex_numIdEPKS1_S3_PS1_EviT_T9_T10_S5_lS7_S5_lS6_T11_S5_li,@function
_ZL29rocblas_internal_gemmt_kernelIlLi16ELi32ELi8ELc67ELc84ELc85ELb1ELb0E19rocblas_complex_numIdEPKS1_S3_PS1_EviT_T9_T10_S5_lS7_S5_lS6_T11_S5_li: ; @_ZL29rocblas_internal_gemmt_kernelIlLi16ELi32ELi8ELc67ELc84ELc85ELb1ELb0E19rocblas_complex_numIdEPKS1_S3_PS1_EviT_T9_T10_S5_lS7_S5_lS6_T11_S5_li
; %bb.0:
	s_load_dwordx8 s[36:43], s[4:5], 0x48
	s_waitcnt lgkmcnt(0)
	s_load_dwordx4 s[28:31], s[36:37], 0x0
	s_load_dwordx16 s[12:27], s[4:5], 0x8
	s_waitcnt lgkmcnt(0)
	v_cmp_eq_f64_e64 s0, s[28:29], 1.0
	v_cmp_eq_f64_e64 s9, s[30:31], 0
	s_load_dwordx4 s[44:47], s[14:15], 0x0
	s_and_b32 s0, s0, s9
	s_andn2_b32 vcc_lo, exec_lo, s0
	s_mov_b32 s0, -1
	s_cbranch_vccnz .LBB259_3
; %bb.1:
	s_cmp_lg_u64 s[12:13], 0
	s_cbranch_scc0 .LBB259_31
; %bb.2:
	s_waitcnt lgkmcnt(0)
	v_cmp_neq_f64_e64 s0, s[44:45], 0
	v_cmp_neq_f64_e64 s1, s[46:47], 0
	s_or_b32 s0, s0, s1
.LBB259_3:
	s_and_b32 vcc_lo, exec_lo, s0
	s_cbranch_vccz .LBB259_32
; %bb.4:
	s_waitcnt lgkmcnt(0)
	v_cmp_eq_f64_e64 s0, s[44:45], 0
	v_cmp_eq_f64_e64 s1, s[46:47], 0
	s_load_dword s4, s[4:5], 0x0
	v_cmp_lt_i64_e64 s2, s[12:13], 1
	v_mov_b32_e32 v20, 0
	v_mov_b32_e32 v22, 0
	;; [unrolled: 1-line block ×16, first 2 shown]
	s_lshl_b32 s5, s6, 5
	s_lshl_b32 s6, s7, 5
	s_and_b32 s0, s0, s1
	s_or_b32 s0, s0, s2
	s_and_b32 vcc_lo, exec_lo, s0
	s_cbranch_vccnz .LBB259_15
; %bb.5:
	v_lshl_add_u32 v5, v1, 4, v0
	s_mul_i32 s1, s27, s8
	s_mul_hi_u32 s2, s26, s8
	s_mul_i32 s0, s26, s8
	s_add_i32 s1, s2, s1
	v_and_b32_e32 v6, 31, v5
	s_lshl_b64 s[0:1], s[0:1], 4
	s_mul_i32 s2, s21, s8
	s_add_u32 s3, s22, s0
	s_addc_u32 s7, s23, s1
	v_or_b32_e32 v7, s5, v6
	s_mul_hi_u32 s1, s20, s8
	s_mul_i32 s0, s20, s8
	s_add_i32 s1, s1, s2
	v_lshrrev_b32_e32 v9, 3, v5
	v_mul_lo_u32 v8, s19, v7
	v_mad_u64_u32 v[2:3], null, s18, v7, 0
	s_lshl_b64 s[0:1], s[0:1], 4
	v_add_nc_u32_e32 v4, s6, v9
	s_add_u32 s2, s16, s0
	s_addc_u32 s1, s17, s1
	s_ashr_i32 s0, s5, 31
	v_and_b32_e32 v24, 7, v0
	s_mul_i32 s0, s18, s0
	v_lshrrev_b32_e32 v25, 5, v5
	v_add3_u32 v3, v3, s0, v8
	v_lshlrev_b32_e32 v6, 4, v6
	v_ashrrev_i32_e32 v5, 31, v4
	v_lshlrev_b32_e32 v8, 4, v24
	s_waitcnt lgkmcnt(0)
	v_cmp_gt_i32_e64 s0, s4, v7
	v_lshlrev_b64 v[2:3], 4, v[2:3]
	v_lshl_or_b32 v26, v25, 9, v6
	v_lshlrev_b64 v[5:6], 4, v[4:5]
	v_lshl_or_b32 v7, v9, 7, v8
	v_mov_b32_e32 v8, 0
	v_mov_b32_e32 v10, 0
	v_add_co_u32 v27, vcc_lo, s2, v2
	v_add_co_ci_u32_e64 v28, null, s1, v3, vcc_lo
	v_cmp_gt_i32_e32 vcc_lo, s4, v4
	v_add_co_u32 v30, s1, s3, v5
	v_mov_b32_e32 v12, 0
	v_mov_b32_e32 v14, 0
	;; [unrolled: 1-line block ×6, first 2 shown]
	v_add_nc_u32_e32 v29, 0x1000, v7
	v_add_co_ci_u32_e64 v31, null, s7, v6, s1
	v_lshlrev_b32_e32 v32, 4, v0
	v_lshl_add_u32 v33, v1, 7, 0x1000
	v_mov_b32_e32 v9, 0
	v_mov_b32_e32 v11, 0
	;; [unrolled: 1-line block ×9, first 2 shown]
	s_mov_b64 s[2:3], 0
	s_xor_b32 s1, vcc_lo, -1
	s_branch .LBB259_7
.LBB259_6:                              ;   in Loop: Header=BB259_7 Depth=1
	s_or_b32 exec_lo, exec_lo, s7
	s_waitcnt lgkmcnt(0)
	s_barrier
	buffer_gl0_inv
	ds_read_b128 v[4:7], v33
	ds_read_b128 v[34:37], v32
	ds_read_b128 v[38:41], v32 offset:256
	ds_read_b128 v[42:45], v33 offset:2048
	;; [unrolled: 1-line block ×12, first 2 shown]
	s_add_u32 s2, s2, 8
	s_addc_u32 s3, s3, 0
	v_cmp_gt_i64_e64 s7, s[12:13], s[2:3]
	s_and_b32 vcc_lo, exec_lo, s7
	s_waitcnt lgkmcnt(12)
	v_mul_f64 v[86:87], v[6:7], v[36:37]
	v_mul_f64 v[88:89], v[4:5], v[36:37]
	s_waitcnt lgkmcnt(11)
	v_mul_f64 v[90:91], v[6:7], v[40:41]
	v_mul_f64 v[92:93], v[4:5], v[40:41]
	;; [unrolled: 3-line block ×3, first 2 shown]
	v_mul_f64 v[96:97], v[44:45], v[40:41]
	v_mul_f64 v[40:41], v[42:43], v[40:41]
	s_waitcnt lgkmcnt(8)
	v_mul_f64 v[98:99], v[48:49], v[52:53]
	v_mul_f64 v[100:101], v[46:47], v[52:53]
	s_waitcnt lgkmcnt(7)
	;; [unrolled: 3-line block ×3, first 2 shown]
	v_mul_f64 v[106:107], v[60:61], v[52:53]
	v_mul_f64 v[52:53], v[58:59], v[52:53]
	;; [unrolled: 1-line block ×4, first 2 shown]
	s_waitcnt lgkmcnt(3)
	v_mul_f64 v[112:113], v[72:73], v[64:65]
	v_mul_f64 v[116:117], v[70:71], v[64:65]
	;; [unrolled: 1-line block ×4, first 2 shown]
	s_waitcnt lgkmcnt(1)
	v_mul_f64 v[122:123], v[80:81], v[64:65]
	v_mul_f64 v[64:65], v[78:79], v[64:65]
	v_fma_f64 v[86:87], v[4:5], v[34:35], -v[86:87]
	v_fma_f64 v[88:89], v[6:7], v[34:35], v[88:89]
	v_fma_f64 v[90:91], v[4:5], v[38:39], -v[90:91]
	v_fma_f64 v[92:93], v[6:7], v[38:39], v[92:93]
	;; [unrolled: 2-line block ×8, first 2 shown]
	ds_read_b128 v[4:7], v32 offset:1536
	ds_read_b128 v[34:37], v32 offset:1792
	;; [unrolled: 1-line block ×6, first 2 shown]
	v_add_f64 v[54:55], v[20:21], v[86:87]
	v_add_f64 v[22:23], v[88:89], v[22:23]
	;; [unrolled: 1-line block ×3, first 2 shown]
	v_mul_f64 v[86:87], v[80:81], v[68:69]
	v_mul_f64 v[68:69], v[78:79], v[68:69]
	v_add_f64 v[88:89], v[92:93], v[18:19]
	v_add_f64 v[92:93], v[14:15], v[94:95]
	;; [unrolled: 1-line block ×5, first 2 shown]
	v_fma_f64 v[90:91], v[70:71], v[62:63], -v[112:113]
	v_fma_f64 v[94:95], v[72:73], v[62:63], v[116:117]
	v_fma_f64 v[70:71], v[70:71], v[66:67], -v[118:119]
	v_fma_f64 v[72:73], v[72:73], v[66:67], v[120:121]
	s_waitcnt lgkmcnt(5)
	v_mul_f64 v[108:109], v[76:77], v[6:7]
	v_mul_f64 v[110:111], v[74:75], v[6:7]
	v_fma_f64 v[112:113], v[78:79], v[62:63], -v[122:123]
	v_fma_f64 v[62:63], v[80:81], v[62:63], v[64:65]
	s_waitcnt lgkmcnt(4)
	v_mul_f64 v[64:65], v[76:77], v[36:37]
	v_mul_f64 v[116:117], v[74:75], v[36:37]
	ds_read_b128 v[14:17], v32 offset:2560
	ds_read_b128 v[18:21], v32 offset:2816
	v_add_f64 v[98:99], v[54:55], v[98:99]
	v_add_f64 v[22:23], v[100:101], v[22:23]
	;; [unrolled: 1-line block ×3, first 2 shown]
	v_mul_f64 v[102:103], v[84:85], v[6:7]
	v_mul_f64 v[6:7], v[82:83], v[6:7]
	v_add_f64 v[88:89], v[104:105], v[88:89]
	v_add_f64 v[92:93], v[92:93], v[106:107]
	v_fma_f64 v[78:79], v[78:79], v[66:67], -v[86:87]
	v_fma_f64 v[66:67], v[80:81], v[66:67], v[68:69]
	v_mul_f64 v[68:69], v[84:85], v[36:37]
	v_mul_f64 v[36:37], v[82:83], v[36:37]
	v_add_f64 v[12:13], v[124:125], v[12:13]
	v_add_f64 v[58:59], v[96:97], v[58:59]
	;; [unrolled: 1-line block ×3, first 2 shown]
	ds_read_b128 v[8:11], v33 offset:2112
	ds_read_b128 v[54:57], v33 offset:2128
	s_waitcnt lgkmcnt(5)
	v_mul_f64 v[80:81], v[48:49], v[40:41]
	v_mul_f64 v[86:87], v[46:47], v[40:41]
	;; [unrolled: 1-line block ×4, first 2 shown]
	v_fma_f64 v[106:107], v[74:75], v[4:5], -v[108:109]
	v_fma_f64 v[108:109], v[76:77], v[4:5], v[110:111]
	v_fma_f64 v[64:65], v[74:75], v[34:35], -v[64:65]
	v_fma_f64 v[74:75], v[76:77], v[34:35], v[116:117]
	v_add_f64 v[90:91], v[98:99], v[90:91]
	v_add_f64 v[22:23], v[94:95], v[22:23]
	;; [unrolled: 1-line block ×3, first 2 shown]
	v_fma_f64 v[94:95], v[82:83], v[4:5], -v[102:103]
	v_add_f64 v[72:73], v[72:73], v[88:89]
	v_add_f64 v[88:89], v[92:93], v[112:113]
	v_fma_f64 v[4:5], v[84:85], v[4:5], v[6:7]
	s_waitcnt lgkmcnt(3)
	v_mul_f64 v[98:99], v[52:53], v[16:17]
	v_fma_f64 v[6:7], v[82:83], v[34:35], -v[68:69]
	v_fma_f64 v[68:69], v[84:85], v[34:35], v[36:37]
	s_waitcnt lgkmcnt(1)
	v_mul_f64 v[76:77], v[10:11], v[40:41]
	v_mul_f64 v[40:41], v[8:9], v[40:41]
	;; [unrolled: 1-line block ×4, first 2 shown]
	v_add_f64 v[12:13], v[62:63], v[12:13]
	v_add_f64 v[58:59], v[58:59], v[78:79]
	;; [unrolled: 1-line block ×3, first 2 shown]
	v_mul_f64 v[100:101], v[50:51], v[16:17]
	v_mul_f64 v[62:63], v[52:53], v[20:21]
	v_fma_f64 v[78:79], v[46:47], v[38:39], -v[80:81]
	v_fma_f64 v[80:81], v[48:49], v[38:39], v[86:87]
	v_fma_f64 v[46:47], v[46:47], v[42:43], -v[104:105]
	v_fma_f64 v[48:49], v[48:49], v[42:43], v[96:97]
	v_add_f64 v[66:67], v[90:91], v[106:107]
	v_add_f64 v[82:83], v[108:109], v[22:23]
	;; [unrolled: 1-line block ×5, first 2 shown]
	s_waitcnt lgkmcnt(0)
	v_mul_f64 v[84:85], v[56:57], v[16:17]
	v_mul_f64 v[16:17], v[54:55], v[16:17]
	;; [unrolled: 1-line block ×4, first 2 shown]
	v_fma_f64 v[70:71], v[8:9], v[38:39], -v[76:77]
	v_mul_f64 v[76:77], v[50:51], v[20:21]
	v_fma_f64 v[90:91], v[10:11], v[38:39], v[40:41]
	v_fma_f64 v[8:9], v[8:9], v[42:43], -v[92:93]
	v_add_f64 v[12:13], v[4:5], v[12:13]
	v_add_f64 v[58:59], v[58:59], v[6:7]
	v_fma_f64 v[42:43], v[10:11], v[42:43], v[44:45]
	v_add_f64 v[44:45], v[68:69], v[60:61]
	ds_read_b128 v[4:7], v33 offset:96
	ds_read_b128 v[20:23], v32 offset:3072
	;; [unrolled: 1-line block ×4, first 2 shown]
	v_add_f64 v[60:61], v[66:67], v[78:79]
	v_add_f64 v[66:67], v[80:81], v[82:83]
	v_add_f64 v[46:47], v[64:65], v[46:47]
	v_fma_f64 v[64:65], v[50:51], v[14:15], -v[98:99]
	v_add_f64 v[48:49], v[48:49], v[72:73]
	v_fma_f64 v[50:51], v[50:51], v[18:19], -v[62:63]
	v_fma_f64 v[62:63], v[54:55], v[14:15], -v[84:85]
	v_fma_f64 v[72:73], v[56:57], v[14:15], v[16:17]
	v_fma_f64 v[54:55], v[54:55], v[18:19], -v[86:87]
	v_add_f64 v[68:69], v[74:75], v[70:71]
	v_fma_f64 v[70:71], v[52:53], v[14:15], v[100:101]
	v_fma_f64 v[52:53], v[52:53], v[18:19], v[76:77]
	;; [unrolled: 1-line block ×3, first 2 shown]
	v_add_f64 v[74:75], v[90:91], v[12:13]
	v_add_f64 v[58:59], v[58:59], v[8:9]
	s_waitcnt lgkmcnt(2)
	v_mul_f64 v[76:77], v[6:7], v[22:23]
	v_mul_f64 v[78:79], v[4:5], v[22:23]
	s_waitcnt lgkmcnt(1)
	v_mul_f64 v[80:81], v[6:7], v[36:37]
	v_mul_f64 v[82:83], v[4:5], v[36:37]
	;; [unrolled: 3-line block ×3, first 2 shown]
	v_mul_f64 v[86:87], v[40:41], v[36:37]
	v_add_f64 v[88:89], v[42:43], v[44:45]
	v_mul_f64 v[36:37], v[38:39], v[36:37]
	ds_read_b128 v[8:11], v33 offset:112
	ds_read_b128 v[12:15], v33 offset:2160
	;; [unrolled: 1-line block ×4, first 2 shown]
	v_add_f64 v[60:61], v[60:61], v[64:65]
	v_add_f64 v[46:47], v[46:47], v[50:51]
	s_waitcnt lgkmcnt(0)
	s_barrier
	v_add_f64 v[50:51], v[68:69], v[62:63]
	v_add_f64 v[64:65], v[70:71], v[66:67]
	;; [unrolled: 1-line block ×3, first 2 shown]
	buffer_gl0_inv
	v_add_f64 v[52:53], v[72:73], v[74:75]
	v_add_f64 v[54:55], v[58:59], v[54:55]
	v_fma_f64 v[58:59], v[4:5], v[20:21], -v[76:77]
	v_fma_f64 v[62:63], v[6:7], v[20:21], v[78:79]
	v_fma_f64 v[4:5], v[4:5], v[34:35], -v[80:81]
	v_fma_f64 v[6:7], v[6:7], v[34:35], v[82:83]
	;; [unrolled: 2-line block ×3, first 2 shown]
	v_fma_f64 v[22:23], v[38:39], v[34:35], -v[86:87]
	v_add_f64 v[38:39], v[56:57], v[88:89]
	v_fma_f64 v[34:35], v[40:41], v[34:35], v[36:37]
	v_mul_f64 v[36:37], v[10:11], v[18:19]
	v_mul_f64 v[40:41], v[8:9], v[18:19]
	v_mul_f64 v[56:57], v[10:11], v[44:45]
	v_mul_f64 v[68:69], v[8:9], v[44:45]
	v_mul_f64 v[70:71], v[14:15], v[18:19]
	v_mul_f64 v[18:19], v[12:13], v[18:19]
	v_mul_f64 v[72:73], v[14:15], v[44:45]
	v_mul_f64 v[44:45], v[12:13], v[44:45]
	v_add_f64 v[58:59], v[60:61], v[58:59]
	v_add_f64 v[60:61], v[62:63], v[64:65]
	;; [unrolled: 1-line block ×8, first 2 shown]
	v_fma_f64 v[20:21], v[8:9], v[16:17], -v[36:37]
	v_fma_f64 v[22:23], v[10:11], v[16:17], v[40:41]
	v_fma_f64 v[8:9], v[8:9], v[42:43], -v[56:57]
	v_fma_f64 v[10:11], v[10:11], v[42:43], v[68:69]
	;; [unrolled: 2-line block ×4, first 2 shown]
	v_add_f64 v[20:21], v[58:59], v[20:21]
	v_add_f64 v[22:23], v[22:23], v[60:61]
	;; [unrolled: 1-line block ×8, first 2 shown]
	s_cbranch_vccz .LBB259_15
.LBB259_7:                              ; =>This Inner Loop Header: Depth=1
	v_mov_b32_e32 v4, 0
	v_mov_b32_e32 v6, 0
	;; [unrolled: 1-line block ×4, first 2 shown]
	s_and_saveexec_b32 s7, s0
	s_cbranch_execz .LBB259_11
; %bb.8:                                ;   in Loop: Header=BB259_7 Depth=1
	v_mov_b32_e32 v6, 0
	v_mov_b32_e32 v4, 0
	v_add_nc_u32_e32 v2, s2, v25
	v_mov_b32_e32 v7, 0
	v_mov_b32_e32 v5, 0
	s_mov_b32 s10, exec_lo
	v_cmpx_gt_u64_e64 s[12:13], v[2:3]
	s_cbranch_execz .LBB259_10
; %bb.9:                                ;   in Loop: Header=BB259_7 Depth=1
	v_lshlrev_b64 v[4:5], 4, v[2:3]
	v_add_co_u32 v4, vcc_lo, v27, v4
	v_add_co_ci_u32_e64 v5, null, v28, v5, vcc_lo
	global_load_dwordx4 v[4:7], v[4:5], off
	s_waitcnt vmcnt(0)
	v_xor_b32_e32 v7, 0x80000000, v7
.LBB259_10:                             ;   in Loop: Header=BB259_7 Depth=1
	s_or_b32 exec_lo, exec_lo, s10
.LBB259_11:                             ;   in Loop: Header=BB259_7 Depth=1
	s_or_b32 exec_lo, exec_lo, s7
	v_add_nc_u32_e32 v2, s2, v24
	ds_write_b128 v26, v[4:7]
	v_cmp_le_u64_e32 vcc_lo, s[12:13], v[2:3]
	s_or_b32 s7, vcc_lo, s1
	s_and_saveexec_b32 s10, s7
	s_xor_b32 s7, exec_lo, s10
	s_cbranch_execz .LBB259_13
; %bb.12:                               ;   in Loop: Header=BB259_7 Depth=1
	v_mov_b32_e32 v2, v3
	v_mov_b32_e32 v4, v3
	;; [unrolled: 1-line block ×3, first 2 shown]
	ds_write_b128 v29, v[2:5]
.LBB259_13:                             ;   in Loop: Header=BB259_7 Depth=1
	s_andn2_saveexec_b32 s7, s7
	s_cbranch_execz .LBB259_6
; %bb.14:                               ;   in Loop: Header=BB259_7 Depth=1
	v_mad_u64_u32 v[4:5], null, s24, v2, 0
	v_mad_u64_u32 v[5:6], null, s25, v2, v[5:6]
	v_lshlrev_b64 v[4:5], 4, v[4:5]
	v_add_co_u32 v4, vcc_lo, v30, v4
	v_add_co_ci_u32_e64 v5, null, v31, v5, vcc_lo
	global_load_dwordx4 v[4:7], v[4:5], off
	s_waitcnt vmcnt(0)
	ds_write2_b64 v29, v[4:5], v[6:7] offset1:1
	s_branch .LBB259_6
.LBB259_15:
	v_add_nc_u32_e32 v25, s6, v1
	v_cmp_neq_f64_e64 s6, s[28:29], 0
	s_mul_i32 s1, s43, s8
	s_mul_hi_u32 s2, s42, s8
	s_mul_i32 s0, s42, s8
	v_ashrrev_i32_e32 v3, 31, v25
	v_mul_lo_u32 v5, s41, v25
	v_mad_u64_u32 v[1:2], null, s40, v25, 0
	s_add_i32 s1, s2, s1
	v_mul_lo_u32 v3, s40, v3
	v_add_nc_u32_e32 v4, s5, v0
	s_lshl_b64 s[2:3], s[0:1], 4
	s_waitcnt lgkmcnt(0)
	v_cmp_gt_i32_e64 s0, s4, v25
	s_add_u32 s2, s38, s2
	s_addc_u32 s3, s39, s3
	s_xor_b32 s5, s9, -1
	v_cmp_le_i32_e32 vcc_lo, v4, v25
	v_add3_u32 v2, v2, v3, v5
	v_ashrrev_i32_e32 v5, 31, v4
	s_or_b32 s5, s6, s5
	v_lshlrev_b64 v[0:1], 4, v[1:2]
	v_cndmask_b32_e64 v24, 0, 1, s5
	s_and_b32 s6, s0, vcc_lo
	v_add_co_u32 v26, s1, s2, v0
	v_add_co_ci_u32_e64 v27, null, s3, v1, s1
	s_and_saveexec_b32 s1, s6
	s_cbranch_execz .LBB259_19
; %bb.16:
	v_mul_f64 v[0:1], s[46:47], v[22:23]
	v_mul_f64 v[2:3], s[44:45], v[22:23]
	v_lshlrev_b64 v[6:7], 4, v[4:5]
	v_add_co_u32 v6, vcc_lo, v26, v6
	v_add_co_ci_u32_e64 v7, null, v27, v7, vcc_lo
	s_andn2_b32 vcc_lo, exec_lo, s5
	v_fma_f64 v[0:1], s[44:45], v[20:21], -v[0:1]
	v_fma_f64 v[2:3], s[46:47], v[20:21], v[2:3]
	s_cbranch_vccnz .LBB259_18
; %bb.17:
	global_load_dwordx4 v[20:23], v[6:7], off
	s_waitcnt vmcnt(0)
	v_mul_f64 v[28:29], s[30:31], v[22:23]
	v_mul_f64 v[22:23], s[28:29], v[22:23]
	v_fma_f64 v[28:29], s[28:29], v[20:21], -v[28:29]
	v_fma_f64 v[20:21], s[30:31], v[20:21], v[22:23]
	v_add_f64 v[0:1], v[0:1], v[28:29]
	v_add_f64 v[2:3], v[2:3], v[20:21]
.LBB259_18:
	global_store_dwordx4 v[6:7], v[0:3], off
.LBB259_19:
	s_or_b32 exec_lo, exec_lo, s1
	v_add_nc_u32_e32 v6, 16, v4
	v_cmp_le_i32_e32 vcc_lo, v6, v25
	v_ashrrev_i32_e32 v7, 31, v6
	s_and_b32 s0, s0, vcc_lo
	s_and_saveexec_b32 s1, s0
	s_cbranch_execz .LBB259_23
; %bb.20:
	v_mul_f64 v[0:1], s[46:47], v[18:19]
	v_mul_f64 v[2:3], s[44:45], v[18:19]
	v_cmp_ne_u32_e32 vcc_lo, 1, v24
	s_and_b32 vcc_lo, exec_lo, vcc_lo
	v_fma_f64 v[0:1], s[44:45], v[16:17], -v[0:1]
	v_fma_f64 v[2:3], s[46:47], v[16:17], v[2:3]
	v_lshlrev_b64 v[16:17], 4, v[6:7]
	v_add_co_u32 v16, s0, v26, v16
	v_add_co_ci_u32_e64 v17, null, v27, v17, s0
	s_cbranch_vccnz .LBB259_22
; %bb.21:
	global_load_dwordx4 v[18:21], v[16:17], off
	s_waitcnt vmcnt(0)
	v_mul_f64 v[22:23], s[30:31], v[20:21]
	v_mul_f64 v[20:21], s[28:29], v[20:21]
	v_fma_f64 v[22:23], s[28:29], v[18:19], -v[22:23]
	v_fma_f64 v[18:19], s[30:31], v[18:19], v[20:21]
	v_add_f64 v[0:1], v[0:1], v[22:23]
	v_add_f64 v[2:3], v[2:3], v[18:19]
.LBB259_22:
	global_store_dwordx4 v[16:17], v[0:3], off
.LBB259_23:
	s_or_b32 exec_lo, exec_lo, s1
	v_add_nc_u32_e32 v18, 16, v25
	v_ashrrev_i32_e32 v2, 31, v18
	v_mul_lo_u32 v3, s41, v18
	v_mad_u64_u32 v[0:1], null, s40, v18, 0
	v_cmp_gt_i32_e64 s0, s4, v18
	v_mul_lo_u32 v2, s40, v2
	v_cmp_le_i32_e32 vcc_lo, v4, v18
	v_add3_u32 v1, v1, v2, v3
	v_lshlrev_b64 v[0:1], 4, v[0:1]
	v_add_co_u32 v16, s1, s2, v0
	v_add_co_ci_u32_e64 v17, null, s3, v1, s1
	s_and_b32 s1, s0, vcc_lo
	s_and_saveexec_b32 s2, s1
	s_cbranch_execz .LBB259_27
; %bb.24:
	v_mul_f64 v[0:1], s[46:47], v[12:13]
	v_mul_f64 v[2:3], s[44:45], v[12:13]
	v_lshlrev_b64 v[4:5], 4, v[4:5]
	v_cmp_ne_u32_e32 vcc_lo, 1, v24
	s_and_b32 vcc_lo, exec_lo, vcc_lo
	v_add_co_u32 v4, s1, v16, v4
	v_add_co_ci_u32_e64 v5, null, v17, v5, s1
	v_fma_f64 v[0:1], s[44:45], v[14:15], -v[0:1]
	v_fma_f64 v[2:3], s[46:47], v[14:15], v[2:3]
	s_cbranch_vccnz .LBB259_26
; %bb.25:
	global_load_dwordx4 v[12:15], v[4:5], off
	s_waitcnt vmcnt(0)
	v_mul_f64 v[19:20], s[30:31], v[14:15]
	v_mul_f64 v[14:15], s[28:29], v[14:15]
	v_fma_f64 v[19:20], s[28:29], v[12:13], -v[19:20]
	v_fma_f64 v[12:13], s[30:31], v[12:13], v[14:15]
	v_add_f64 v[0:1], v[0:1], v[19:20]
	v_add_f64 v[2:3], v[2:3], v[12:13]
.LBB259_26:
	global_store_dwordx4 v[4:5], v[0:3], off
.LBB259_27:
	s_or_b32 exec_lo, exec_lo, s2
	v_cmp_le_i32_e32 vcc_lo, v6, v18
	s_and_b32 s0, s0, vcc_lo
	s_and_saveexec_b32 s1, s0
	s_cbranch_execz .LBB259_32
; %bb.28:
	v_mul_f64 v[0:1], s[46:47], v[8:9]
	v_mul_f64 v[2:3], s[44:45], v[8:9]
	v_lshlrev_b64 v[4:5], 4, v[6:7]
	v_cmp_ne_u32_e32 vcc_lo, 1, v24
	s_and_b32 vcc_lo, exec_lo, vcc_lo
	v_add_co_u32 v4, s0, v16, v4
	v_add_co_ci_u32_e64 v5, null, v17, v5, s0
	v_fma_f64 v[0:1], s[44:45], v[10:11], -v[0:1]
	v_fma_f64 v[2:3], s[46:47], v[10:11], v[2:3]
	s_cbranch_vccnz .LBB259_30
; %bb.29:
	global_load_dwordx4 v[6:9], v[4:5], off
	s_waitcnt vmcnt(0)
	v_mul_f64 v[10:11], s[30:31], v[8:9]
	v_mul_f64 v[8:9], s[28:29], v[8:9]
	v_fma_f64 v[10:11], s[28:29], v[6:7], -v[10:11]
	v_fma_f64 v[6:7], s[30:31], v[6:7], v[8:9]
	v_add_f64 v[0:1], v[0:1], v[10:11]
	v_add_f64 v[2:3], v[2:3], v[6:7]
.LBB259_30:
	global_store_dwordx4 v[4:5], v[0:3], off
	s_endpgm
.LBB259_31:
.LBB259_32:
	s_endpgm
	.section	.rodata,"a",@progbits
	.p2align	6, 0x0
	.amdhsa_kernel _ZL29rocblas_internal_gemmt_kernelIlLi16ELi32ELi8ELc67ELc84ELc85ELb1ELb0E19rocblas_complex_numIdEPKS1_S3_PS1_EviT_T9_T10_S5_lS7_S5_lS6_T11_S5_li
		.amdhsa_group_segment_fixed_size 8192
		.amdhsa_private_segment_fixed_size 0
		.amdhsa_kernarg_size 108
		.amdhsa_user_sgpr_count 6
		.amdhsa_user_sgpr_private_segment_buffer 1
		.amdhsa_user_sgpr_dispatch_ptr 0
		.amdhsa_user_sgpr_queue_ptr 0
		.amdhsa_user_sgpr_kernarg_segment_ptr 1
		.amdhsa_user_sgpr_dispatch_id 0
		.amdhsa_user_sgpr_flat_scratch_init 0
		.amdhsa_user_sgpr_private_segment_size 0
		.amdhsa_wavefront_size32 1
		.amdhsa_uses_dynamic_stack 0
		.amdhsa_system_sgpr_private_segment_wavefront_offset 0
		.amdhsa_system_sgpr_workgroup_id_x 1
		.amdhsa_system_sgpr_workgroup_id_y 1
		.amdhsa_system_sgpr_workgroup_id_z 1
		.amdhsa_system_sgpr_workgroup_info 0
		.amdhsa_system_vgpr_workitem_id 1
		.amdhsa_next_free_vgpr 126
		.amdhsa_next_free_sgpr 48
		.amdhsa_reserve_vcc 1
		.amdhsa_reserve_flat_scratch 0
		.amdhsa_float_round_mode_32 0
		.amdhsa_float_round_mode_16_64 0
		.amdhsa_float_denorm_mode_32 3
		.amdhsa_float_denorm_mode_16_64 3
		.amdhsa_dx10_clamp 1
		.amdhsa_ieee_mode 1
		.amdhsa_fp16_overflow 0
		.amdhsa_workgroup_processor_mode 1
		.amdhsa_memory_ordered 1
		.amdhsa_forward_progress 1
		.amdhsa_shared_vgpr_count 0
		.amdhsa_exception_fp_ieee_invalid_op 0
		.amdhsa_exception_fp_denorm_src 0
		.amdhsa_exception_fp_ieee_div_zero 0
		.amdhsa_exception_fp_ieee_overflow 0
		.amdhsa_exception_fp_ieee_underflow 0
		.amdhsa_exception_fp_ieee_inexact 0
		.amdhsa_exception_int_div_zero 0
	.end_amdhsa_kernel
	.section	.text._ZL29rocblas_internal_gemmt_kernelIlLi16ELi32ELi8ELc67ELc84ELc85ELb1ELb0E19rocblas_complex_numIdEPKS1_S3_PS1_EviT_T9_T10_S5_lS7_S5_lS6_T11_S5_li,"axG",@progbits,_ZL29rocblas_internal_gemmt_kernelIlLi16ELi32ELi8ELc67ELc84ELc85ELb1ELb0E19rocblas_complex_numIdEPKS1_S3_PS1_EviT_T9_T10_S5_lS7_S5_lS6_T11_S5_li,comdat
.Lfunc_end259:
	.size	_ZL29rocblas_internal_gemmt_kernelIlLi16ELi32ELi8ELc67ELc84ELc85ELb1ELb0E19rocblas_complex_numIdEPKS1_S3_PS1_EviT_T9_T10_S5_lS7_S5_lS6_T11_S5_li, .Lfunc_end259-_ZL29rocblas_internal_gemmt_kernelIlLi16ELi32ELi8ELc67ELc84ELc85ELb1ELb0E19rocblas_complex_numIdEPKS1_S3_PS1_EviT_T9_T10_S5_lS7_S5_lS6_T11_S5_li
                                        ; -- End function
	.set _ZL29rocblas_internal_gemmt_kernelIlLi16ELi32ELi8ELc67ELc84ELc85ELb1ELb0E19rocblas_complex_numIdEPKS1_S3_PS1_EviT_T9_T10_S5_lS7_S5_lS6_T11_S5_li.num_vgpr, 126
	.set _ZL29rocblas_internal_gemmt_kernelIlLi16ELi32ELi8ELc67ELc84ELc85ELb1ELb0E19rocblas_complex_numIdEPKS1_S3_PS1_EviT_T9_T10_S5_lS7_S5_lS6_T11_S5_li.num_agpr, 0
	.set _ZL29rocblas_internal_gemmt_kernelIlLi16ELi32ELi8ELc67ELc84ELc85ELb1ELb0E19rocblas_complex_numIdEPKS1_S3_PS1_EviT_T9_T10_S5_lS7_S5_lS6_T11_S5_li.numbered_sgpr, 48
	.set _ZL29rocblas_internal_gemmt_kernelIlLi16ELi32ELi8ELc67ELc84ELc85ELb1ELb0E19rocblas_complex_numIdEPKS1_S3_PS1_EviT_T9_T10_S5_lS7_S5_lS6_T11_S5_li.num_named_barrier, 0
	.set _ZL29rocblas_internal_gemmt_kernelIlLi16ELi32ELi8ELc67ELc84ELc85ELb1ELb0E19rocblas_complex_numIdEPKS1_S3_PS1_EviT_T9_T10_S5_lS7_S5_lS6_T11_S5_li.private_seg_size, 0
	.set _ZL29rocblas_internal_gemmt_kernelIlLi16ELi32ELi8ELc67ELc84ELc85ELb1ELb0E19rocblas_complex_numIdEPKS1_S3_PS1_EviT_T9_T10_S5_lS7_S5_lS6_T11_S5_li.uses_vcc, 1
	.set _ZL29rocblas_internal_gemmt_kernelIlLi16ELi32ELi8ELc67ELc84ELc85ELb1ELb0E19rocblas_complex_numIdEPKS1_S3_PS1_EviT_T9_T10_S5_lS7_S5_lS6_T11_S5_li.uses_flat_scratch, 0
	.set _ZL29rocblas_internal_gemmt_kernelIlLi16ELi32ELi8ELc67ELc84ELc85ELb1ELb0E19rocblas_complex_numIdEPKS1_S3_PS1_EviT_T9_T10_S5_lS7_S5_lS6_T11_S5_li.has_dyn_sized_stack, 0
	.set _ZL29rocblas_internal_gemmt_kernelIlLi16ELi32ELi8ELc67ELc84ELc85ELb1ELb0E19rocblas_complex_numIdEPKS1_S3_PS1_EviT_T9_T10_S5_lS7_S5_lS6_T11_S5_li.has_recursion, 0
	.set _ZL29rocblas_internal_gemmt_kernelIlLi16ELi32ELi8ELc67ELc84ELc85ELb1ELb0E19rocblas_complex_numIdEPKS1_S3_PS1_EviT_T9_T10_S5_lS7_S5_lS6_T11_S5_li.has_indirect_call, 0
	.section	.AMDGPU.csdata,"",@progbits
; Kernel info:
; codeLenInByte = 3548
; TotalNumSgprs: 50
; NumVgprs: 126
; ScratchSize: 0
; MemoryBound: 1
; FloatMode: 240
; IeeeMode: 1
; LDSByteSize: 8192 bytes/workgroup (compile time only)
; SGPRBlocks: 0
; VGPRBlocks: 15
; NumSGPRsForWavesPerEU: 50
; NumVGPRsForWavesPerEU: 126
; Occupancy: 8
; WaveLimiterHint : 0
; COMPUTE_PGM_RSRC2:SCRATCH_EN: 0
; COMPUTE_PGM_RSRC2:USER_SGPR: 6
; COMPUTE_PGM_RSRC2:TRAP_HANDLER: 0
; COMPUTE_PGM_RSRC2:TGID_X_EN: 1
; COMPUTE_PGM_RSRC2:TGID_Y_EN: 1
; COMPUTE_PGM_RSRC2:TGID_Z_EN: 1
; COMPUTE_PGM_RSRC2:TIDIG_COMP_CNT: 1
	.section	.text._ZL29rocblas_internal_gemmt_kernelIlLi16ELi32ELi8ELc67ELc67ELc85ELb1ELb1E19rocblas_complex_numIdEPKS1_S3_PS1_EviT_T9_T10_S5_lS7_S5_lS6_T11_S5_li,"axG",@progbits,_ZL29rocblas_internal_gemmt_kernelIlLi16ELi32ELi8ELc67ELc67ELc85ELb1ELb1E19rocblas_complex_numIdEPKS1_S3_PS1_EviT_T9_T10_S5_lS7_S5_lS6_T11_S5_li,comdat
	.globl	_ZL29rocblas_internal_gemmt_kernelIlLi16ELi32ELi8ELc67ELc67ELc85ELb1ELb1E19rocblas_complex_numIdEPKS1_S3_PS1_EviT_T9_T10_S5_lS7_S5_lS6_T11_S5_li ; -- Begin function _ZL29rocblas_internal_gemmt_kernelIlLi16ELi32ELi8ELc67ELc67ELc85ELb1ELb1E19rocblas_complex_numIdEPKS1_S3_PS1_EviT_T9_T10_S5_lS7_S5_lS6_T11_S5_li
	.p2align	8
	.type	_ZL29rocblas_internal_gemmt_kernelIlLi16ELi32ELi8ELc67ELc67ELc85ELb1ELb1E19rocblas_complex_numIdEPKS1_S3_PS1_EviT_T9_T10_S5_lS7_S5_lS6_T11_S5_li,@function
_ZL29rocblas_internal_gemmt_kernelIlLi16ELi32ELi8ELc67ELc67ELc85ELb1ELb1E19rocblas_complex_numIdEPKS1_S3_PS1_EviT_T9_T10_S5_lS7_S5_lS6_T11_S5_li: ; @_ZL29rocblas_internal_gemmt_kernelIlLi16ELi32ELi8ELc67ELc67ELc85ELb1ELb1E19rocblas_complex_numIdEPKS1_S3_PS1_EviT_T9_T10_S5_lS7_S5_lS6_T11_S5_li
; %bb.0:
	s_load_dwordx8 s[36:43], s[4:5], 0x48
	s_waitcnt lgkmcnt(0)
	s_load_dwordx4 s[28:31], s[36:37], 0x0
	s_load_dwordx16 s[12:27], s[4:5], 0x8
	s_waitcnt lgkmcnt(0)
	v_cmp_eq_f64_e64 s0, s[28:29], 1.0
	v_cmp_eq_f64_e64 s9, s[30:31], 0
	s_load_dwordx4 s[44:47], s[14:15], 0x0
	s_and_b32 s0, s0, s9
	s_andn2_b32 vcc_lo, exec_lo, s0
	s_mov_b32 s0, -1
	s_cbranch_vccnz .LBB260_3
; %bb.1:
	s_cmp_lg_u64 s[12:13], 0
	s_cbranch_scc0 .LBB260_29
; %bb.2:
	s_waitcnt lgkmcnt(0)
	v_cmp_neq_f64_e64 s0, s[44:45], 0
	v_cmp_neq_f64_e64 s1, s[46:47], 0
	s_or_b32 s0, s0, s1
.LBB260_3:
	s_and_b32 vcc_lo, exec_lo, s0
	s_cbranch_vccz .LBB260_30
; %bb.4:
	s_waitcnt lgkmcnt(0)
	v_cmp_eq_f64_e64 s0, s[44:45], 0
	v_cmp_eq_f64_e64 s1, s[46:47], 0
	s_load_dword s4, s[4:5], 0x0
	v_cmp_lt_i64_e64 s2, s[12:13], 1
	v_mov_b32_e32 v24, 0
	v_mov_b32_e32 v26, 0
	;; [unrolled: 1-line block ×16, first 2 shown]
	s_lshl_b32 s5, s6, 5
	s_lshl_b32 s6, s7, 5
	s_and_b32 s0, s0, s1
	s_or_b32 s0, s0, s2
	s_and_b32 vcc_lo, exec_lo, s0
	s_cbranch_vccnz .LBB260_13
; %bb.5:
	v_lshl_add_u32 v5, v1, 4, v0
	s_mul_i32 s1, s27, s8
	s_mul_hi_u32 s2, s26, s8
	s_mul_i32 s0, s26, s8
	s_add_i32 s1, s2, s1
	v_and_b32_e32 v6, 31, v5
	s_lshl_b64 s[0:1], s[0:1], 4
	s_mul_i32 s2, s21, s8
	s_add_u32 s3, s22, s0
	s_addc_u32 s7, s23, s1
	v_or_b32_e32 v7, s5, v6
	s_mul_hi_u32 s1, s20, s8
	s_mul_i32 s0, s20, s8
	s_add_i32 s1, s1, s2
	v_lshrrev_b32_e32 v9, 3, v5
	v_mul_lo_u32 v8, s19, v7
	v_mad_u64_u32 v[2:3], null, s18, v7, 0
	s_lshl_b64 s[0:1], s[0:1], 4
	v_add_nc_u32_e32 v4, s6, v9
	s_add_u32 s2, s16, s0
	s_addc_u32 s1, s17, s1
	s_ashr_i32 s0, s5, 31
	v_and_b32_e32 v28, 7, v0
	s_mul_i32 s0, s18, s0
	v_lshrrev_b32_e32 v29, 5, v5
	v_add3_u32 v3, v3, s0, v8
	v_lshlrev_b32_e32 v6, 4, v6
	v_ashrrev_i32_e32 v5, 31, v4
	v_lshlrev_b32_e32 v8, 4, v28
	s_waitcnt lgkmcnt(0)
	v_cmp_gt_i32_e64 s0, s4, v7
	v_lshlrev_b64 v[2:3], 4, v[2:3]
	v_lshl_or_b32 v30, v29, 9, v6
	v_lshlrev_b64 v[5:6], 4, v[4:5]
	v_lshl_or_b32 v7, v9, 7, v8
	v_mov_b32_e32 v12, 0
	v_mov_b32_e32 v14, 0
	v_add_co_u32 v31, vcc_lo, s2, v2
	v_add_co_ci_u32_e64 v32, null, s1, v3, vcc_lo
	v_add_co_u32 v34, vcc_lo, s3, v5
	v_mov_b32_e32 v18, 0
	v_mov_b32_e32 v16, 0
	;; [unrolled: 1-line block ×6, first 2 shown]
	v_cmp_gt_i32_e64 s1, s4, v4
	v_add_nc_u32_e32 v33, 0x1000, v7
	v_add_co_ci_u32_e64 v35, null, s7, v6, vcc_lo
	v_lshlrev_b32_e32 v36, 4, v0
	v_lshl_add_u32 v37, v1, 7, 0x1000
	v_mov_b32_e32 v13, 0
	v_mov_b32_e32 v15, 0
	;; [unrolled: 1-line block ×9, first 2 shown]
	s_mov_b64 s[2:3], 0
	s_branch .LBB260_7
.LBB260_6:                              ;   in Loop: Header=BB260_7 Depth=1
	s_or_b32 exec_lo, exec_lo, s7
	ds_write_b128 v33, v[6:9]
	s_waitcnt lgkmcnt(0)
	s_barrier
	buffer_gl0_inv
	ds_read_b128 v[2:5], v37
	ds_read_b128 v[6:9], v36
	ds_read_b128 v[38:41], v36 offset:256
	ds_read_b128 v[42:45], v37 offset:2048
	;; [unrolled: 1-line block ×11, first 2 shown]
	s_add_u32 s2, s2, 8
	s_addc_u32 s3, s3, 0
	v_cmp_gt_i64_e64 s7, s[12:13], s[2:3]
	s_waitcnt lgkmcnt(11)
	v_mul_f64 v[82:83], v[4:5], v[8:9]
	v_mul_f64 v[84:85], v[2:3], v[8:9]
	s_waitcnt lgkmcnt(10)
	v_mul_f64 v[86:87], v[4:5], v[40:41]
	v_mul_f64 v[88:89], v[2:3], v[40:41]
	;; [unrolled: 3-line block ×3, first 2 shown]
	v_mul_f64 v[92:93], v[44:45], v[40:41]
	v_mul_f64 v[40:41], v[42:43], v[40:41]
	s_waitcnt lgkmcnt(7)
	v_mul_f64 v[94:95], v[48:49], v[52:53]
	v_mul_f64 v[96:97], v[46:47], v[52:53]
	s_waitcnt lgkmcnt(6)
	v_mul_f64 v[98:99], v[48:49], v[56:57]
	s_waitcnt lgkmcnt(5)
	v_mul_f64 v[102:103], v[60:61], v[52:53]
	v_mul_f64 v[52:53], v[58:59], v[52:53]
	;; [unrolled: 1-line block ×5, first 2 shown]
	s_waitcnt lgkmcnt(3)
	v_mul_f64 v[106:107], v[68:69], v[64:65]
	v_mul_f64 v[108:109], v[66:67], v[64:65]
	s_and_b32 vcc_lo, exec_lo, s7
	v_fma_f64 v[82:83], v[2:3], v[6:7], -v[82:83]
	v_fma_f64 v[84:85], v[4:5], v[6:7], v[84:85]
	v_fma_f64 v[86:87], v[2:3], v[38:39], -v[86:87]
	v_fma_f64 v[88:89], v[4:5], v[38:39], v[88:89]
	;; [unrolled: 2-line block ×3, first 2 shown]
	v_fma_f64 v[92:93], v[42:43], v[38:39], -v[92:93]
	ds_read_b128 v[2:5], v36 offset:1536
	s_waitcnt lgkmcnt(3)
	v_mul_f64 v[110:111], v[68:69], v[72:73]
	v_mul_f64 v[112:113], v[66:67], v[72:73]
	v_fma_f64 v[116:117], v[44:45], v[38:39], v[40:41]
	v_fma_f64 v[94:95], v[46:47], v[50:51], -v[94:95]
	v_fma_f64 v[96:97], v[48:49], v[50:51], v[96:97]
	v_fma_f64 v[46:47], v[46:47], v[54:55], -v[98:99]
	s_waitcnt lgkmcnt(2)
	v_mul_f64 v[42:43], v[76:77], v[64:65]
	v_fma_f64 v[98:99], v[58:59], v[50:51], -v[102:103]
	v_fma_f64 v[50:51], v[60:61], v[50:51], v[52:53]
	v_mul_f64 v[44:45], v[74:75], v[64:65]
	v_mul_f64 v[52:53], v[76:77], v[72:73]
	;; [unrolled: 1-line block ×3, first 2 shown]
	v_fma_f64 v[48:49], v[48:49], v[54:55], v[100:101]
	v_fma_f64 v[58:59], v[58:59], v[54:55], -v[104:105]
	v_fma_f64 v[54:55], v[60:61], v[54:55], v[56:57]
	v_fma_f64 v[56:57], v[66:67], v[62:63], -v[106:107]
	v_fma_f64 v[60:61], v[68:69], v[62:63], v[108:109]
	v_add_f64 v[82:83], v[24:25], v[82:83]
	v_add_f64 v[84:85], v[84:85], v[26:27]
	;; [unrolled: 1-line block ×5, first 2 shown]
	v_fma_f64 v[66:67], v[66:67], v[70:71], -v[110:111]
	v_fma_f64 v[68:69], v[68:69], v[70:71], v[112:113]
	v_add_f64 v[104:105], v[114:115], v[18:19]
	ds_read_b128 v[6:9], v36 offset:1792
	ds_read_b128 v[38:41], v37 offset:2096
	s_waitcnt lgkmcnt(2)
	v_mul_f64 v[72:73], v[80:81], v[4:5]
	v_mul_f64 v[100:101], v[78:79], v[4:5]
	v_fma_f64 v[108:109], v[74:75], v[62:63], -v[42:43]
	ds_read_b128 v[16:19], v37 offset:64
	v_fma_f64 v[62:63], v[76:77], v[62:63], v[44:45]
	v_fma_f64 v[74:75], v[74:75], v[70:71], -v[52:53]
	v_fma_f64 v[64:65], v[76:77], v[70:71], v[64:65]
	v_add_f64 v[52:53], v[14:15], v[92:93]
	v_add_f64 v[70:71], v[116:117], v[12:13]
	ds_read_b128 v[20:23], v36 offset:2048
	ds_read_b128 v[24:27], v36 offset:2304
	;; [unrolled: 1-line block ×4, first 2 shown]
	v_add_f64 v[82:83], v[82:83], v[94:95]
	v_add_f64 v[84:85], v[96:97], v[84:85]
	v_add_f64 v[86:87], v[86:87], v[46:47]
	v_add_f64 v[88:89], v[48:49], v[88:89]
	v_add_f64 v[90:91], v[90:91], v[98:99]
	s_waitcnt lgkmcnt(6)
	v_mul_f64 v[102:103], v[80:81], v[8:9]
	v_mul_f64 v[106:107], v[78:79], v[8:9]
	s_waitcnt lgkmcnt(5)
	v_mul_f64 v[110:111], v[40:41], v[4:5]
	v_mul_f64 v[4:5], v[38:39], v[4:5]
	v_add_f64 v[50:51], v[50:51], v[104:105]
	v_mul_f64 v[92:93], v[40:41], v[8:9]
	v_mul_f64 v[8:9], v[38:39], v[8:9]
	v_fma_f64 v[72:73], v[78:79], v[2:3], -v[72:73]
	v_fma_f64 v[76:77], v[80:81], v[2:3], v[100:101]
	ds_read_b128 v[46:49], v37 offset:2128
	s_waitcnt lgkmcnt(4)
	v_mul_f64 v[98:99], v[18:19], v[22:23]
	v_mul_f64 v[100:101], v[16:17], v[22:23]
	v_add_f64 v[58:59], v[52:53], v[58:59]
	v_add_f64 v[54:55], v[54:55], v[70:71]
	s_waitcnt lgkmcnt(3)
	v_mul_f64 v[104:105], v[16:17], v[26:27]
	s_waitcnt lgkmcnt(2)
	v_mul_f64 v[70:71], v[44:45], v[22:23]
	v_mul_f64 v[22:23], v[42:43], v[22:23]
	v_add_f64 v[56:57], v[82:83], v[56:57]
	v_add_f64 v[60:61], v[60:61], v[84:85]
	;; [unrolled: 1-line block ×5, first 2 shown]
	v_fma_f64 v[78:79], v[78:79], v[6:7], -v[102:103]
	v_fma_f64 v[80:81], v[80:81], v[6:7], v[106:107]
	v_fma_f64 v[94:95], v[38:39], v[2:3], -v[110:111]
	v_fma_f64 v[96:97], v[40:41], v[2:3], v[4:5]
	v_mul_f64 v[102:103], v[18:19], v[26:27]
	v_add_f64 v[62:63], v[62:63], v[50:51]
	v_mul_f64 v[84:85], v[44:45], v[26:27]
	v_mul_f64 v[26:27], v[42:43], v[26:27]
	v_fma_f64 v[38:39], v[38:39], v[6:7], -v[92:93]
	v_fma_f64 v[40:41], v[40:41], v[6:7], v[8:9]
	ds_read_b128 v[2:5], v37 offset:80
	ds_read_b128 v[50:53], v36 offset:2816
	v_add_f64 v[58:59], v[58:59], v[74:75]
	v_add_f64 v[54:55], v[64:65], v[54:55]
	v_fma_f64 v[88:89], v[16:17], v[20:21], -v[98:99]
	v_fma_f64 v[90:91], v[18:19], v[20:21], v[100:101]
	v_fma_f64 v[98:99], v[18:19], v[24:25], v[104:105]
	v_fma_f64 v[64:65], v[42:43], v[20:21], -v[70:71]
	v_add_f64 v[56:57], v[56:57], v[72:73]
	v_add_f64 v[60:61], v[76:77], v[60:61]
	v_fma_f64 v[70:71], v[44:45], v[20:21], v[22:23]
	v_add_f64 v[66:67], v[66:67], v[78:79]
	v_add_f64 v[68:69], v[80:81], v[68:69]
	;; [unrolled: 1-line block ×3, first 2 shown]
	s_waitcnt lgkmcnt(2)
	v_mul_f64 v[80:81], v[48:49], v[14:15]
	v_fma_f64 v[92:93], v[16:17], v[24:25], -v[102:103]
	v_add_f64 v[62:63], v[96:97], v[62:63]
	v_fma_f64 v[42:43], v[42:43], v[24:25], -v[84:85]
	v_fma_f64 v[44:45], v[44:45], v[24:25], v[26:27]
	s_waitcnt lgkmcnt(1)
	v_mul_f64 v[86:87], v[4:5], v[14:15]
	v_mul_f64 v[74:75], v[2:3], v[14:15]
	s_waitcnt lgkmcnt(0)
	v_mul_f64 v[76:77], v[4:5], v[52:53]
	v_mul_f64 v[78:79], v[2:3], v[52:53]
	;; [unrolled: 1-line block ×5, first 2 shown]
	v_add_f64 v[38:39], v[58:59], v[38:39]
	v_add_f64 v[40:41], v[40:41], v[54:55]
	ds_read_b128 v[6:9], v37 offset:96
	ds_read_b128 v[16:19], v36 offset:3072
	ds_read_b128 v[20:23], v36 offset:3328
	ds_read_b128 v[24:27], v37 offset:2144
	v_add_f64 v[54:55], v[56:57], v[88:89]
	v_add_f64 v[56:57], v[90:91], v[60:61]
	;; [unrolled: 1-line block ×3, first 2 shown]
	v_fma_f64 v[80:81], v[46:47], v[12:13], -v[80:81]
	v_add_f64 v[60:61], v[66:67], v[92:93]
	v_add_f64 v[66:67], v[98:99], v[68:69]
	;; [unrolled: 1-line block ×3, first 2 shown]
	v_fma_f64 v[58:59], v[2:3], v[12:13], -v[86:87]
	v_fma_f64 v[68:69], v[4:5], v[12:13], v[74:75]
	v_fma_f64 v[70:71], v[2:3], v[50:51], -v[76:77]
	v_fma_f64 v[72:73], v[4:5], v[50:51], v[78:79]
	ds_read_b128 v[2:5], v37 offset:112
	v_fma_f64 v[86:87], v[48:49], v[12:13], v[14:15]
	s_waitcnt lgkmcnt(3)
	v_mul_f64 v[74:75], v[8:9], v[18:19]
	v_mul_f64 v[76:77], v[6:7], v[18:19]
	s_waitcnt lgkmcnt(2)
	v_mul_f64 v[78:79], v[8:9], v[22:23]
	v_mul_f64 v[84:85], v[6:7], v[22:23]
	v_fma_f64 v[46:47], v[46:47], v[50:51], -v[82:83]
	v_fma_f64 v[48:49], v[48:49], v[50:51], v[52:53]
	v_add_f64 v[50:51], v[38:39], v[42:43]
	v_add_f64 v[52:53], v[44:45], v[40:41]
	s_waitcnt lgkmcnt(1)
	v_mul_f64 v[82:83], v[26:27], v[18:19]
	v_mul_f64 v[18:19], v[24:25], v[18:19]
	;; [unrolled: 1-line block ×4, first 2 shown]
	ds_read_b128 v[12:15], v37 offset:2160
	ds_read_b128 v[38:41], v36 offset:3584
	ds_read_b128 v[42:45], v36 offset:3840
	v_add_f64 v[64:65], v[64:65], v[80:81]
	s_waitcnt lgkmcnt(0)
	v_add_f64 v[54:55], v[54:55], v[58:59]
	v_add_f64 v[56:57], v[68:69], v[56:57]
	;; [unrolled: 1-line block ×4, first 2 shown]
	s_barrier
	v_add_f64 v[62:63], v[86:87], v[62:63]
	v_fma_f64 v[58:59], v[6:7], v[16:17], -v[74:75]
	v_fma_f64 v[68:69], v[8:9], v[16:17], v[76:77]
	v_fma_f64 v[6:7], v[6:7], v[20:21], -v[78:79]
	v_fma_f64 v[8:9], v[8:9], v[20:21], v[84:85]
	buffer_gl0_inv
	v_add_f64 v[46:47], v[50:51], v[46:47]
	v_add_f64 v[48:49], v[48:49], v[52:53]
	v_fma_f64 v[50:51], v[24:25], v[16:17], -v[82:83]
	v_fma_f64 v[16:17], v[26:27], v[16:17], v[18:19]
	v_fma_f64 v[18:19], v[24:25], v[20:21], -v[88:89]
	v_fma_f64 v[20:21], v[26:27], v[20:21], v[22:23]
	v_mul_f64 v[22:23], v[4:5], v[40:41]
	v_mul_f64 v[24:25], v[2:3], v[40:41]
	;; [unrolled: 1-line block ×8, first 2 shown]
	v_add_f64 v[54:55], v[54:55], v[58:59]
	v_add_f64 v[56:57], v[68:69], v[56:57]
	;; [unrolled: 1-line block ×8, first 2 shown]
	v_fma_f64 v[16:17], v[2:3], v[38:39], -v[22:23]
	v_fma_f64 v[18:19], v[4:5], v[38:39], v[24:25]
	v_fma_f64 v[2:3], v[2:3], v[42:43], -v[26:27]
	v_fma_f64 v[4:5], v[4:5], v[42:43], v[52:53]
	;; [unrolled: 2-line block ×4, first 2 shown]
	v_add_f64 v[24:25], v[54:55], v[16:17]
	v_add_f64 v[26:27], v[18:19], v[56:57]
	;; [unrolled: 1-line block ×8, first 2 shown]
	s_cbranch_vccz .LBB260_13
.LBB260_7:                              ; =>This Inner Loop Header: Depth=1
	v_mov_b32_e32 v2, 0
	v_mov_b32_e32 v4, 0
	;; [unrolled: 1-line block ×4, first 2 shown]
	s_and_saveexec_b32 s7, s0
	s_cbranch_execz .LBB260_11
; %bb.8:                                ;   in Loop: Header=BB260_7 Depth=1
	v_mov_b32_e32 v4, 0
	v_mov_b32_e32 v2, 0
	v_add_nc_u32_e32 v10, s2, v29
	v_mov_b32_e32 v5, 0
	v_mov_b32_e32 v3, 0
	s_mov_b32 s10, exec_lo
	v_cmpx_gt_u64_e64 s[12:13], v[10:11]
	s_cbranch_execz .LBB260_10
; %bb.9:                                ;   in Loop: Header=BB260_7 Depth=1
	v_lshlrev_b64 v[2:3], 4, v[10:11]
	v_add_co_u32 v2, vcc_lo, v31, v2
	v_add_co_ci_u32_e64 v3, null, v32, v3, vcc_lo
	global_load_dwordx4 v[2:5], v[2:3], off
	s_waitcnt vmcnt(0)
	v_xor_b32_e32 v5, 0x80000000, v5
.LBB260_10:                             ;   in Loop: Header=BB260_7 Depth=1
	s_or_b32 exec_lo, exec_lo, s10
.LBB260_11:                             ;   in Loop: Header=BB260_7 Depth=1
	s_or_b32 exec_lo, exec_lo, s7
	v_add_nc_u32_e32 v10, s2, v28
	v_mov_b32_e32 v6, 0
	v_mov_b32_e32 v8, 0
	;; [unrolled: 1-line block ×4, first 2 shown]
	v_cmp_gt_u64_e32 vcc_lo, s[12:13], v[10:11]
	ds_write_b128 v30, v[2:5]
	s_and_b32 s10, vcc_lo, s1
	s_and_saveexec_b32 s7, s10
	s_cbranch_execz .LBB260_6
; %bb.12:                               ;   in Loop: Header=BB260_7 Depth=1
	v_mad_u64_u32 v[2:3], null, s24, v10, 0
	v_mad_u64_u32 v[3:4], null, s25, v10, v[3:4]
	v_lshlrev_b64 v[2:3], 4, v[2:3]
	v_add_co_u32 v2, vcc_lo, v34, v2
	v_add_co_ci_u32_e64 v3, null, v35, v3, vcc_lo
	global_load_dwordx4 v[6:9], v[2:3], off
	s_waitcnt vmcnt(0)
	v_xor_b32_e32 v9, 0x80000000, v9
	s_branch .LBB260_6
.LBB260_13:
	v_add_nc_u32_e32 v11, s6, v1
	v_cmp_neq_f64_e64 s6, s[28:29], 0
	s_mul_i32 s1, s43, s8
	s_mul_hi_u32 s2, s42, s8
	s_mul_i32 s0, s42, s8
	v_ashrrev_i32_e32 v3, 31, v11
	v_mul_lo_u32 v5, s41, v11
	v_mad_u64_u32 v[1:2], null, s40, v11, 0
	s_add_i32 s1, s2, s1
	v_mul_lo_u32 v3, s40, v3
	v_add_nc_u32_e32 v4, s5, v0
	s_lshl_b64 s[2:3], s[0:1], 4
	s_waitcnt lgkmcnt(0)
	v_cmp_gt_i32_e64 s0, s4, v11
	s_add_u32 s2, s38, s2
	s_addc_u32 s3, s39, s3
	s_xor_b32 s5, s9, -1
	v_cmp_le_i32_e32 vcc_lo, v4, v11
	v_add3_u32 v2, v2, v3, v5
	v_ashrrev_i32_e32 v5, 31, v4
	s_or_b32 s5, s6, s5
	v_lshlrev_b64 v[0:1], 4, v[1:2]
	v_cndmask_b32_e64 v10, 0, 1, s5
	s_and_b32 s6, s0, vcc_lo
	v_add_co_u32 v8, s1, s2, v0
	v_add_co_ci_u32_e64 v9, null, s3, v1, s1
	s_and_saveexec_b32 s1, s6
	s_cbranch_execz .LBB260_17
; %bb.14:
	v_mul_f64 v[0:1], s[46:47], v[26:27]
	v_mul_f64 v[2:3], s[44:45], v[26:27]
	v_lshlrev_b64 v[6:7], 4, v[4:5]
	v_add_co_u32 v6, vcc_lo, v8, v6
	v_add_co_ci_u32_e64 v7, null, v9, v7, vcc_lo
	s_andn2_b32 vcc_lo, exec_lo, s5
	v_fma_f64 v[0:1], s[44:45], v[24:25], -v[0:1]
	v_fma_f64 v[2:3], s[46:47], v[24:25], v[2:3]
	s_cbranch_vccnz .LBB260_16
; %bb.15:
	global_load_dwordx4 v[24:27], v[6:7], off
	s_waitcnt vmcnt(0)
	v_mul_f64 v[28:29], s[30:31], v[26:27]
	v_mul_f64 v[26:27], s[28:29], v[26:27]
	v_fma_f64 v[28:29], s[28:29], v[24:25], -v[28:29]
	v_fma_f64 v[24:25], s[30:31], v[24:25], v[26:27]
	v_add_f64 v[0:1], v[0:1], v[28:29]
	v_add_f64 v[2:3], v[2:3], v[24:25]
.LBB260_16:
	global_store_dwordx4 v[6:7], v[0:3], off
.LBB260_17:
	s_or_b32 exec_lo, exec_lo, s1
	v_add_nc_u32_e32 v6, 16, v4
	v_cmp_le_i32_e32 vcc_lo, v6, v11
	v_ashrrev_i32_e32 v7, 31, v6
	s_and_b32 s0, s0, vcc_lo
	s_and_saveexec_b32 s1, s0
	s_cbranch_execz .LBB260_21
; %bb.18:
	v_mul_f64 v[0:1], s[46:47], v[22:23]
	v_mul_f64 v[2:3], s[44:45], v[22:23]
	v_cmp_ne_u32_e32 vcc_lo, 1, v10
	s_and_b32 vcc_lo, exec_lo, vcc_lo
	v_fma_f64 v[0:1], s[44:45], v[20:21], -v[0:1]
	v_fma_f64 v[2:3], s[46:47], v[20:21], v[2:3]
	v_lshlrev_b64 v[20:21], 4, v[6:7]
	v_add_co_u32 v8, s0, v8, v20
	v_add_co_ci_u32_e64 v9, null, v9, v21, s0
	s_cbranch_vccnz .LBB260_20
; %bb.19:
	global_load_dwordx4 v[20:23], v[8:9], off
	s_waitcnt vmcnt(0)
	v_mul_f64 v[24:25], s[30:31], v[22:23]
	v_mul_f64 v[22:23], s[28:29], v[22:23]
	v_fma_f64 v[24:25], s[28:29], v[20:21], -v[24:25]
	v_fma_f64 v[20:21], s[30:31], v[20:21], v[22:23]
	v_add_f64 v[0:1], v[0:1], v[24:25]
	v_add_f64 v[2:3], v[2:3], v[20:21]
.LBB260_20:
	global_store_dwordx4 v[8:9], v[0:3], off
.LBB260_21:
	s_or_b32 exec_lo, exec_lo, s1
	v_add_nc_u32_e32 v11, 16, v11
	v_ashrrev_i32_e32 v2, 31, v11
	v_mul_lo_u32 v3, s41, v11
	v_mad_u64_u32 v[0:1], null, s40, v11, 0
	v_cmp_gt_i32_e64 s0, s4, v11
	v_mul_lo_u32 v2, s40, v2
	v_cmp_le_i32_e32 vcc_lo, v4, v11
	v_add3_u32 v1, v1, v2, v3
	v_lshlrev_b64 v[0:1], 4, v[0:1]
	v_add_co_u32 v8, s1, s2, v0
	v_add_co_ci_u32_e64 v9, null, s3, v1, s1
	s_and_b32 s1, s0, vcc_lo
	s_and_saveexec_b32 s2, s1
	s_cbranch_execz .LBB260_25
; %bb.22:
	v_mul_f64 v[0:1], s[46:47], v[18:19]
	v_mul_f64 v[2:3], s[44:45], v[18:19]
	v_lshlrev_b64 v[4:5], 4, v[4:5]
	v_cmp_ne_u32_e32 vcc_lo, 1, v10
	s_and_b32 vcc_lo, exec_lo, vcc_lo
	v_add_co_u32 v4, s1, v8, v4
	v_add_co_ci_u32_e64 v5, null, v9, v5, s1
	v_fma_f64 v[0:1], s[44:45], v[16:17], -v[0:1]
	v_fma_f64 v[2:3], s[46:47], v[16:17], v[2:3]
	s_cbranch_vccnz .LBB260_24
; %bb.23:
	global_load_dwordx4 v[16:19], v[4:5], off
	s_waitcnt vmcnt(0)
	v_mul_f64 v[20:21], s[30:31], v[18:19]
	v_mul_f64 v[18:19], s[28:29], v[18:19]
	v_fma_f64 v[20:21], s[28:29], v[16:17], -v[20:21]
	v_fma_f64 v[16:17], s[30:31], v[16:17], v[18:19]
	v_add_f64 v[0:1], v[0:1], v[20:21]
	v_add_f64 v[2:3], v[2:3], v[16:17]
.LBB260_24:
	global_store_dwordx4 v[4:5], v[0:3], off
.LBB260_25:
	s_or_b32 exec_lo, exec_lo, s2
	v_cmp_le_i32_e32 vcc_lo, v6, v11
	s_and_b32 s0, s0, vcc_lo
	s_and_saveexec_b32 s1, s0
	s_cbranch_execz .LBB260_30
; %bb.26:
	v_mul_f64 v[0:1], s[46:47], v[12:13]
	v_mul_f64 v[2:3], s[44:45], v[12:13]
	v_lshlrev_b64 v[4:5], 4, v[6:7]
	v_cmp_ne_u32_e32 vcc_lo, 1, v10
	s_and_b32 vcc_lo, exec_lo, vcc_lo
	v_add_co_u32 v4, s0, v8, v4
	v_add_co_ci_u32_e64 v5, null, v9, v5, s0
	v_fma_f64 v[0:1], s[44:45], v[14:15], -v[0:1]
	v_fma_f64 v[2:3], s[46:47], v[14:15], v[2:3]
	s_cbranch_vccnz .LBB260_28
; %bb.27:
	global_load_dwordx4 v[6:9], v[4:5], off
	s_waitcnt vmcnt(0)
	v_mul_f64 v[10:11], s[30:31], v[8:9]
	v_mul_f64 v[8:9], s[28:29], v[8:9]
	v_fma_f64 v[10:11], s[28:29], v[6:7], -v[10:11]
	v_fma_f64 v[6:7], s[30:31], v[6:7], v[8:9]
	v_add_f64 v[0:1], v[0:1], v[10:11]
	v_add_f64 v[2:3], v[2:3], v[6:7]
.LBB260_28:
	global_store_dwordx4 v[4:5], v[0:3], off
	s_endpgm
.LBB260_29:
.LBB260_30:
	s_endpgm
	.section	.rodata,"a",@progbits
	.p2align	6, 0x0
	.amdhsa_kernel _ZL29rocblas_internal_gemmt_kernelIlLi16ELi32ELi8ELc67ELc67ELc85ELb1ELb1E19rocblas_complex_numIdEPKS1_S3_PS1_EviT_T9_T10_S5_lS7_S5_lS6_T11_S5_li
		.amdhsa_group_segment_fixed_size 8192
		.amdhsa_private_segment_fixed_size 0
		.amdhsa_kernarg_size 108
		.amdhsa_user_sgpr_count 6
		.amdhsa_user_sgpr_private_segment_buffer 1
		.amdhsa_user_sgpr_dispatch_ptr 0
		.amdhsa_user_sgpr_queue_ptr 0
		.amdhsa_user_sgpr_kernarg_segment_ptr 1
		.amdhsa_user_sgpr_dispatch_id 0
		.amdhsa_user_sgpr_flat_scratch_init 0
		.amdhsa_user_sgpr_private_segment_size 0
		.amdhsa_wavefront_size32 1
		.amdhsa_uses_dynamic_stack 0
		.amdhsa_system_sgpr_private_segment_wavefront_offset 0
		.amdhsa_system_sgpr_workgroup_id_x 1
		.amdhsa_system_sgpr_workgroup_id_y 1
		.amdhsa_system_sgpr_workgroup_id_z 1
		.amdhsa_system_sgpr_workgroup_info 0
		.amdhsa_system_vgpr_workitem_id 1
		.amdhsa_next_free_vgpr 118
		.amdhsa_next_free_sgpr 48
		.amdhsa_reserve_vcc 1
		.amdhsa_reserve_flat_scratch 0
		.amdhsa_float_round_mode_32 0
		.amdhsa_float_round_mode_16_64 0
		.amdhsa_float_denorm_mode_32 3
		.amdhsa_float_denorm_mode_16_64 3
		.amdhsa_dx10_clamp 1
		.amdhsa_ieee_mode 1
		.amdhsa_fp16_overflow 0
		.amdhsa_workgroup_processor_mode 1
		.amdhsa_memory_ordered 1
		.amdhsa_forward_progress 1
		.amdhsa_shared_vgpr_count 0
		.amdhsa_exception_fp_ieee_invalid_op 0
		.amdhsa_exception_fp_denorm_src 0
		.amdhsa_exception_fp_ieee_div_zero 0
		.amdhsa_exception_fp_ieee_overflow 0
		.amdhsa_exception_fp_ieee_underflow 0
		.amdhsa_exception_fp_ieee_inexact 0
		.amdhsa_exception_int_div_zero 0
	.end_amdhsa_kernel
	.section	.text._ZL29rocblas_internal_gemmt_kernelIlLi16ELi32ELi8ELc67ELc67ELc85ELb1ELb1E19rocblas_complex_numIdEPKS1_S3_PS1_EviT_T9_T10_S5_lS7_S5_lS6_T11_S5_li,"axG",@progbits,_ZL29rocblas_internal_gemmt_kernelIlLi16ELi32ELi8ELc67ELc67ELc85ELb1ELb1E19rocblas_complex_numIdEPKS1_S3_PS1_EviT_T9_T10_S5_lS7_S5_lS6_T11_S5_li,comdat
.Lfunc_end260:
	.size	_ZL29rocblas_internal_gemmt_kernelIlLi16ELi32ELi8ELc67ELc67ELc85ELb1ELb1E19rocblas_complex_numIdEPKS1_S3_PS1_EviT_T9_T10_S5_lS7_S5_lS6_T11_S5_li, .Lfunc_end260-_ZL29rocblas_internal_gemmt_kernelIlLi16ELi32ELi8ELc67ELc67ELc85ELb1ELb1E19rocblas_complex_numIdEPKS1_S3_PS1_EviT_T9_T10_S5_lS7_S5_lS6_T11_S5_li
                                        ; -- End function
	.set _ZL29rocblas_internal_gemmt_kernelIlLi16ELi32ELi8ELc67ELc67ELc85ELb1ELb1E19rocblas_complex_numIdEPKS1_S3_PS1_EviT_T9_T10_S5_lS7_S5_lS6_T11_S5_li.num_vgpr, 118
	.set _ZL29rocblas_internal_gemmt_kernelIlLi16ELi32ELi8ELc67ELc67ELc85ELb1ELb1E19rocblas_complex_numIdEPKS1_S3_PS1_EviT_T9_T10_S5_lS7_S5_lS6_T11_S5_li.num_agpr, 0
	.set _ZL29rocblas_internal_gemmt_kernelIlLi16ELi32ELi8ELc67ELc67ELc85ELb1ELb1E19rocblas_complex_numIdEPKS1_S3_PS1_EviT_T9_T10_S5_lS7_S5_lS6_T11_S5_li.numbered_sgpr, 48
	.set _ZL29rocblas_internal_gemmt_kernelIlLi16ELi32ELi8ELc67ELc67ELc85ELb1ELb1E19rocblas_complex_numIdEPKS1_S3_PS1_EviT_T9_T10_S5_lS7_S5_lS6_T11_S5_li.num_named_barrier, 0
	.set _ZL29rocblas_internal_gemmt_kernelIlLi16ELi32ELi8ELc67ELc67ELc85ELb1ELb1E19rocblas_complex_numIdEPKS1_S3_PS1_EviT_T9_T10_S5_lS7_S5_lS6_T11_S5_li.private_seg_size, 0
	.set _ZL29rocblas_internal_gemmt_kernelIlLi16ELi32ELi8ELc67ELc67ELc85ELb1ELb1E19rocblas_complex_numIdEPKS1_S3_PS1_EviT_T9_T10_S5_lS7_S5_lS6_T11_S5_li.uses_vcc, 1
	.set _ZL29rocblas_internal_gemmt_kernelIlLi16ELi32ELi8ELc67ELc67ELc85ELb1ELb1E19rocblas_complex_numIdEPKS1_S3_PS1_EviT_T9_T10_S5_lS7_S5_lS6_T11_S5_li.uses_flat_scratch, 0
	.set _ZL29rocblas_internal_gemmt_kernelIlLi16ELi32ELi8ELc67ELc67ELc85ELb1ELb1E19rocblas_complex_numIdEPKS1_S3_PS1_EviT_T9_T10_S5_lS7_S5_lS6_T11_S5_li.has_dyn_sized_stack, 0
	.set _ZL29rocblas_internal_gemmt_kernelIlLi16ELi32ELi8ELc67ELc67ELc85ELb1ELb1E19rocblas_complex_numIdEPKS1_S3_PS1_EviT_T9_T10_S5_lS7_S5_lS6_T11_S5_li.has_recursion, 0
	.set _ZL29rocblas_internal_gemmt_kernelIlLi16ELi32ELi8ELc67ELc67ELc85ELb1ELb1E19rocblas_complex_numIdEPKS1_S3_PS1_EviT_T9_T10_S5_lS7_S5_lS6_T11_S5_li.has_indirect_call, 0
	.section	.AMDGPU.csdata,"",@progbits
; Kernel info:
; codeLenInByte = 3556
; TotalNumSgprs: 50
; NumVgprs: 118
; ScratchSize: 0
; MemoryBound: 1
; FloatMode: 240
; IeeeMode: 1
; LDSByteSize: 8192 bytes/workgroup (compile time only)
; SGPRBlocks: 0
; VGPRBlocks: 14
; NumSGPRsForWavesPerEU: 50
; NumVGPRsForWavesPerEU: 118
; Occupancy: 8
; WaveLimiterHint : 0
; COMPUTE_PGM_RSRC2:SCRATCH_EN: 0
; COMPUTE_PGM_RSRC2:USER_SGPR: 6
; COMPUTE_PGM_RSRC2:TRAP_HANDLER: 0
; COMPUTE_PGM_RSRC2:TGID_X_EN: 1
; COMPUTE_PGM_RSRC2:TGID_Y_EN: 1
; COMPUTE_PGM_RSRC2:TGID_Z_EN: 1
; COMPUTE_PGM_RSRC2:TIDIG_COMP_CNT: 1
	.section	.text._ZL29rocblas_internal_gemmt_kernelIlLi16ELi32ELi8ELc78ELc78ELc76ELb0ELb0E19rocblas_complex_numIdEPKS1_S3_PS1_EviT_T9_T10_S5_lS7_S5_lS6_T11_S5_li,"axG",@progbits,_ZL29rocblas_internal_gemmt_kernelIlLi16ELi32ELi8ELc78ELc78ELc76ELb0ELb0E19rocblas_complex_numIdEPKS1_S3_PS1_EviT_T9_T10_S5_lS7_S5_lS6_T11_S5_li,comdat
	.globl	_ZL29rocblas_internal_gemmt_kernelIlLi16ELi32ELi8ELc78ELc78ELc76ELb0ELb0E19rocblas_complex_numIdEPKS1_S3_PS1_EviT_T9_T10_S5_lS7_S5_lS6_T11_S5_li ; -- Begin function _ZL29rocblas_internal_gemmt_kernelIlLi16ELi32ELi8ELc78ELc78ELc76ELb0ELb0E19rocblas_complex_numIdEPKS1_S3_PS1_EviT_T9_T10_S5_lS7_S5_lS6_T11_S5_li
	.p2align	8
	.type	_ZL29rocblas_internal_gemmt_kernelIlLi16ELi32ELi8ELc78ELc78ELc76ELb0ELb0E19rocblas_complex_numIdEPKS1_S3_PS1_EviT_T9_T10_S5_lS7_S5_lS6_T11_S5_li,@function
_ZL29rocblas_internal_gemmt_kernelIlLi16ELi32ELi8ELc78ELc78ELc76ELb0ELb0E19rocblas_complex_numIdEPKS1_S3_PS1_EviT_T9_T10_S5_lS7_S5_lS6_T11_S5_li: ; @_ZL29rocblas_internal_gemmt_kernelIlLi16ELi32ELi8ELc78ELc78ELc76ELb0ELb0E19rocblas_complex_numIdEPKS1_S3_PS1_EviT_T9_T10_S5_lS7_S5_lS6_T11_S5_li
; %bb.0:
	s_load_dwordx8 s[36:43], s[4:5], 0x48
	s_waitcnt lgkmcnt(0)
	s_load_dwordx4 s[28:31], s[36:37], 0x0
	s_load_dwordx16 s[12:27], s[4:5], 0x8
	s_waitcnt lgkmcnt(0)
	v_cmp_eq_f64_e64 s0, s[28:29], 1.0
	v_cmp_eq_f64_e64 s9, s[30:31], 0
	s_load_dwordx4 s[44:47], s[14:15], 0x0
	s_and_b32 s0, s0, s9
	s_andn2_b32 vcc_lo, exec_lo, s0
	s_mov_b32 s0, -1
	s_cbranch_vccnz .LBB261_3
; %bb.1:
	s_cmp_lg_u64 s[12:13], 0
	s_cbranch_scc0 .LBB261_33
; %bb.2:
	s_waitcnt lgkmcnt(0)
	v_cmp_neq_f64_e64 s0, s[44:45], 0
	v_cmp_neq_f64_e64 s1, s[46:47], 0
	s_or_b32 s0, s0, s1
.LBB261_3:
	s_and_b32 vcc_lo, exec_lo, s0
	s_cbranch_vccz .LBB261_34
; %bb.4:
	s_waitcnt lgkmcnt(0)
	v_cmp_eq_f64_e64 s0, s[44:45], 0
	v_cmp_eq_f64_e64 s1, s[46:47], 0
	s_load_dword s4, s[4:5], 0x0
	v_cmp_lt_i64_e64 s2, s[12:13], 1
	v_mov_b32_e32 v20, 0
	v_mov_b32_e32 v22, 0
	;; [unrolled: 1-line block ×16, first 2 shown]
	s_lshl_b32 s5, s6, 5
	s_lshl_b32 s6, s7, 5
	s_and_b32 s0, s0, s1
	s_or_b32 s0, s0, s2
	s_and_b32 vcc_lo, exec_lo, s0
	s_cbranch_vccnz .LBB261_17
; %bb.5:
	v_lshl_add_u32 v3, v1, 4, v0
	s_mul_i32 s1, s27, s8
	s_mul_hi_u32 s2, s26, s8
	s_mul_i32 s0, s26, s8
	s_add_i32 s1, s2, s1
	v_lshrrev_b32_e32 v8, 3, v3
	v_and_b32_e32 v6, 31, v3
	v_and_b32_e32 v24, 7, v0
	s_lshl_b64 s[0:1], s[0:1], 4
	v_lshrrev_b32_e32 v25, 5, v3
	v_add_nc_u32_e32 v9, s6, v8
	v_or_b32_e32 v2, s5, v6
	s_mul_i32 s3, s21, s8
	s_mul_hi_u32 s7, s20, s8
	s_add_u32 s10, s22, s0
	v_ashrrev_i32_e32 v4, 31, v9
	v_mul_lo_u32 v7, s25, v9
	v_ashrrev_i32_e32 v3, 31, v2
	s_mul_i32 s2, s20, s8
	s_addc_u32 s11, s23, s1
	v_mul_lo_u32 v10, s24, v4
	v_mad_u64_u32 v[4:5], null, s24, v9, 0
	s_add_i32 s3, s7, s3
	v_lshlrev_b32_e32 v12, 4, v24
	s_lshl_b64 s[0:1], s[2:3], 4
	v_lshlrev_b32_e32 v11, 4, v6
	s_add_u32 s2, s16, s0
	s_waitcnt lgkmcnt(0)
	v_cmp_gt_i32_e64 s0, s4, v2
	v_add3_u32 v5, v5, v10, v7
	v_lshlrev_b64 v[6:7], 4, v[2:3]
	v_cmp_le_i32_e64 s7, s4, v2
	v_lshl_or_b32 v8, v8, 7, v12
	s_addc_u32 s1, s17, s1
	v_lshlrev_b64 v[2:3], 4, v[4:5]
	v_lshl_or_b32 v26, v25, 9, v11
	v_add_co_u32 v27, vcc_lo, s2, v6
	v_add_co_ci_u32_e64 v28, null, s1, v7, vcc_lo
	v_cmp_gt_i32_e32 vcc_lo, s4, v9
	v_add_co_u32 v30, s1, s10, v2
	v_add_nc_u32_e32 v29, 0x1000, v8
	v_mov_b32_e32 v8, 0
	v_mov_b32_e32 v10, 0
	;; [unrolled: 1-line block ×8, first 2 shown]
	v_add_co_ci_u32_e64 v31, null, s11, v3, s1
	v_lshlrev_b32_e32 v32, 4, v0
	v_lshl_add_u32 v33, v1, 7, 0x1000
	v_mov_b32_e32 v9, 0
	v_mov_b32_e32 v11, 0
	;; [unrolled: 1-line block ×9, first 2 shown]
	s_mov_b64 s[2:3], 0
	s_xor_b32 s1, vcc_lo, -1
                                        ; implicit-def: $vgpr6_vgpr7
	s_branch .LBB261_7
.LBB261_6:                              ;   in Loop: Header=BB261_7 Depth=1
	s_or_b32 exec_lo, exec_lo, s10
	s_waitcnt lgkmcnt(0)
	s_barrier
	buffer_gl0_inv
	ds_read_b128 v[34:37], v33
	ds_read_b128 v[38:41], v33 offset:16
	ds_read_b128 v[42:45], v33 offset:32
	ds_read_b128 v[46:49], v33 offset:48
	ds_read_b128 v[50:53], v32
	s_add_u32 s2, s2, 8
	s_addc_u32 s3, s3, 0
	v_cmp_gt_i64_e64 s10, s[12:13], s[2:3]
	s_and_b32 vcc_lo, exec_lo, s10
	s_waitcnt lgkmcnt(0)
	v_mul_f64 v[4:5], v[36:37], v[52:53]
	v_mul_f64 v[54:55], v[34:35], v[52:53]
	v_fma_f64 v[4:5], v[34:35], v[50:51], -v[4:5]
	v_fma_f64 v[54:55], v[36:37], v[50:51], v[54:55]
	v_add_f64 v[4:5], v[20:21], v[4:5]
	v_add_f64 v[54:55], v[54:55], v[22:23]
	ds_read_b128 v[20:23], v32 offset:256
	s_waitcnt lgkmcnt(0)
	v_mul_f64 v[56:57], v[36:37], v[22:23]
	v_fma_f64 v[56:57], v[34:35], v[20:21], -v[56:57]
	v_mul_f64 v[34:35], v[34:35], v[22:23]
	v_fma_f64 v[34:35], v[36:37], v[20:21], v[34:35]
	v_add_f64 v[36:37], v[16:17], v[56:57]
	v_add_f64 v[34:35], v[34:35], v[18:19]
	ds_read_b128 v[16:19], v33 offset:2048
	s_waitcnt lgkmcnt(0)
	v_mul_f64 v[56:57], v[18:19], v[52:53]
	v_mul_f64 v[52:53], v[16:17], v[52:53]
	v_fma_f64 v[56:57], v[16:17], v[50:51], -v[56:57]
	v_fma_f64 v[50:51], v[18:19], v[50:51], v[52:53]
	v_add_f64 v[52:53], v[12:13], v[56:57]
	v_add_f64 v[50:51], v[50:51], v[14:15]
	v_mul_f64 v[12:13], v[18:19], v[22:23]
	v_mul_f64 v[14:15], v[16:17], v[22:23]
	v_fma_f64 v[12:13], v[16:17], v[20:21], -v[12:13]
	v_fma_f64 v[14:15], v[18:19], v[20:21], v[14:15]
	v_add_f64 v[20:21], v[10:11], v[12:13]
	v_add_f64 v[22:23], v[14:15], v[8:9]
	ds_read_b128 v[8:11], v32 offset:512
	s_waitcnt lgkmcnt(0)
	v_mul_f64 v[12:13], v[40:41], v[10:11]
	v_mul_f64 v[14:15], v[38:39], v[10:11]
	v_fma_f64 v[12:13], v[38:39], v[8:9], -v[12:13]
	v_fma_f64 v[14:15], v[40:41], v[8:9], v[14:15]
	v_add_f64 v[4:5], v[4:5], v[12:13]
	v_add_f64 v[54:55], v[14:15], v[54:55]
	ds_read_b128 v[12:15], v32 offset:768
	s_waitcnt lgkmcnt(0)
	;; [unrolled: 8-line block ×3, first 2 shown]
	v_mul_f64 v[38:39], v[18:19], v[10:11]
	v_mul_f64 v[10:11], v[16:17], v[10:11]
	v_fma_f64 v[38:39], v[16:17], v[8:9], -v[38:39]
	v_fma_f64 v[8:9], v[18:19], v[8:9], v[10:11]
	v_mul_f64 v[10:11], v[16:17], v[14:15]
	v_add_f64 v[38:39], v[52:53], v[38:39]
	v_add_f64 v[40:41], v[8:9], v[50:51]
	v_mul_f64 v[8:9], v[18:19], v[14:15]
	v_fma_f64 v[10:11], v[18:19], v[12:13], v[10:11]
	v_fma_f64 v[8:9], v[16:17], v[12:13], -v[8:9]
	v_add_f64 v[22:23], v[10:11], v[22:23]
	v_add_f64 v[20:21], v[20:21], v[8:9]
	ds_read_b128 v[8:11], v32 offset:1024
	s_waitcnt lgkmcnt(0)
	v_mul_f64 v[12:13], v[44:45], v[10:11]
	v_mul_f64 v[14:15], v[42:43], v[10:11]
	v_fma_f64 v[12:13], v[42:43], v[8:9], -v[12:13]
	v_fma_f64 v[14:15], v[44:45], v[8:9], v[14:15]
	v_add_f64 v[4:5], v[4:5], v[12:13]
	v_add_f64 v[50:51], v[14:15], v[54:55]
	ds_read_b128 v[12:15], v32 offset:1280
	s_waitcnt lgkmcnt(0)
	v_mul_f64 v[16:17], v[44:45], v[14:15]
	v_mul_f64 v[18:19], v[42:43], v[14:15]
	v_fma_f64 v[16:17], v[42:43], v[12:13], -v[16:17]
	v_fma_f64 v[18:19], v[44:45], v[12:13], v[18:19]
	;; [unrolled: 8-line block ×3, first 2 shown]
	v_mul_f64 v[10:11], v[16:17], v[14:15]
	v_add_f64 v[38:39], v[38:39], v[42:43]
	v_add_f64 v[40:41], v[8:9], v[40:41]
	v_mul_f64 v[8:9], v[18:19], v[14:15]
	v_fma_f64 v[10:11], v[18:19], v[12:13], v[10:11]
	v_fma_f64 v[8:9], v[16:17], v[12:13], -v[8:9]
	v_add_f64 v[22:23], v[10:11], v[22:23]
	v_add_f64 v[20:21], v[20:21], v[8:9]
	ds_read_b128 v[8:11], v32 offset:1536
	s_waitcnt lgkmcnt(0)
	v_mul_f64 v[12:13], v[48:49], v[10:11]
	v_mul_f64 v[14:15], v[46:47], v[10:11]
	v_fma_f64 v[12:13], v[46:47], v[8:9], -v[12:13]
	v_fma_f64 v[14:15], v[48:49], v[8:9], v[14:15]
	v_add_f64 v[4:5], v[4:5], v[12:13]
	v_add_f64 v[42:43], v[14:15], v[50:51]
	ds_read_b128 v[12:15], v32 offset:1792
	s_waitcnt lgkmcnt(0)
	v_mul_f64 v[16:17], v[48:49], v[14:15]
	v_mul_f64 v[18:19], v[46:47], v[14:15]
	v_fma_f64 v[16:17], v[46:47], v[12:13], -v[16:17]
	v_fma_f64 v[18:19], v[48:49], v[12:13], v[18:19]
	;; [unrolled: 8-line block ×3, first 2 shown]
	v_mul_f64 v[10:11], v[16:17], v[14:15]
	v_add_f64 v[38:39], v[38:39], v[44:45]
	v_add_f64 v[40:41], v[8:9], v[40:41]
	v_mul_f64 v[8:9], v[18:19], v[14:15]
	v_fma_f64 v[10:11], v[18:19], v[12:13], v[10:11]
	v_fma_f64 v[8:9], v[16:17], v[12:13], -v[8:9]
	v_add_f64 v[22:23], v[10:11], v[22:23]
	v_add_f64 v[20:21], v[20:21], v[8:9]
	ds_read_b128 v[8:11], v33 offset:64
	ds_read_b128 v[12:15], v32 offset:2048
	s_waitcnt lgkmcnt(0)
	v_mul_f64 v[16:17], v[10:11], v[14:15]
	v_mul_f64 v[18:19], v[8:9], v[14:15]
	v_fma_f64 v[16:17], v[8:9], v[12:13], -v[16:17]
	v_fma_f64 v[18:19], v[10:11], v[12:13], v[18:19]
	v_add_f64 v[4:5], v[4:5], v[16:17]
	v_add_f64 v[42:43], v[18:19], v[42:43]
	ds_read_b128 v[16:19], v32 offset:2304
	s_waitcnt lgkmcnt(0)
	v_mul_f64 v[44:45], v[10:11], v[18:19]
	v_fma_f64 v[44:45], v[8:9], v[16:17], -v[44:45]
	v_mul_f64 v[8:9], v[8:9], v[18:19]
	v_add_f64 v[36:37], v[36:37], v[44:45]
	v_fma_f64 v[8:9], v[10:11], v[16:17], v[8:9]
	v_add_f64 v[34:35], v[8:9], v[34:35]
	ds_read_b128 v[8:11], v33 offset:2112
	s_waitcnt lgkmcnt(0)
	v_mul_f64 v[44:45], v[10:11], v[14:15]
	v_mul_f64 v[14:15], v[8:9], v[14:15]
	v_fma_f64 v[44:45], v[8:9], v[12:13], -v[44:45]
	v_fma_f64 v[12:13], v[10:11], v[12:13], v[14:15]
	v_add_f64 v[38:39], v[38:39], v[44:45]
	v_add_f64 v[40:41], v[12:13], v[40:41]
	v_mul_f64 v[12:13], v[10:11], v[18:19]
	v_fma_f64 v[12:13], v[8:9], v[16:17], -v[12:13]
	v_mul_f64 v[8:9], v[8:9], v[18:19]
	v_add_f64 v[20:21], v[20:21], v[12:13]
	v_fma_f64 v[8:9], v[10:11], v[16:17], v[8:9]
	v_add_f64 v[22:23], v[8:9], v[22:23]
	ds_read_b128 v[8:11], v33 offset:80
	ds_read_b128 v[12:15], v32 offset:2560
	s_waitcnt lgkmcnt(0)
	v_mul_f64 v[16:17], v[10:11], v[14:15]
	v_mul_f64 v[18:19], v[8:9], v[14:15]
	v_fma_f64 v[16:17], v[8:9], v[12:13], -v[16:17]
	v_fma_f64 v[18:19], v[10:11], v[12:13], v[18:19]
	v_add_f64 v[4:5], v[4:5], v[16:17]
	v_add_f64 v[42:43], v[18:19], v[42:43]
	ds_read_b128 v[16:19], v32 offset:2816
	s_waitcnt lgkmcnt(0)
	v_mul_f64 v[44:45], v[10:11], v[18:19]
	v_fma_f64 v[44:45], v[8:9], v[16:17], -v[44:45]
	v_mul_f64 v[8:9], v[8:9], v[18:19]
	v_add_f64 v[36:37], v[36:37], v[44:45]
	v_fma_f64 v[8:9], v[10:11], v[16:17], v[8:9]
	v_add_f64 v[34:35], v[8:9], v[34:35]
	ds_read_b128 v[8:11], v33 offset:2128
	s_waitcnt lgkmcnt(0)
	v_mul_f64 v[44:45], v[10:11], v[14:15]
	v_mul_f64 v[14:15], v[8:9], v[14:15]
	v_fma_f64 v[44:45], v[8:9], v[12:13], -v[44:45]
	v_fma_f64 v[12:13], v[10:11], v[12:13], v[14:15]
	v_add_f64 v[38:39], v[38:39], v[44:45]
	v_add_f64 v[40:41], v[12:13], v[40:41]
	v_mul_f64 v[12:13], v[10:11], v[18:19]
	v_fma_f64 v[12:13], v[8:9], v[16:17], -v[12:13]
	v_mul_f64 v[8:9], v[8:9], v[18:19]
	v_add_f64 v[20:21], v[20:21], v[12:13]
	v_fma_f64 v[8:9], v[10:11], v[16:17], v[8:9]
	;; [unrolled: 31-line block ×3, first 2 shown]
	v_add_f64 v[50:51], v[8:9], v[22:23]
	ds_read_b128 v[8:11], v33 offset:112
	ds_read_b128 v[12:15], v32 offset:3584
	;; [unrolled: 1-line block ×3, first 2 shown]
	s_waitcnt lgkmcnt(1)
	v_mul_f64 v[16:17], v[10:11], v[14:15]
	v_mul_f64 v[18:19], v[8:9], v[14:15]
	v_fma_f64 v[16:17], v[8:9], v[12:13], -v[16:17]
	v_fma_f64 v[18:19], v[10:11], v[12:13], v[18:19]
	v_add_f64 v[20:21], v[4:5], v[16:17]
	s_waitcnt lgkmcnt(0)
	v_mul_f64 v[4:5], v[10:11], v[36:37]
	v_add_f64 v[22:23], v[18:19], v[42:43]
	v_fma_f64 v[4:5], v[8:9], v[34:35], -v[4:5]
	v_mul_f64 v[8:9], v[8:9], v[36:37]
	v_add_f64 v[16:17], v[44:45], v[4:5]
	v_fma_f64 v[8:9], v[10:11], v[34:35], v[8:9]
	v_add_f64 v[18:19], v[8:9], v[46:47]
	ds_read_b128 v[8:11], v33 offset:2160
	s_waitcnt lgkmcnt(0)
	s_barrier
	buffer_gl0_inv
	v_mul_f64 v[4:5], v[10:11], v[14:15]
	v_mul_f64 v[14:15], v[8:9], v[14:15]
	v_fma_f64 v[4:5], v[8:9], v[12:13], -v[4:5]
	v_fma_f64 v[14:15], v[10:11], v[12:13], v[14:15]
	v_add_f64 v[12:13], v[38:39], v[4:5]
	v_mul_f64 v[4:5], v[10:11], v[36:37]
	v_add_f64 v[14:15], v[14:15], v[40:41]
	v_fma_f64 v[4:5], v[8:9], v[34:35], -v[4:5]
	v_mul_f64 v[8:9], v[8:9], v[36:37]
	v_fma_f64 v[8:9], v[10:11], v[34:35], v[8:9]
	v_add_f64 v[10:11], v[48:49], v[4:5]
	v_add_f64 v[8:9], v[8:9], v[50:51]
	s_cbranch_vccz .LBB261_17
.LBB261_7:                              ; =>This Inner Loop Header: Depth=1
	s_mov_b32 s14, s7
	s_mov_b32 s10, 0
	s_and_saveexec_b32 s11, s0
	s_cbranch_execnz .LBB261_15
; %bb.8:                                ;   in Loop: Header=BB261_7 Depth=1
	s_or_b32 exec_lo, exec_lo, s11
	s_and_saveexec_b32 s11, s14
	s_xor_b32 s11, exec_lo, s11
	s_cbranch_execnz .LBB261_16
.LBB261_9:                              ;   in Loop: Header=BB261_7 Depth=1
	s_or_b32 exec_lo, exec_lo, s11
	s_and_saveexec_b32 s11, s10
	s_cbranch_execz .LBB261_11
.LBB261_10:                             ;   in Loop: Header=BB261_7 Depth=1
	v_mul_lo_u32 v2, s19, v6
	v_mul_lo_u32 v34, s18, v7
	v_mad_u64_u32 v[4:5], null, s18, v6, 0
	v_add3_u32 v5, v5, v34, v2
	v_lshlrev_b64 v[4:5], 4, v[4:5]
	v_add_co_u32 v4, vcc_lo, v27, v4
	v_add_co_ci_u32_e64 v5, null, v28, v5, vcc_lo
	global_load_dwordx4 v[34:37], v[4:5], off
	s_waitcnt vmcnt(0)
	ds_write2_b64 v26, v[34:35], v[36:37] offset1:1
.LBB261_11:                             ;   in Loop: Header=BB261_7 Depth=1
	s_or_b32 exec_lo, exec_lo, s11
	v_add_nc_u32_e32 v2, s2, v24
	v_cmp_le_u64_e32 vcc_lo, s[12:13], v[2:3]
	s_or_b32 s10, vcc_lo, s1
	s_and_saveexec_b32 s11, s10
	s_xor_b32 s10, exec_lo, s11
	s_cbranch_execz .LBB261_13
; %bb.12:                               ;   in Loop: Header=BB261_7 Depth=1
	v_mov_b32_e32 v2, v3
	v_mov_b32_e32 v4, v3
	;; [unrolled: 1-line block ×3, first 2 shown]
	ds_write_b128 v29, v[2:5]
.LBB261_13:                             ;   in Loop: Header=BB261_7 Depth=1
	s_andn2_saveexec_b32 s10, s10
	s_cbranch_execz .LBB261_6
; %bb.14:                               ;   in Loop: Header=BB261_7 Depth=1
	v_lshlrev_b64 v[4:5], 4, v[2:3]
	v_add_co_u32 v4, vcc_lo, v30, v4
	v_add_co_ci_u32_e64 v5, null, v31, v5, vcc_lo
	global_load_dwordx4 v[34:37], v[4:5], off
	s_waitcnt vmcnt(0)
	ds_write2_b64 v29, v[34:35], v[36:37] offset1:1
	s_branch .LBB261_6
.LBB261_15:                             ;   in Loop: Header=BB261_7 Depth=1
	v_add_nc_u32_e32 v2, s2, v25
	v_mov_b32_e32 v7, v3
	s_andn2_b32 s14, s7, exec_lo
	s_mov_b32 s10, exec_lo
	v_cmp_le_u64_e32 vcc_lo, s[12:13], v[2:3]
	v_mov_b32_e32 v6, v2
	s_and_b32 s15, vcc_lo, exec_lo
	s_or_b32 s14, s14, s15
	s_or_b32 exec_lo, exec_lo, s11
	s_and_saveexec_b32 s11, s14
	s_xor_b32 s11, exec_lo, s11
	s_cbranch_execz .LBB261_9
.LBB261_16:                             ;   in Loop: Header=BB261_7 Depth=1
	v_mov_b32_e32 v2, v3
	v_mov_b32_e32 v4, v3
	;; [unrolled: 1-line block ×3, first 2 shown]
	s_andn2_b32 s10, s10, exec_lo
	ds_write_b128 v26, v[2:5]
	s_or_b32 exec_lo, exec_lo, s11
	s_and_saveexec_b32 s11, s10
	s_cbranch_execnz .LBB261_10
	s_branch .LBB261_11
.LBB261_17:
	v_add_nc_u32_e32 v25, s6, v1
	v_cmp_neq_f64_e64 s2, s[28:29], 0
	s_mul_i32 s1, s43, s8
	s_mul_hi_u32 s3, s42, s8
	s_mul_i32 s0, s42, s8
	v_ashrrev_i32_e32 v3, 31, v25
	v_mul_lo_u32 v5, s41, v25
	v_mad_u64_u32 v[1:2], null, s40, v25, 0
	s_add_i32 s1, s3, s1
	v_mul_lo_u32 v3, s40, v3
	v_add_nc_u32_e32 v4, s5, v0
	s_lshl_b64 s[6:7], s[0:1], 4
	s_add_u32 s3, s38, s6
	s_addc_u32 s5, s39, s7
	s_xor_b32 s6, s9, -1
	v_cmp_le_i32_e32 vcc_lo, v25, v4
	v_add3_u32 v2, v2, v3, v5
	s_waitcnt lgkmcnt(0)
	v_cmp_gt_i32_e64 s0, s4, v4
	v_ashrrev_i32_e32 v5, 31, v4
	s_or_b32 s2, s2, s6
	v_lshlrev_b64 v[0:1], 4, v[1:2]
	v_cndmask_b32_e64 v24, 0, 1, s2
	s_and_b32 s6, vcc_lo, s0
	v_add_co_u32 v26, s1, s3, v0
	v_add_co_ci_u32_e64 v27, null, s5, v1, s1
	s_and_saveexec_b32 s1, s6
	s_cbranch_execz .LBB261_21
; %bb.18:
	v_mul_f64 v[0:1], s[46:47], v[22:23]
	v_mul_f64 v[2:3], s[44:45], v[22:23]
	v_lshlrev_b64 v[6:7], 4, v[4:5]
	v_add_co_u32 v6, vcc_lo, v26, v6
	v_add_co_ci_u32_e64 v7, null, v27, v7, vcc_lo
	s_andn2_b32 vcc_lo, exec_lo, s2
	v_fma_f64 v[0:1], s[44:45], v[20:21], -v[0:1]
	v_fma_f64 v[2:3], s[46:47], v[20:21], v[2:3]
	s_cbranch_vccnz .LBB261_20
; %bb.19:
	global_load_dwordx4 v[20:23], v[6:7], off
	s_waitcnt vmcnt(0)
	v_mul_f64 v[28:29], s[30:31], v[22:23]
	v_mul_f64 v[22:23], s[28:29], v[22:23]
	v_fma_f64 v[28:29], s[28:29], v[20:21], -v[28:29]
	v_fma_f64 v[20:21], s[30:31], v[20:21], v[22:23]
	v_add_f64 v[0:1], v[0:1], v[28:29]
	v_add_f64 v[2:3], v[2:3], v[20:21]
.LBB261_20:
	global_store_dwordx4 v[6:7], v[0:3], off
.LBB261_21:
	s_or_b32 exec_lo, exec_lo, s1
	v_add_nc_u32_e32 v6, 16, v4
	v_cmp_le_i32_e32 vcc_lo, v25, v6
	v_cmp_gt_i32_e64 s1, s4, v6
	v_ashrrev_i32_e32 v7, 31, v6
	s_and_b32 s2, vcc_lo, s1
	s_and_saveexec_b32 s4, s2
	s_cbranch_execz .LBB261_25
; %bb.22:
	v_mul_f64 v[0:1], s[46:47], v[18:19]
	v_mul_f64 v[2:3], s[44:45], v[18:19]
	v_cmp_ne_u32_e32 vcc_lo, 1, v24
	s_and_b32 vcc_lo, exec_lo, vcc_lo
	v_fma_f64 v[0:1], s[44:45], v[16:17], -v[0:1]
	v_fma_f64 v[2:3], s[46:47], v[16:17], v[2:3]
	v_lshlrev_b64 v[16:17], 4, v[6:7]
	v_add_co_u32 v16, s2, v26, v16
	v_add_co_ci_u32_e64 v17, null, v27, v17, s2
	s_cbranch_vccnz .LBB261_24
; %bb.23:
	global_load_dwordx4 v[18:21], v[16:17], off
	s_waitcnt vmcnt(0)
	v_mul_f64 v[22:23], s[30:31], v[20:21]
	v_mul_f64 v[20:21], s[28:29], v[20:21]
	v_fma_f64 v[22:23], s[28:29], v[18:19], -v[22:23]
	v_fma_f64 v[18:19], s[30:31], v[18:19], v[20:21]
	v_add_f64 v[0:1], v[0:1], v[22:23]
	v_add_f64 v[2:3], v[2:3], v[18:19]
.LBB261_24:
	global_store_dwordx4 v[16:17], v[0:3], off
.LBB261_25:
	s_or_b32 exec_lo, exec_lo, s4
	v_add_nc_u32_e32 v18, 16, v25
	v_ashrrev_i32_e32 v2, 31, v18
	v_mul_lo_u32 v3, s41, v18
	v_mad_u64_u32 v[0:1], null, s40, v18, 0
	v_cmp_le_i32_e32 vcc_lo, v18, v4
	v_mul_lo_u32 v2, s40, v2
	s_and_b32 s0, vcc_lo, s0
	v_add3_u32 v1, v1, v2, v3
	v_lshlrev_b64 v[0:1], 4, v[0:1]
	v_add_co_u32 v16, s2, s3, v0
	v_add_co_ci_u32_e64 v17, null, s5, v1, s2
	s_and_saveexec_b32 s2, s0
	s_cbranch_execz .LBB261_29
; %bb.26:
	v_mul_f64 v[0:1], s[46:47], v[14:15]
	v_mul_f64 v[2:3], s[44:45], v[14:15]
	v_lshlrev_b64 v[4:5], 4, v[4:5]
	v_cmp_ne_u32_e32 vcc_lo, 1, v24
	s_and_b32 vcc_lo, exec_lo, vcc_lo
	v_add_co_u32 v4, s0, v16, v4
	v_add_co_ci_u32_e64 v5, null, v17, v5, s0
	v_fma_f64 v[0:1], s[44:45], v[12:13], -v[0:1]
	v_fma_f64 v[2:3], s[46:47], v[12:13], v[2:3]
	s_cbranch_vccnz .LBB261_28
; %bb.27:
	global_load_dwordx4 v[12:15], v[4:5], off
	s_waitcnt vmcnt(0)
	v_mul_f64 v[19:20], s[30:31], v[14:15]
	v_mul_f64 v[14:15], s[28:29], v[14:15]
	v_fma_f64 v[19:20], s[28:29], v[12:13], -v[19:20]
	v_fma_f64 v[12:13], s[30:31], v[12:13], v[14:15]
	v_add_f64 v[0:1], v[0:1], v[19:20]
	v_add_f64 v[2:3], v[2:3], v[12:13]
.LBB261_28:
	global_store_dwordx4 v[4:5], v[0:3], off
.LBB261_29:
	s_or_b32 exec_lo, exec_lo, s2
	v_cmp_le_i32_e32 vcc_lo, v18, v6
	s_and_b32 s0, vcc_lo, s1
	s_and_saveexec_b32 s1, s0
	s_cbranch_execz .LBB261_34
; %bb.30:
	v_mul_f64 v[0:1], s[46:47], v[8:9]
	v_mul_f64 v[2:3], s[44:45], v[8:9]
	v_lshlrev_b64 v[4:5], 4, v[6:7]
	v_cmp_ne_u32_e32 vcc_lo, 1, v24
	s_and_b32 vcc_lo, exec_lo, vcc_lo
	v_add_co_u32 v4, s0, v16, v4
	v_add_co_ci_u32_e64 v5, null, v17, v5, s0
	v_fma_f64 v[0:1], s[44:45], v[10:11], -v[0:1]
	v_fma_f64 v[2:3], s[46:47], v[10:11], v[2:3]
	s_cbranch_vccnz .LBB261_32
; %bb.31:
	global_load_dwordx4 v[6:9], v[4:5], off
	s_waitcnt vmcnt(0)
	v_mul_f64 v[10:11], s[30:31], v[8:9]
	v_mul_f64 v[8:9], s[28:29], v[8:9]
	v_fma_f64 v[10:11], s[28:29], v[6:7], -v[10:11]
	v_fma_f64 v[6:7], s[30:31], v[6:7], v[8:9]
	v_add_f64 v[0:1], v[0:1], v[10:11]
	v_add_f64 v[2:3], v[2:3], v[6:7]
.LBB261_32:
	global_store_dwordx4 v[4:5], v[0:3], off
	s_endpgm
.LBB261_33:
.LBB261_34:
	s_endpgm
	.section	.rodata,"a",@progbits
	.p2align	6, 0x0
	.amdhsa_kernel _ZL29rocblas_internal_gemmt_kernelIlLi16ELi32ELi8ELc78ELc78ELc76ELb0ELb0E19rocblas_complex_numIdEPKS1_S3_PS1_EviT_T9_T10_S5_lS7_S5_lS6_T11_S5_li
		.amdhsa_group_segment_fixed_size 8192
		.amdhsa_private_segment_fixed_size 0
		.amdhsa_kernarg_size 108
		.amdhsa_user_sgpr_count 6
		.amdhsa_user_sgpr_private_segment_buffer 1
		.amdhsa_user_sgpr_dispatch_ptr 0
		.amdhsa_user_sgpr_queue_ptr 0
		.amdhsa_user_sgpr_kernarg_segment_ptr 1
		.amdhsa_user_sgpr_dispatch_id 0
		.amdhsa_user_sgpr_flat_scratch_init 0
		.amdhsa_user_sgpr_private_segment_size 0
		.amdhsa_wavefront_size32 1
		.amdhsa_uses_dynamic_stack 0
		.amdhsa_system_sgpr_private_segment_wavefront_offset 0
		.amdhsa_system_sgpr_workgroup_id_x 1
		.amdhsa_system_sgpr_workgroup_id_y 1
		.amdhsa_system_sgpr_workgroup_id_z 1
		.amdhsa_system_sgpr_workgroup_info 0
		.amdhsa_system_vgpr_workitem_id 1
		.amdhsa_next_free_vgpr 58
		.amdhsa_next_free_sgpr 48
		.amdhsa_reserve_vcc 1
		.amdhsa_reserve_flat_scratch 0
		.amdhsa_float_round_mode_32 0
		.amdhsa_float_round_mode_16_64 0
		.amdhsa_float_denorm_mode_32 3
		.amdhsa_float_denorm_mode_16_64 3
		.amdhsa_dx10_clamp 1
		.amdhsa_ieee_mode 1
		.amdhsa_fp16_overflow 0
		.amdhsa_workgroup_processor_mode 1
		.amdhsa_memory_ordered 1
		.amdhsa_forward_progress 1
		.amdhsa_shared_vgpr_count 0
		.amdhsa_exception_fp_ieee_invalid_op 0
		.amdhsa_exception_fp_denorm_src 0
		.amdhsa_exception_fp_ieee_div_zero 0
		.amdhsa_exception_fp_ieee_overflow 0
		.amdhsa_exception_fp_ieee_underflow 0
		.amdhsa_exception_fp_ieee_inexact 0
		.amdhsa_exception_int_div_zero 0
	.end_amdhsa_kernel
	.section	.text._ZL29rocblas_internal_gemmt_kernelIlLi16ELi32ELi8ELc78ELc78ELc76ELb0ELb0E19rocblas_complex_numIdEPKS1_S3_PS1_EviT_T9_T10_S5_lS7_S5_lS6_T11_S5_li,"axG",@progbits,_ZL29rocblas_internal_gemmt_kernelIlLi16ELi32ELi8ELc78ELc78ELc76ELb0ELb0E19rocblas_complex_numIdEPKS1_S3_PS1_EviT_T9_T10_S5_lS7_S5_lS6_T11_S5_li,comdat
.Lfunc_end261:
	.size	_ZL29rocblas_internal_gemmt_kernelIlLi16ELi32ELi8ELc78ELc78ELc76ELb0ELb0E19rocblas_complex_numIdEPKS1_S3_PS1_EviT_T9_T10_S5_lS7_S5_lS6_T11_S5_li, .Lfunc_end261-_ZL29rocblas_internal_gemmt_kernelIlLi16ELi32ELi8ELc78ELc78ELc76ELb0ELb0E19rocblas_complex_numIdEPKS1_S3_PS1_EviT_T9_T10_S5_lS7_S5_lS6_T11_S5_li
                                        ; -- End function
	.set _ZL29rocblas_internal_gemmt_kernelIlLi16ELi32ELi8ELc78ELc78ELc76ELb0ELb0E19rocblas_complex_numIdEPKS1_S3_PS1_EviT_T9_T10_S5_lS7_S5_lS6_T11_S5_li.num_vgpr, 58
	.set _ZL29rocblas_internal_gemmt_kernelIlLi16ELi32ELi8ELc78ELc78ELc76ELb0ELb0E19rocblas_complex_numIdEPKS1_S3_PS1_EviT_T9_T10_S5_lS7_S5_lS6_T11_S5_li.num_agpr, 0
	.set _ZL29rocblas_internal_gemmt_kernelIlLi16ELi32ELi8ELc78ELc78ELc76ELb0ELb0E19rocblas_complex_numIdEPKS1_S3_PS1_EviT_T9_T10_S5_lS7_S5_lS6_T11_S5_li.numbered_sgpr, 48
	.set _ZL29rocblas_internal_gemmt_kernelIlLi16ELi32ELi8ELc78ELc78ELc76ELb0ELb0E19rocblas_complex_numIdEPKS1_S3_PS1_EviT_T9_T10_S5_lS7_S5_lS6_T11_S5_li.num_named_barrier, 0
	.set _ZL29rocblas_internal_gemmt_kernelIlLi16ELi32ELi8ELc78ELc78ELc76ELb0ELb0E19rocblas_complex_numIdEPKS1_S3_PS1_EviT_T9_T10_S5_lS7_S5_lS6_T11_S5_li.private_seg_size, 0
	.set _ZL29rocblas_internal_gemmt_kernelIlLi16ELi32ELi8ELc78ELc78ELc76ELb0ELb0E19rocblas_complex_numIdEPKS1_S3_PS1_EviT_T9_T10_S5_lS7_S5_lS6_T11_S5_li.uses_vcc, 1
	.set _ZL29rocblas_internal_gemmt_kernelIlLi16ELi32ELi8ELc78ELc78ELc76ELb0ELb0E19rocblas_complex_numIdEPKS1_S3_PS1_EviT_T9_T10_S5_lS7_S5_lS6_T11_S5_li.uses_flat_scratch, 0
	.set _ZL29rocblas_internal_gemmt_kernelIlLi16ELi32ELi8ELc78ELc78ELc76ELb0ELb0E19rocblas_complex_numIdEPKS1_S3_PS1_EviT_T9_T10_S5_lS7_S5_lS6_T11_S5_li.has_dyn_sized_stack, 0
	.set _ZL29rocblas_internal_gemmt_kernelIlLi16ELi32ELi8ELc78ELc78ELc76ELb0ELb0E19rocblas_complex_numIdEPKS1_S3_PS1_EviT_T9_T10_S5_lS7_S5_lS6_T11_S5_li.has_recursion, 0
	.set _ZL29rocblas_internal_gemmt_kernelIlLi16ELi32ELi8ELc78ELc78ELc76ELb0ELb0E19rocblas_complex_numIdEPKS1_S3_PS1_EviT_T9_T10_S5_lS7_S5_lS6_T11_S5_li.has_indirect_call, 0
	.section	.AMDGPU.csdata,"",@progbits
; Kernel info:
; codeLenInByte = 3660
; TotalNumSgprs: 50
; NumVgprs: 58
; ScratchSize: 0
; MemoryBound: 0
; FloatMode: 240
; IeeeMode: 1
; LDSByteSize: 8192 bytes/workgroup (compile time only)
; SGPRBlocks: 0
; VGPRBlocks: 7
; NumSGPRsForWavesPerEU: 50
; NumVGPRsForWavesPerEU: 58
; Occupancy: 16
; WaveLimiterHint : 0
; COMPUTE_PGM_RSRC2:SCRATCH_EN: 0
; COMPUTE_PGM_RSRC2:USER_SGPR: 6
; COMPUTE_PGM_RSRC2:TRAP_HANDLER: 0
; COMPUTE_PGM_RSRC2:TGID_X_EN: 1
; COMPUTE_PGM_RSRC2:TGID_Y_EN: 1
; COMPUTE_PGM_RSRC2:TGID_Z_EN: 1
; COMPUTE_PGM_RSRC2:TIDIG_COMP_CNT: 1
	.section	.text._ZL29rocblas_internal_gemmt_kernelIlLi16ELi32ELi8ELc78ELc84ELc76ELb0ELb0E19rocblas_complex_numIdEPKS1_S3_PS1_EviT_T9_T10_S5_lS7_S5_lS6_T11_S5_li,"axG",@progbits,_ZL29rocblas_internal_gemmt_kernelIlLi16ELi32ELi8ELc78ELc84ELc76ELb0ELb0E19rocblas_complex_numIdEPKS1_S3_PS1_EviT_T9_T10_S5_lS7_S5_lS6_T11_S5_li,comdat
	.globl	_ZL29rocblas_internal_gemmt_kernelIlLi16ELi32ELi8ELc78ELc84ELc76ELb0ELb0E19rocblas_complex_numIdEPKS1_S3_PS1_EviT_T9_T10_S5_lS7_S5_lS6_T11_S5_li ; -- Begin function _ZL29rocblas_internal_gemmt_kernelIlLi16ELi32ELi8ELc78ELc84ELc76ELb0ELb0E19rocblas_complex_numIdEPKS1_S3_PS1_EviT_T9_T10_S5_lS7_S5_lS6_T11_S5_li
	.p2align	8
	.type	_ZL29rocblas_internal_gemmt_kernelIlLi16ELi32ELi8ELc78ELc84ELc76ELb0ELb0E19rocblas_complex_numIdEPKS1_S3_PS1_EviT_T9_T10_S5_lS7_S5_lS6_T11_S5_li,@function
_ZL29rocblas_internal_gemmt_kernelIlLi16ELi32ELi8ELc78ELc84ELc76ELb0ELb0E19rocblas_complex_numIdEPKS1_S3_PS1_EviT_T9_T10_S5_lS7_S5_lS6_T11_S5_li: ; @_ZL29rocblas_internal_gemmt_kernelIlLi16ELi32ELi8ELc78ELc84ELc76ELb0ELb0E19rocblas_complex_numIdEPKS1_S3_PS1_EviT_T9_T10_S5_lS7_S5_lS6_T11_S5_li
; %bb.0:
	s_load_dwordx8 s[36:43], s[4:5], 0x48
	s_waitcnt lgkmcnt(0)
	s_load_dwordx4 s[28:31], s[36:37], 0x0
	s_load_dwordx16 s[12:27], s[4:5], 0x8
	s_waitcnt lgkmcnt(0)
	v_cmp_eq_f64_e64 s0, s[28:29], 1.0
	v_cmp_eq_f64_e64 s9, s[30:31], 0
	s_load_dwordx4 s[44:47], s[14:15], 0x0
	s_and_b32 s0, s0, s9
	s_andn2_b32 vcc_lo, exec_lo, s0
	s_mov_b32 s0, -1
	s_cbranch_vccnz .LBB262_3
; %bb.1:
	s_cmp_lg_u64 s[12:13], 0
	s_cbranch_scc0 .LBB262_33
; %bb.2:
	s_waitcnt lgkmcnt(0)
	v_cmp_neq_f64_e64 s0, s[44:45], 0
	v_cmp_neq_f64_e64 s1, s[46:47], 0
	s_or_b32 s0, s0, s1
.LBB262_3:
	s_and_b32 vcc_lo, exec_lo, s0
	s_cbranch_vccz .LBB262_34
; %bb.4:
	s_waitcnt lgkmcnt(0)
	v_cmp_eq_f64_e64 s0, s[44:45], 0
	v_cmp_eq_f64_e64 s1, s[46:47], 0
	s_load_dword s4, s[4:5], 0x0
	v_cmp_lt_i64_e64 s2, s[12:13], 1
	v_mov_b32_e32 v20, 0
	v_mov_b32_e32 v22, 0
	;; [unrolled: 1-line block ×16, first 2 shown]
	s_lshl_b32 s5, s6, 5
	s_lshl_b32 s6, s7, 5
	s_and_b32 s0, s0, s1
	s_or_b32 s0, s0, s2
	s_and_b32 vcc_lo, exec_lo, s0
	s_cbranch_vccnz .LBB262_17
; %bb.5:
	v_lshl_add_u32 v2, v1, 4, v0
	s_mul_i32 s0, s27, s8
	s_mul_hi_u32 s1, s26, s8
	v_and_b32_e32 v24, 7, v0
	s_add_i32 s1, s1, s0
	v_and_b32_e32 v5, 31, v2
	v_lshrrev_b32_e32 v8, 3, v2
	v_lshrrev_b32_e32 v25, 5, v2
	s_mul_i32 s0, s26, s8
	s_mul_hi_u32 s3, s20, s8
	v_or_b32_e32 v2, s5, v5
	v_add_nc_u32_e32 v4, s6, v8
	s_lshl_b64 s[0:1], s[0:1], 4
	v_lshlrev_b32_e32 v9, 4, v5
	s_add_u32 s2, s22, s0
	v_ashrrev_i32_e32 v3, 31, v2
	s_mul_i32 s0, s21, s8
	v_ashrrev_i32_e32 v5, 31, v4
	s_addc_u32 s10, s23, s1
	s_add_i32 s1, s3, s0
	s_mul_i32 s0, s20, s8
	v_lshlrev_b32_e32 v10, 4, v24
	s_lshl_b64 s[0:1], s[0:1], 4
	v_lshlrev_b64 v[6:7], 4, v[2:3]
	s_add_u32 s3, s16, s0
	s_waitcnt lgkmcnt(0)
	v_cmp_gt_i32_e64 s0, s4, v2
	v_cmp_le_i32_e64 s7, s4, v2
	v_lshlrev_b64 v[2:3], 4, v[4:5]
	v_lshl_or_b32 v8, v8, 7, v10
	s_addc_u32 s1, s17, s1
	v_add_co_u32 v27, vcc_lo, s3, v6
	v_add_co_ci_u32_e64 v28, null, s1, v7, vcc_lo
	v_cmp_gt_i32_e32 vcc_lo, s4, v4
	v_add_co_u32 v30, s1, s2, v2
	v_lshl_or_b32 v26, v25, 9, v9
	v_add_nc_u32_e32 v29, 0x1000, v8
	v_mov_b32_e32 v8, 0
	v_mov_b32_e32 v10, 0
	;; [unrolled: 1-line block ×8, first 2 shown]
	v_add_co_ci_u32_e64 v31, null, s10, v3, s1
	v_lshlrev_b32_e32 v32, 4, v0
	v_lshl_add_u32 v33, v1, 7, 0x1000
	v_mov_b32_e32 v9, 0
	v_mov_b32_e32 v11, 0
	;; [unrolled: 1-line block ×9, first 2 shown]
	s_mov_b64 s[2:3], 0
	s_xor_b32 s1, vcc_lo, -1
                                        ; implicit-def: $vgpr6_vgpr7
	s_branch .LBB262_7
.LBB262_6:                              ;   in Loop: Header=BB262_7 Depth=1
	s_or_b32 exec_lo, exec_lo, s10
	s_waitcnt lgkmcnt(0)
	s_barrier
	buffer_gl0_inv
	ds_read_b128 v[34:37], v33
	ds_read_b128 v[38:41], v33 offset:16
	ds_read_b128 v[42:45], v33 offset:32
	;; [unrolled: 1-line block ×3, first 2 shown]
	ds_read_b128 v[50:53], v32
	s_add_u32 s2, s2, 8
	s_addc_u32 s3, s3, 0
	v_cmp_gt_i64_e64 s10, s[12:13], s[2:3]
	s_and_b32 vcc_lo, exec_lo, s10
	s_waitcnt lgkmcnt(0)
	v_mul_f64 v[4:5], v[36:37], v[52:53]
	v_mul_f64 v[54:55], v[34:35], v[52:53]
	v_fma_f64 v[4:5], v[34:35], v[50:51], -v[4:5]
	v_fma_f64 v[54:55], v[36:37], v[50:51], v[54:55]
	v_add_f64 v[4:5], v[20:21], v[4:5]
	v_add_f64 v[54:55], v[54:55], v[22:23]
	ds_read_b128 v[20:23], v32 offset:256
	s_waitcnt lgkmcnt(0)
	v_mul_f64 v[56:57], v[36:37], v[22:23]
	v_fma_f64 v[56:57], v[34:35], v[20:21], -v[56:57]
	v_mul_f64 v[34:35], v[34:35], v[22:23]
	v_fma_f64 v[34:35], v[36:37], v[20:21], v[34:35]
	v_add_f64 v[36:37], v[16:17], v[56:57]
	v_add_f64 v[34:35], v[34:35], v[18:19]
	ds_read_b128 v[16:19], v33 offset:2048
	s_waitcnt lgkmcnt(0)
	v_mul_f64 v[56:57], v[18:19], v[52:53]
	v_mul_f64 v[52:53], v[16:17], v[52:53]
	v_fma_f64 v[56:57], v[16:17], v[50:51], -v[56:57]
	v_fma_f64 v[50:51], v[18:19], v[50:51], v[52:53]
	v_add_f64 v[52:53], v[12:13], v[56:57]
	v_add_f64 v[50:51], v[50:51], v[14:15]
	v_mul_f64 v[12:13], v[18:19], v[22:23]
	v_mul_f64 v[14:15], v[16:17], v[22:23]
	v_fma_f64 v[12:13], v[16:17], v[20:21], -v[12:13]
	v_fma_f64 v[14:15], v[18:19], v[20:21], v[14:15]
	v_add_f64 v[20:21], v[10:11], v[12:13]
	v_add_f64 v[22:23], v[14:15], v[8:9]
	ds_read_b128 v[8:11], v32 offset:512
	s_waitcnt lgkmcnt(0)
	v_mul_f64 v[12:13], v[40:41], v[10:11]
	v_mul_f64 v[14:15], v[38:39], v[10:11]
	v_fma_f64 v[12:13], v[38:39], v[8:9], -v[12:13]
	v_fma_f64 v[14:15], v[40:41], v[8:9], v[14:15]
	v_add_f64 v[4:5], v[4:5], v[12:13]
	v_add_f64 v[54:55], v[14:15], v[54:55]
	ds_read_b128 v[12:15], v32 offset:768
	s_waitcnt lgkmcnt(0)
	;; [unrolled: 8-line block ×3, first 2 shown]
	v_mul_f64 v[38:39], v[18:19], v[10:11]
	v_mul_f64 v[10:11], v[16:17], v[10:11]
	v_fma_f64 v[38:39], v[16:17], v[8:9], -v[38:39]
	v_fma_f64 v[8:9], v[18:19], v[8:9], v[10:11]
	v_mul_f64 v[10:11], v[16:17], v[14:15]
	v_add_f64 v[38:39], v[52:53], v[38:39]
	v_add_f64 v[40:41], v[8:9], v[50:51]
	v_mul_f64 v[8:9], v[18:19], v[14:15]
	v_fma_f64 v[10:11], v[18:19], v[12:13], v[10:11]
	v_fma_f64 v[8:9], v[16:17], v[12:13], -v[8:9]
	v_add_f64 v[22:23], v[10:11], v[22:23]
	v_add_f64 v[20:21], v[20:21], v[8:9]
	ds_read_b128 v[8:11], v32 offset:1024
	s_waitcnt lgkmcnt(0)
	v_mul_f64 v[12:13], v[44:45], v[10:11]
	v_mul_f64 v[14:15], v[42:43], v[10:11]
	v_fma_f64 v[12:13], v[42:43], v[8:9], -v[12:13]
	v_fma_f64 v[14:15], v[44:45], v[8:9], v[14:15]
	v_add_f64 v[4:5], v[4:5], v[12:13]
	v_add_f64 v[50:51], v[14:15], v[54:55]
	ds_read_b128 v[12:15], v32 offset:1280
	s_waitcnt lgkmcnt(0)
	v_mul_f64 v[16:17], v[44:45], v[14:15]
	v_mul_f64 v[18:19], v[42:43], v[14:15]
	v_fma_f64 v[16:17], v[42:43], v[12:13], -v[16:17]
	v_fma_f64 v[18:19], v[44:45], v[12:13], v[18:19]
	v_add_f64 v[36:37], v[36:37], v[16:17]
	v_add_f64 v[34:35], v[18:19], v[34:35]
	ds_read_b128 v[16:19], v33 offset:2080
	s_waitcnt lgkmcnt(0)
	v_mul_f64 v[42:43], v[18:19], v[10:11]
	v_mul_f64 v[10:11], v[16:17], v[10:11]
	v_fma_f64 v[42:43], v[16:17], v[8:9], -v[42:43]
	v_fma_f64 v[8:9], v[18:19], v[8:9], v[10:11]
	v_mul_f64 v[10:11], v[16:17], v[14:15]
	v_add_f64 v[38:39], v[38:39], v[42:43]
	v_add_f64 v[40:41], v[8:9], v[40:41]
	v_mul_f64 v[8:9], v[18:19], v[14:15]
	v_fma_f64 v[10:11], v[18:19], v[12:13], v[10:11]
	v_fma_f64 v[8:9], v[16:17], v[12:13], -v[8:9]
	v_add_f64 v[22:23], v[10:11], v[22:23]
	v_add_f64 v[20:21], v[20:21], v[8:9]
	ds_read_b128 v[8:11], v32 offset:1536
	s_waitcnt lgkmcnt(0)
	v_mul_f64 v[12:13], v[48:49], v[10:11]
	v_mul_f64 v[14:15], v[46:47], v[10:11]
	v_fma_f64 v[12:13], v[46:47], v[8:9], -v[12:13]
	v_fma_f64 v[14:15], v[48:49], v[8:9], v[14:15]
	v_add_f64 v[4:5], v[4:5], v[12:13]
	v_add_f64 v[42:43], v[14:15], v[50:51]
	ds_read_b128 v[12:15], v32 offset:1792
	s_waitcnt lgkmcnt(0)
	v_mul_f64 v[16:17], v[48:49], v[14:15]
	v_mul_f64 v[18:19], v[46:47], v[14:15]
	v_fma_f64 v[16:17], v[46:47], v[12:13], -v[16:17]
	v_fma_f64 v[18:19], v[48:49], v[12:13], v[18:19]
	;; [unrolled: 8-line block ×3, first 2 shown]
	v_mul_f64 v[10:11], v[16:17], v[14:15]
	v_add_f64 v[38:39], v[38:39], v[44:45]
	v_add_f64 v[40:41], v[8:9], v[40:41]
	v_mul_f64 v[8:9], v[18:19], v[14:15]
	v_fma_f64 v[10:11], v[18:19], v[12:13], v[10:11]
	v_fma_f64 v[8:9], v[16:17], v[12:13], -v[8:9]
	v_add_f64 v[22:23], v[10:11], v[22:23]
	v_add_f64 v[20:21], v[20:21], v[8:9]
	ds_read_b128 v[8:11], v33 offset:64
	ds_read_b128 v[12:15], v32 offset:2048
	s_waitcnt lgkmcnt(0)
	v_mul_f64 v[16:17], v[10:11], v[14:15]
	v_mul_f64 v[18:19], v[8:9], v[14:15]
	v_fma_f64 v[16:17], v[8:9], v[12:13], -v[16:17]
	v_fma_f64 v[18:19], v[10:11], v[12:13], v[18:19]
	v_add_f64 v[4:5], v[4:5], v[16:17]
	v_add_f64 v[42:43], v[18:19], v[42:43]
	ds_read_b128 v[16:19], v32 offset:2304
	s_waitcnt lgkmcnt(0)
	v_mul_f64 v[44:45], v[10:11], v[18:19]
	v_fma_f64 v[44:45], v[8:9], v[16:17], -v[44:45]
	v_mul_f64 v[8:9], v[8:9], v[18:19]
	v_add_f64 v[36:37], v[36:37], v[44:45]
	v_fma_f64 v[8:9], v[10:11], v[16:17], v[8:9]
	v_add_f64 v[34:35], v[8:9], v[34:35]
	ds_read_b128 v[8:11], v33 offset:2112
	s_waitcnt lgkmcnt(0)
	v_mul_f64 v[44:45], v[10:11], v[14:15]
	v_mul_f64 v[14:15], v[8:9], v[14:15]
	v_fma_f64 v[44:45], v[8:9], v[12:13], -v[44:45]
	v_fma_f64 v[12:13], v[10:11], v[12:13], v[14:15]
	v_add_f64 v[38:39], v[38:39], v[44:45]
	v_add_f64 v[40:41], v[12:13], v[40:41]
	v_mul_f64 v[12:13], v[10:11], v[18:19]
	v_fma_f64 v[12:13], v[8:9], v[16:17], -v[12:13]
	v_mul_f64 v[8:9], v[8:9], v[18:19]
	v_add_f64 v[20:21], v[20:21], v[12:13]
	v_fma_f64 v[8:9], v[10:11], v[16:17], v[8:9]
	v_add_f64 v[22:23], v[8:9], v[22:23]
	ds_read_b128 v[8:11], v33 offset:80
	ds_read_b128 v[12:15], v32 offset:2560
	s_waitcnt lgkmcnt(0)
	v_mul_f64 v[16:17], v[10:11], v[14:15]
	v_mul_f64 v[18:19], v[8:9], v[14:15]
	v_fma_f64 v[16:17], v[8:9], v[12:13], -v[16:17]
	v_fma_f64 v[18:19], v[10:11], v[12:13], v[18:19]
	v_add_f64 v[4:5], v[4:5], v[16:17]
	v_add_f64 v[42:43], v[18:19], v[42:43]
	ds_read_b128 v[16:19], v32 offset:2816
	s_waitcnt lgkmcnt(0)
	v_mul_f64 v[44:45], v[10:11], v[18:19]
	v_fma_f64 v[44:45], v[8:9], v[16:17], -v[44:45]
	v_mul_f64 v[8:9], v[8:9], v[18:19]
	v_add_f64 v[36:37], v[36:37], v[44:45]
	v_fma_f64 v[8:9], v[10:11], v[16:17], v[8:9]
	v_add_f64 v[34:35], v[8:9], v[34:35]
	ds_read_b128 v[8:11], v33 offset:2128
	s_waitcnt lgkmcnt(0)
	v_mul_f64 v[44:45], v[10:11], v[14:15]
	v_mul_f64 v[14:15], v[8:9], v[14:15]
	v_fma_f64 v[44:45], v[8:9], v[12:13], -v[44:45]
	v_fma_f64 v[12:13], v[10:11], v[12:13], v[14:15]
	v_add_f64 v[38:39], v[38:39], v[44:45]
	v_add_f64 v[40:41], v[12:13], v[40:41]
	v_mul_f64 v[12:13], v[10:11], v[18:19]
	v_fma_f64 v[12:13], v[8:9], v[16:17], -v[12:13]
	v_mul_f64 v[8:9], v[8:9], v[18:19]
	v_add_f64 v[20:21], v[20:21], v[12:13]
	v_fma_f64 v[8:9], v[10:11], v[16:17], v[8:9]
	;; [unrolled: 31-line block ×3, first 2 shown]
	v_add_f64 v[50:51], v[8:9], v[22:23]
	ds_read_b128 v[8:11], v33 offset:112
	ds_read_b128 v[12:15], v32 offset:3584
	;; [unrolled: 1-line block ×3, first 2 shown]
	s_waitcnt lgkmcnt(1)
	v_mul_f64 v[16:17], v[10:11], v[14:15]
	v_mul_f64 v[18:19], v[8:9], v[14:15]
	v_fma_f64 v[16:17], v[8:9], v[12:13], -v[16:17]
	v_fma_f64 v[18:19], v[10:11], v[12:13], v[18:19]
	v_add_f64 v[20:21], v[4:5], v[16:17]
	s_waitcnt lgkmcnt(0)
	v_mul_f64 v[4:5], v[10:11], v[36:37]
	v_add_f64 v[22:23], v[18:19], v[42:43]
	v_fma_f64 v[4:5], v[8:9], v[34:35], -v[4:5]
	v_mul_f64 v[8:9], v[8:9], v[36:37]
	v_add_f64 v[16:17], v[44:45], v[4:5]
	v_fma_f64 v[8:9], v[10:11], v[34:35], v[8:9]
	v_add_f64 v[18:19], v[8:9], v[46:47]
	ds_read_b128 v[8:11], v33 offset:2160
	s_waitcnt lgkmcnt(0)
	s_barrier
	buffer_gl0_inv
	v_mul_f64 v[4:5], v[10:11], v[14:15]
	v_mul_f64 v[14:15], v[8:9], v[14:15]
	v_fma_f64 v[4:5], v[8:9], v[12:13], -v[4:5]
	v_fma_f64 v[14:15], v[10:11], v[12:13], v[14:15]
	v_add_f64 v[12:13], v[38:39], v[4:5]
	v_mul_f64 v[4:5], v[10:11], v[36:37]
	v_add_f64 v[14:15], v[14:15], v[40:41]
	v_fma_f64 v[4:5], v[8:9], v[34:35], -v[4:5]
	v_mul_f64 v[8:9], v[8:9], v[36:37]
	v_fma_f64 v[8:9], v[10:11], v[34:35], v[8:9]
	v_add_f64 v[10:11], v[48:49], v[4:5]
	v_add_f64 v[8:9], v[8:9], v[50:51]
	s_cbranch_vccz .LBB262_17
.LBB262_7:                              ; =>This Inner Loop Header: Depth=1
	s_mov_b32 s14, s7
	s_mov_b32 s10, 0
	s_and_saveexec_b32 s11, s0
	s_cbranch_execnz .LBB262_15
; %bb.8:                                ;   in Loop: Header=BB262_7 Depth=1
	s_or_b32 exec_lo, exec_lo, s11
	s_and_saveexec_b32 s11, s14
	s_xor_b32 s11, exec_lo, s11
	s_cbranch_execnz .LBB262_16
.LBB262_9:                              ;   in Loop: Header=BB262_7 Depth=1
	s_or_b32 exec_lo, exec_lo, s11
	s_and_saveexec_b32 s11, s10
	s_cbranch_execz .LBB262_11
.LBB262_10:                             ;   in Loop: Header=BB262_7 Depth=1
	v_mul_lo_u32 v2, s19, v6
	v_mul_lo_u32 v34, s18, v7
	v_mad_u64_u32 v[4:5], null, s18, v6, 0
	v_add3_u32 v5, v5, v34, v2
	v_lshlrev_b64 v[4:5], 4, v[4:5]
	v_add_co_u32 v4, vcc_lo, v27, v4
	v_add_co_ci_u32_e64 v5, null, v28, v5, vcc_lo
	global_load_dwordx4 v[34:37], v[4:5], off
	s_waitcnt vmcnt(0)
	ds_write2_b64 v26, v[34:35], v[36:37] offset1:1
.LBB262_11:                             ;   in Loop: Header=BB262_7 Depth=1
	s_or_b32 exec_lo, exec_lo, s11
	v_add_nc_u32_e32 v2, s2, v24
	v_cmp_le_u64_e32 vcc_lo, s[12:13], v[2:3]
	s_or_b32 s10, vcc_lo, s1
	s_and_saveexec_b32 s11, s10
	s_xor_b32 s10, exec_lo, s11
	s_cbranch_execz .LBB262_13
; %bb.12:                               ;   in Loop: Header=BB262_7 Depth=1
	v_mov_b32_e32 v2, v3
	v_mov_b32_e32 v4, v3
	;; [unrolled: 1-line block ×3, first 2 shown]
	ds_write_b128 v29, v[2:5]
.LBB262_13:                             ;   in Loop: Header=BB262_7 Depth=1
	s_andn2_saveexec_b32 s10, s10
	s_cbranch_execz .LBB262_6
; %bb.14:                               ;   in Loop: Header=BB262_7 Depth=1
	v_mad_u64_u32 v[4:5], null, s24, v2, 0
	v_mad_u64_u32 v[34:35], null, s25, v2, v[5:6]
	v_mov_b32_e32 v5, v34
	v_lshlrev_b64 v[4:5], 4, v[4:5]
	v_add_co_u32 v4, vcc_lo, v30, v4
	v_add_co_ci_u32_e64 v5, null, v31, v5, vcc_lo
	global_load_dwordx4 v[34:37], v[4:5], off
	s_waitcnt vmcnt(0)
	ds_write2_b64 v29, v[34:35], v[36:37] offset1:1
	s_branch .LBB262_6
.LBB262_15:                             ;   in Loop: Header=BB262_7 Depth=1
	v_add_nc_u32_e32 v2, s2, v25
	v_mov_b32_e32 v7, v3
	s_andn2_b32 s14, s7, exec_lo
	s_mov_b32 s10, exec_lo
	v_cmp_le_u64_e32 vcc_lo, s[12:13], v[2:3]
	v_mov_b32_e32 v6, v2
	s_and_b32 s15, vcc_lo, exec_lo
	s_or_b32 s14, s14, s15
	s_or_b32 exec_lo, exec_lo, s11
	s_and_saveexec_b32 s11, s14
	s_xor_b32 s11, exec_lo, s11
	s_cbranch_execz .LBB262_9
.LBB262_16:                             ;   in Loop: Header=BB262_7 Depth=1
	v_mov_b32_e32 v2, v3
	v_mov_b32_e32 v4, v3
	;; [unrolled: 1-line block ×3, first 2 shown]
	s_andn2_b32 s10, s10, exec_lo
	ds_write_b128 v26, v[2:5]
	s_or_b32 exec_lo, exec_lo, s11
	s_and_saveexec_b32 s11, s10
	s_cbranch_execnz .LBB262_10
	s_branch .LBB262_11
.LBB262_17:
	v_add_nc_u32_e32 v25, s6, v1
	v_cmp_neq_f64_e64 s2, s[28:29], 0
	s_mul_i32 s1, s43, s8
	s_mul_hi_u32 s3, s42, s8
	s_mul_i32 s0, s42, s8
	v_ashrrev_i32_e32 v3, 31, v25
	v_mul_lo_u32 v5, s41, v25
	v_mad_u64_u32 v[1:2], null, s40, v25, 0
	s_add_i32 s1, s3, s1
	v_mul_lo_u32 v3, s40, v3
	v_add_nc_u32_e32 v4, s5, v0
	s_lshl_b64 s[6:7], s[0:1], 4
	s_add_u32 s3, s38, s6
	s_addc_u32 s5, s39, s7
	s_xor_b32 s6, s9, -1
	v_cmp_le_i32_e32 vcc_lo, v25, v4
	v_add3_u32 v2, v2, v3, v5
	s_waitcnt lgkmcnt(0)
	v_cmp_gt_i32_e64 s0, s4, v4
	v_ashrrev_i32_e32 v5, 31, v4
	s_or_b32 s2, s2, s6
	v_lshlrev_b64 v[0:1], 4, v[1:2]
	v_cndmask_b32_e64 v24, 0, 1, s2
	s_and_b32 s6, vcc_lo, s0
	v_add_co_u32 v26, s1, s3, v0
	v_add_co_ci_u32_e64 v27, null, s5, v1, s1
	s_and_saveexec_b32 s1, s6
	s_cbranch_execz .LBB262_21
; %bb.18:
	v_mul_f64 v[0:1], s[46:47], v[22:23]
	v_mul_f64 v[2:3], s[44:45], v[22:23]
	v_lshlrev_b64 v[6:7], 4, v[4:5]
	v_add_co_u32 v6, vcc_lo, v26, v6
	v_add_co_ci_u32_e64 v7, null, v27, v7, vcc_lo
	s_andn2_b32 vcc_lo, exec_lo, s2
	v_fma_f64 v[0:1], s[44:45], v[20:21], -v[0:1]
	v_fma_f64 v[2:3], s[46:47], v[20:21], v[2:3]
	s_cbranch_vccnz .LBB262_20
; %bb.19:
	global_load_dwordx4 v[20:23], v[6:7], off
	s_waitcnt vmcnt(0)
	v_mul_f64 v[28:29], s[30:31], v[22:23]
	v_mul_f64 v[22:23], s[28:29], v[22:23]
	v_fma_f64 v[28:29], s[28:29], v[20:21], -v[28:29]
	v_fma_f64 v[20:21], s[30:31], v[20:21], v[22:23]
	v_add_f64 v[0:1], v[0:1], v[28:29]
	v_add_f64 v[2:3], v[2:3], v[20:21]
.LBB262_20:
	global_store_dwordx4 v[6:7], v[0:3], off
.LBB262_21:
	s_or_b32 exec_lo, exec_lo, s1
	v_add_nc_u32_e32 v6, 16, v4
	v_cmp_le_i32_e32 vcc_lo, v25, v6
	v_cmp_gt_i32_e64 s1, s4, v6
	v_ashrrev_i32_e32 v7, 31, v6
	s_and_b32 s2, vcc_lo, s1
	s_and_saveexec_b32 s4, s2
	s_cbranch_execz .LBB262_25
; %bb.22:
	v_mul_f64 v[0:1], s[46:47], v[18:19]
	v_mul_f64 v[2:3], s[44:45], v[18:19]
	v_cmp_ne_u32_e32 vcc_lo, 1, v24
	s_and_b32 vcc_lo, exec_lo, vcc_lo
	v_fma_f64 v[0:1], s[44:45], v[16:17], -v[0:1]
	v_fma_f64 v[2:3], s[46:47], v[16:17], v[2:3]
	v_lshlrev_b64 v[16:17], 4, v[6:7]
	v_add_co_u32 v16, s2, v26, v16
	v_add_co_ci_u32_e64 v17, null, v27, v17, s2
	s_cbranch_vccnz .LBB262_24
; %bb.23:
	global_load_dwordx4 v[18:21], v[16:17], off
	s_waitcnt vmcnt(0)
	v_mul_f64 v[22:23], s[30:31], v[20:21]
	v_mul_f64 v[20:21], s[28:29], v[20:21]
	v_fma_f64 v[22:23], s[28:29], v[18:19], -v[22:23]
	v_fma_f64 v[18:19], s[30:31], v[18:19], v[20:21]
	v_add_f64 v[0:1], v[0:1], v[22:23]
	v_add_f64 v[2:3], v[2:3], v[18:19]
.LBB262_24:
	global_store_dwordx4 v[16:17], v[0:3], off
.LBB262_25:
	s_or_b32 exec_lo, exec_lo, s4
	v_add_nc_u32_e32 v18, 16, v25
	v_ashrrev_i32_e32 v2, 31, v18
	v_mul_lo_u32 v3, s41, v18
	v_mad_u64_u32 v[0:1], null, s40, v18, 0
	v_cmp_le_i32_e32 vcc_lo, v18, v4
	v_mul_lo_u32 v2, s40, v2
	s_and_b32 s0, vcc_lo, s0
	v_add3_u32 v1, v1, v2, v3
	v_lshlrev_b64 v[0:1], 4, v[0:1]
	v_add_co_u32 v16, s2, s3, v0
	v_add_co_ci_u32_e64 v17, null, s5, v1, s2
	s_and_saveexec_b32 s2, s0
	s_cbranch_execz .LBB262_29
; %bb.26:
	v_mul_f64 v[0:1], s[46:47], v[14:15]
	v_mul_f64 v[2:3], s[44:45], v[14:15]
	v_lshlrev_b64 v[4:5], 4, v[4:5]
	v_cmp_ne_u32_e32 vcc_lo, 1, v24
	s_and_b32 vcc_lo, exec_lo, vcc_lo
	v_add_co_u32 v4, s0, v16, v4
	v_add_co_ci_u32_e64 v5, null, v17, v5, s0
	v_fma_f64 v[0:1], s[44:45], v[12:13], -v[0:1]
	v_fma_f64 v[2:3], s[46:47], v[12:13], v[2:3]
	s_cbranch_vccnz .LBB262_28
; %bb.27:
	global_load_dwordx4 v[12:15], v[4:5], off
	s_waitcnt vmcnt(0)
	v_mul_f64 v[19:20], s[30:31], v[14:15]
	v_mul_f64 v[14:15], s[28:29], v[14:15]
	v_fma_f64 v[19:20], s[28:29], v[12:13], -v[19:20]
	v_fma_f64 v[12:13], s[30:31], v[12:13], v[14:15]
	v_add_f64 v[0:1], v[0:1], v[19:20]
	v_add_f64 v[2:3], v[2:3], v[12:13]
.LBB262_28:
	global_store_dwordx4 v[4:5], v[0:3], off
.LBB262_29:
	s_or_b32 exec_lo, exec_lo, s2
	v_cmp_le_i32_e32 vcc_lo, v18, v6
	s_and_b32 s0, vcc_lo, s1
	s_and_saveexec_b32 s1, s0
	s_cbranch_execz .LBB262_34
; %bb.30:
	v_mul_f64 v[0:1], s[46:47], v[8:9]
	v_mul_f64 v[2:3], s[44:45], v[8:9]
	v_lshlrev_b64 v[4:5], 4, v[6:7]
	v_cmp_ne_u32_e32 vcc_lo, 1, v24
	s_and_b32 vcc_lo, exec_lo, vcc_lo
	v_add_co_u32 v4, s0, v16, v4
	v_add_co_ci_u32_e64 v5, null, v17, v5, s0
	v_fma_f64 v[0:1], s[44:45], v[10:11], -v[0:1]
	v_fma_f64 v[2:3], s[46:47], v[10:11], v[2:3]
	s_cbranch_vccnz .LBB262_32
; %bb.31:
	global_load_dwordx4 v[6:9], v[4:5], off
	s_waitcnt vmcnt(0)
	v_mul_f64 v[10:11], s[30:31], v[8:9]
	v_mul_f64 v[8:9], s[28:29], v[8:9]
	v_fma_f64 v[10:11], s[28:29], v[6:7], -v[10:11]
	v_fma_f64 v[6:7], s[30:31], v[6:7], v[8:9]
	v_add_f64 v[0:1], v[0:1], v[10:11]
	v_add_f64 v[2:3], v[2:3], v[6:7]
.LBB262_32:
	global_store_dwordx4 v[4:5], v[0:3], off
	s_endpgm
.LBB262_33:
.LBB262_34:
	s_endpgm
	.section	.rodata,"a",@progbits
	.p2align	6, 0x0
	.amdhsa_kernel _ZL29rocblas_internal_gemmt_kernelIlLi16ELi32ELi8ELc78ELc84ELc76ELb0ELb0E19rocblas_complex_numIdEPKS1_S3_PS1_EviT_T9_T10_S5_lS7_S5_lS6_T11_S5_li
		.amdhsa_group_segment_fixed_size 8192
		.amdhsa_private_segment_fixed_size 0
		.amdhsa_kernarg_size 108
		.amdhsa_user_sgpr_count 6
		.amdhsa_user_sgpr_private_segment_buffer 1
		.amdhsa_user_sgpr_dispatch_ptr 0
		.amdhsa_user_sgpr_queue_ptr 0
		.amdhsa_user_sgpr_kernarg_segment_ptr 1
		.amdhsa_user_sgpr_dispatch_id 0
		.amdhsa_user_sgpr_flat_scratch_init 0
		.amdhsa_user_sgpr_private_segment_size 0
		.amdhsa_wavefront_size32 1
		.amdhsa_uses_dynamic_stack 0
		.amdhsa_system_sgpr_private_segment_wavefront_offset 0
		.amdhsa_system_sgpr_workgroup_id_x 1
		.amdhsa_system_sgpr_workgroup_id_y 1
		.amdhsa_system_sgpr_workgroup_id_z 1
		.amdhsa_system_sgpr_workgroup_info 0
		.amdhsa_system_vgpr_workitem_id 1
		.amdhsa_next_free_vgpr 58
		.amdhsa_next_free_sgpr 48
		.amdhsa_reserve_vcc 1
		.amdhsa_reserve_flat_scratch 0
		.amdhsa_float_round_mode_32 0
		.amdhsa_float_round_mode_16_64 0
		.amdhsa_float_denorm_mode_32 3
		.amdhsa_float_denorm_mode_16_64 3
		.amdhsa_dx10_clamp 1
		.amdhsa_ieee_mode 1
		.amdhsa_fp16_overflow 0
		.amdhsa_workgroup_processor_mode 1
		.amdhsa_memory_ordered 1
		.amdhsa_forward_progress 1
		.amdhsa_shared_vgpr_count 0
		.amdhsa_exception_fp_ieee_invalid_op 0
		.amdhsa_exception_fp_denorm_src 0
		.amdhsa_exception_fp_ieee_div_zero 0
		.amdhsa_exception_fp_ieee_overflow 0
		.amdhsa_exception_fp_ieee_underflow 0
		.amdhsa_exception_fp_ieee_inexact 0
		.amdhsa_exception_int_div_zero 0
	.end_amdhsa_kernel
	.section	.text._ZL29rocblas_internal_gemmt_kernelIlLi16ELi32ELi8ELc78ELc84ELc76ELb0ELb0E19rocblas_complex_numIdEPKS1_S3_PS1_EviT_T9_T10_S5_lS7_S5_lS6_T11_S5_li,"axG",@progbits,_ZL29rocblas_internal_gemmt_kernelIlLi16ELi32ELi8ELc78ELc84ELc76ELb0ELb0E19rocblas_complex_numIdEPKS1_S3_PS1_EviT_T9_T10_S5_lS7_S5_lS6_T11_S5_li,comdat
.Lfunc_end262:
	.size	_ZL29rocblas_internal_gemmt_kernelIlLi16ELi32ELi8ELc78ELc84ELc76ELb0ELb0E19rocblas_complex_numIdEPKS1_S3_PS1_EviT_T9_T10_S5_lS7_S5_lS6_T11_S5_li, .Lfunc_end262-_ZL29rocblas_internal_gemmt_kernelIlLi16ELi32ELi8ELc78ELc84ELc76ELb0ELb0E19rocblas_complex_numIdEPKS1_S3_PS1_EviT_T9_T10_S5_lS7_S5_lS6_T11_S5_li
                                        ; -- End function
	.set _ZL29rocblas_internal_gemmt_kernelIlLi16ELi32ELi8ELc78ELc84ELc76ELb0ELb0E19rocblas_complex_numIdEPKS1_S3_PS1_EviT_T9_T10_S5_lS7_S5_lS6_T11_S5_li.num_vgpr, 58
	.set _ZL29rocblas_internal_gemmt_kernelIlLi16ELi32ELi8ELc78ELc84ELc76ELb0ELb0E19rocblas_complex_numIdEPKS1_S3_PS1_EviT_T9_T10_S5_lS7_S5_lS6_T11_S5_li.num_agpr, 0
	.set _ZL29rocblas_internal_gemmt_kernelIlLi16ELi32ELi8ELc78ELc84ELc76ELb0ELb0E19rocblas_complex_numIdEPKS1_S3_PS1_EviT_T9_T10_S5_lS7_S5_lS6_T11_S5_li.numbered_sgpr, 48
	.set _ZL29rocblas_internal_gemmt_kernelIlLi16ELi32ELi8ELc78ELc84ELc76ELb0ELb0E19rocblas_complex_numIdEPKS1_S3_PS1_EviT_T9_T10_S5_lS7_S5_lS6_T11_S5_li.num_named_barrier, 0
	.set _ZL29rocblas_internal_gemmt_kernelIlLi16ELi32ELi8ELc78ELc84ELc76ELb0ELb0E19rocblas_complex_numIdEPKS1_S3_PS1_EviT_T9_T10_S5_lS7_S5_lS6_T11_S5_li.private_seg_size, 0
	.set _ZL29rocblas_internal_gemmt_kernelIlLi16ELi32ELi8ELc78ELc84ELc76ELb0ELb0E19rocblas_complex_numIdEPKS1_S3_PS1_EviT_T9_T10_S5_lS7_S5_lS6_T11_S5_li.uses_vcc, 1
	.set _ZL29rocblas_internal_gemmt_kernelIlLi16ELi32ELi8ELc78ELc84ELc76ELb0ELb0E19rocblas_complex_numIdEPKS1_S3_PS1_EviT_T9_T10_S5_lS7_S5_lS6_T11_S5_li.uses_flat_scratch, 0
	.set _ZL29rocblas_internal_gemmt_kernelIlLi16ELi32ELi8ELc78ELc84ELc76ELb0ELb0E19rocblas_complex_numIdEPKS1_S3_PS1_EviT_T9_T10_S5_lS7_S5_lS6_T11_S5_li.has_dyn_sized_stack, 0
	.set _ZL29rocblas_internal_gemmt_kernelIlLi16ELi32ELi8ELc78ELc84ELc76ELb0ELb0E19rocblas_complex_numIdEPKS1_S3_PS1_EviT_T9_T10_S5_lS7_S5_lS6_T11_S5_li.has_recursion, 0
	.set _ZL29rocblas_internal_gemmt_kernelIlLi16ELi32ELi8ELc78ELc84ELc76ELb0ELb0E19rocblas_complex_numIdEPKS1_S3_PS1_EviT_T9_T10_S5_lS7_S5_lS6_T11_S5_li.has_indirect_call, 0
	.section	.AMDGPU.csdata,"",@progbits
; Kernel info:
; codeLenInByte = 3648
; TotalNumSgprs: 50
; NumVgprs: 58
; ScratchSize: 0
; MemoryBound: 0
; FloatMode: 240
; IeeeMode: 1
; LDSByteSize: 8192 bytes/workgroup (compile time only)
; SGPRBlocks: 0
; VGPRBlocks: 7
; NumSGPRsForWavesPerEU: 50
; NumVGPRsForWavesPerEU: 58
; Occupancy: 16
; WaveLimiterHint : 0
; COMPUTE_PGM_RSRC2:SCRATCH_EN: 0
; COMPUTE_PGM_RSRC2:USER_SGPR: 6
; COMPUTE_PGM_RSRC2:TRAP_HANDLER: 0
; COMPUTE_PGM_RSRC2:TGID_X_EN: 1
; COMPUTE_PGM_RSRC2:TGID_Y_EN: 1
; COMPUTE_PGM_RSRC2:TGID_Z_EN: 1
; COMPUTE_PGM_RSRC2:TIDIG_COMP_CNT: 1
	.section	.text._ZL29rocblas_internal_gemmt_kernelIlLi16ELi32ELi8ELc78ELc67ELc76ELb0ELb1E19rocblas_complex_numIdEPKS1_S3_PS1_EviT_T9_T10_S5_lS7_S5_lS6_T11_S5_li,"axG",@progbits,_ZL29rocblas_internal_gemmt_kernelIlLi16ELi32ELi8ELc78ELc67ELc76ELb0ELb1E19rocblas_complex_numIdEPKS1_S3_PS1_EviT_T9_T10_S5_lS7_S5_lS6_T11_S5_li,comdat
	.globl	_ZL29rocblas_internal_gemmt_kernelIlLi16ELi32ELi8ELc78ELc67ELc76ELb0ELb1E19rocblas_complex_numIdEPKS1_S3_PS1_EviT_T9_T10_S5_lS7_S5_lS6_T11_S5_li ; -- Begin function _ZL29rocblas_internal_gemmt_kernelIlLi16ELi32ELi8ELc78ELc67ELc76ELb0ELb1E19rocblas_complex_numIdEPKS1_S3_PS1_EviT_T9_T10_S5_lS7_S5_lS6_T11_S5_li
	.p2align	8
	.type	_ZL29rocblas_internal_gemmt_kernelIlLi16ELi32ELi8ELc78ELc67ELc76ELb0ELb1E19rocblas_complex_numIdEPKS1_S3_PS1_EviT_T9_T10_S5_lS7_S5_lS6_T11_S5_li,@function
_ZL29rocblas_internal_gemmt_kernelIlLi16ELi32ELi8ELc78ELc67ELc76ELb0ELb1E19rocblas_complex_numIdEPKS1_S3_PS1_EviT_T9_T10_S5_lS7_S5_lS6_T11_S5_li: ; @_ZL29rocblas_internal_gemmt_kernelIlLi16ELi32ELi8ELc78ELc67ELc76ELb0ELb1E19rocblas_complex_numIdEPKS1_S3_PS1_EviT_T9_T10_S5_lS7_S5_lS6_T11_S5_li
; %bb.0:
	s_load_dwordx8 s[36:43], s[4:5], 0x48
	s_waitcnt lgkmcnt(0)
	s_load_dwordx4 s[28:31], s[36:37], 0x0
	s_load_dwordx16 s[12:27], s[4:5], 0x8
	s_waitcnt lgkmcnt(0)
	v_cmp_eq_f64_e64 s0, s[28:29], 1.0
	v_cmp_eq_f64_e64 s9, s[30:31], 0
	s_load_dwordx4 s[44:47], s[14:15], 0x0
	s_and_b32 s0, s0, s9
	s_andn2_b32 vcc_lo, exec_lo, s0
	s_mov_b32 s0, -1
	s_cbranch_vccnz .LBB263_3
; %bb.1:
	s_cmp_lg_u64 s[12:13], 0
	s_cbranch_scc0 .LBB263_31
; %bb.2:
	s_waitcnt lgkmcnt(0)
	v_cmp_neq_f64_e64 s0, s[44:45], 0
	v_cmp_neq_f64_e64 s1, s[46:47], 0
	s_or_b32 s0, s0, s1
.LBB263_3:
	s_and_b32 vcc_lo, exec_lo, s0
	s_cbranch_vccz .LBB263_32
; %bb.4:
	s_waitcnt lgkmcnt(0)
	v_cmp_eq_f64_e64 s0, s[44:45], 0
	v_cmp_eq_f64_e64 s1, s[46:47], 0
	s_load_dword s4, s[4:5], 0x0
	v_cmp_lt_i64_e64 s2, s[12:13], 1
	v_mov_b32_e32 v22, 0
	v_mov_b32_e32 v24, 0
	;; [unrolled: 1-line block ×16, first 2 shown]
	s_lshl_b32 s5, s6, 5
	s_lshl_b32 s6, s7, 5
	s_and_b32 s0, s0, s1
	s_or_b32 s0, s0, s2
	s_and_b32 vcc_lo, exec_lo, s0
	s_cbranch_vccnz .LBB263_15
; %bb.5:
	v_lshl_add_u32 v2, v1, 4, v0
	s_mul_i32 s0, s27, s8
	s_mul_hi_u32 s1, s26, s8
	v_and_b32_e32 v26, 7, v0
	s_add_i32 s1, s1, s0
	v_and_b32_e32 v5, 31, v2
	v_lshrrev_b32_e32 v8, 3, v2
	v_lshrrev_b32_e32 v27, 5, v2
	s_mul_i32 s0, s26, s8
	s_mul_hi_u32 s3, s20, s8
	v_or_b32_e32 v2, s5, v5
	v_add_nc_u32_e32 v4, s6, v8
	s_lshl_b64 s[0:1], s[0:1], 4
	v_lshlrev_b32_e32 v9, 4, v5
	s_add_u32 s2, s22, s0
	v_ashrrev_i32_e32 v3, 31, v2
	s_mul_i32 s0, s21, s8
	v_ashrrev_i32_e32 v5, 31, v4
	s_addc_u32 s10, s23, s1
	s_add_i32 s1, s3, s0
	s_mul_i32 s0, s20, s8
	v_lshlrev_b32_e32 v10, 4, v26
	s_lshl_b64 s[0:1], s[0:1], 4
	v_lshlrev_b64 v[6:7], 4, v[2:3]
	s_add_u32 s3, s16, s0
	s_waitcnt lgkmcnt(0)
	v_cmp_gt_i32_e64 s0, s4, v2
	v_cmp_le_i32_e64 s7, s4, v2
	v_lshlrev_b64 v[2:3], 4, v[4:5]
	v_lshl_or_b32 v8, v8, 7, v10
	s_addc_u32 s1, s17, s1
	v_add_co_u32 v29, vcc_lo, s3, v6
	v_add_co_ci_u32_e64 v30, null, s1, v7, vcc_lo
	v_add_co_u32 v32, vcc_lo, s2, v2
	v_mov_b32_e32 v10, 0
	v_mov_b32_e32 v12, 0
	;; [unrolled: 1-line block ×8, first 2 shown]
	v_lshl_or_b32 v28, v27, 9, v9
	v_cmp_gt_i32_e64 s1, s4, v4
	v_add_nc_u32_e32 v31, 0x1000, v8
	v_add_co_ci_u32_e64 v33, null, s10, v3, vcc_lo
	v_lshlrev_b32_e32 v34, 4, v0
	v_lshl_add_u32 v35, v1, 7, 0x1000
	v_mov_b32_e32 v11, 0
	v_mov_b32_e32 v13, 0
	;; [unrolled: 1-line block ×9, first 2 shown]
	s_mov_b64 s[2:3], 0
                                        ; implicit-def: $vgpr8_vgpr9
	s_branch .LBB263_7
.LBB263_6:                              ;   in Loop: Header=BB263_7 Depth=1
	s_or_b32 exec_lo, exec_lo, s10
	ds_write_b128 v31, v[4:7]
	s_waitcnt lgkmcnt(0)
	s_barrier
	buffer_gl0_inv
	ds_read_b128 v[4:7], v35
	ds_read_b128 v[36:39], v34
	ds_read_b128 v[40:43], v34 offset:256
	ds_read_b128 v[44:47], v35 offset:2048
	;; [unrolled: 1-line block ×11, first 2 shown]
	s_add_u32 s2, s2, 8
	s_addc_u32 s3, s3, 0
	v_cmp_gt_i64_e64 s10, s[12:13], s[2:3]
	s_waitcnt lgkmcnt(11)
	v_mul_f64 v[84:85], v[6:7], v[38:39]
	v_mul_f64 v[86:87], v[4:5], v[38:39]
	s_waitcnt lgkmcnt(10)
	v_mul_f64 v[88:89], v[6:7], v[42:43]
	v_mul_f64 v[90:91], v[4:5], v[42:43]
	;; [unrolled: 3-line block ×3, first 2 shown]
	v_mul_f64 v[94:95], v[46:47], v[42:43]
	v_mul_f64 v[42:43], v[44:45], v[42:43]
	s_waitcnt lgkmcnt(7)
	v_mul_f64 v[96:97], v[50:51], v[54:55]
	v_mul_f64 v[98:99], v[48:49], v[54:55]
	s_waitcnt lgkmcnt(6)
	v_mul_f64 v[100:101], v[50:51], v[58:59]
	s_waitcnt lgkmcnt(5)
	v_mul_f64 v[104:105], v[62:63], v[54:55]
	v_mul_f64 v[54:55], v[60:61], v[54:55]
	;; [unrolled: 1-line block ×5, first 2 shown]
	s_waitcnt lgkmcnt(3)
	v_mul_f64 v[108:109], v[70:71], v[66:67]
	v_mul_f64 v[110:111], v[68:69], v[66:67]
	s_and_b32 vcc_lo, exec_lo, s10
	v_fma_f64 v[84:85], v[4:5], v[36:37], -v[84:85]
	v_fma_f64 v[86:87], v[6:7], v[36:37], v[86:87]
	v_fma_f64 v[88:89], v[4:5], v[40:41], -v[88:89]
	v_fma_f64 v[90:91], v[6:7], v[40:41], v[90:91]
	;; [unrolled: 2-line block ×3, first 2 shown]
	v_fma_f64 v[94:95], v[44:45], v[40:41], -v[94:95]
	ds_read_b128 v[4:7], v34 offset:1536
	s_waitcnt lgkmcnt(3)
	v_mul_f64 v[112:113], v[70:71], v[74:75]
	v_mul_f64 v[114:115], v[68:69], v[74:75]
	v_fma_f64 v[118:119], v[46:47], v[40:41], v[42:43]
	v_fma_f64 v[96:97], v[48:49], v[52:53], -v[96:97]
	v_fma_f64 v[98:99], v[50:51], v[52:53], v[98:99]
	v_fma_f64 v[48:49], v[48:49], v[56:57], -v[100:101]
	s_waitcnt lgkmcnt(2)
	v_mul_f64 v[44:45], v[78:79], v[66:67]
	v_fma_f64 v[100:101], v[60:61], v[52:53], -v[104:105]
	v_fma_f64 v[52:53], v[62:63], v[52:53], v[54:55]
	v_mul_f64 v[46:47], v[76:77], v[66:67]
	v_mul_f64 v[54:55], v[78:79], v[74:75]
	;; [unrolled: 1-line block ×3, first 2 shown]
	v_fma_f64 v[50:51], v[50:51], v[56:57], v[102:103]
	v_fma_f64 v[60:61], v[60:61], v[56:57], -v[106:107]
	v_fma_f64 v[56:57], v[62:63], v[56:57], v[58:59]
	v_fma_f64 v[58:59], v[68:69], v[64:65], -v[108:109]
	v_fma_f64 v[62:63], v[70:71], v[64:65], v[110:111]
	v_add_f64 v[84:85], v[22:23], v[84:85]
	v_add_f64 v[86:87], v[86:87], v[24:25]
	;; [unrolled: 1-line block ×5, first 2 shown]
	v_fma_f64 v[68:69], v[68:69], v[72:73], -v[112:113]
	v_fma_f64 v[70:71], v[70:71], v[72:73], v[114:115]
	v_add_f64 v[106:107], v[116:117], v[16:17]
	ds_read_b128 v[36:39], v34 offset:1792
	ds_read_b128 v[40:43], v35 offset:2096
	s_waitcnt lgkmcnt(2)
	v_mul_f64 v[74:75], v[82:83], v[6:7]
	v_mul_f64 v[102:103], v[80:81], v[6:7]
	v_fma_f64 v[110:111], v[76:77], v[64:65], -v[44:45]
	ds_read_b128 v[14:17], v35 offset:64
	v_fma_f64 v[64:65], v[78:79], v[64:65], v[46:47]
	v_fma_f64 v[76:77], v[76:77], v[72:73], -v[54:55]
	v_fma_f64 v[66:67], v[78:79], v[72:73], v[66:67]
	v_add_f64 v[54:55], v[12:13], v[94:95]
	v_add_f64 v[72:73], v[118:119], v[10:11]
	ds_read_b128 v[18:21], v34 offset:2048
	ds_read_b128 v[22:25], v34 offset:2304
	;; [unrolled: 1-line block ×4, first 2 shown]
	v_add_f64 v[84:85], v[84:85], v[96:97]
	v_add_f64 v[86:87], v[98:99], v[86:87]
	v_add_f64 v[88:89], v[88:89], v[48:49]
	v_add_f64 v[90:91], v[50:51], v[90:91]
	v_add_f64 v[92:93], v[92:93], v[100:101]
	s_waitcnt lgkmcnt(6)
	v_mul_f64 v[104:105], v[82:83], v[38:39]
	v_mul_f64 v[108:109], v[80:81], v[38:39]
	s_waitcnt lgkmcnt(5)
	v_mul_f64 v[112:113], v[42:43], v[6:7]
	v_mul_f64 v[6:7], v[40:41], v[6:7]
	v_add_f64 v[52:53], v[52:53], v[106:107]
	v_mul_f64 v[94:95], v[42:43], v[38:39]
	v_mul_f64 v[38:39], v[40:41], v[38:39]
	v_fma_f64 v[74:75], v[80:81], v[4:5], -v[74:75]
	v_fma_f64 v[78:79], v[82:83], v[4:5], v[102:103]
	ds_read_b128 v[48:51], v35 offset:2128
	s_waitcnt lgkmcnt(4)
	v_mul_f64 v[100:101], v[16:17], v[20:21]
	v_mul_f64 v[102:103], v[14:15], v[20:21]
	v_add_f64 v[60:61], v[54:55], v[60:61]
	v_add_f64 v[56:57], v[56:57], v[72:73]
	s_waitcnt lgkmcnt(3)
	v_mul_f64 v[106:107], v[14:15], v[24:25]
	s_waitcnt lgkmcnt(2)
	v_mul_f64 v[72:73], v[46:47], v[20:21]
	v_mul_f64 v[20:21], v[44:45], v[20:21]
	v_add_f64 v[58:59], v[84:85], v[58:59]
	v_add_f64 v[62:63], v[62:63], v[86:87]
	;; [unrolled: 1-line block ×5, first 2 shown]
	v_fma_f64 v[80:81], v[80:81], v[36:37], -v[104:105]
	v_fma_f64 v[82:83], v[82:83], v[36:37], v[108:109]
	v_fma_f64 v[96:97], v[40:41], v[4:5], -v[112:113]
	v_fma_f64 v[98:99], v[42:43], v[4:5], v[6:7]
	v_mul_f64 v[104:105], v[16:17], v[24:25]
	v_add_f64 v[64:65], v[64:65], v[52:53]
	v_mul_f64 v[86:87], v[46:47], v[24:25]
	v_mul_f64 v[24:25], v[44:45], v[24:25]
	v_fma_f64 v[40:41], v[40:41], v[36:37], -v[94:95]
	v_fma_f64 v[42:43], v[42:43], v[36:37], v[38:39]
	ds_read_b128 v[4:7], v35 offset:80
	ds_read_b128 v[52:55], v34 offset:2816
	v_add_f64 v[60:61], v[60:61], v[76:77]
	v_add_f64 v[56:57], v[66:67], v[56:57]
	v_fma_f64 v[90:91], v[14:15], v[18:19], -v[100:101]
	v_fma_f64 v[92:93], v[16:17], v[18:19], v[102:103]
	v_fma_f64 v[100:101], v[16:17], v[22:23], v[106:107]
	v_fma_f64 v[66:67], v[44:45], v[18:19], -v[72:73]
	v_add_f64 v[58:59], v[58:59], v[74:75]
	v_add_f64 v[62:63], v[78:79], v[62:63]
	v_fma_f64 v[72:73], v[46:47], v[18:19], v[20:21]
	v_add_f64 v[68:69], v[68:69], v[80:81]
	v_add_f64 v[70:71], v[82:83], v[70:71]
	;; [unrolled: 1-line block ×3, first 2 shown]
	s_waitcnt lgkmcnt(2)
	v_mul_f64 v[82:83], v[50:51], v[12:13]
	v_fma_f64 v[94:95], v[14:15], v[22:23], -v[104:105]
	v_add_f64 v[64:65], v[98:99], v[64:65]
	v_fma_f64 v[44:45], v[44:45], v[22:23], -v[86:87]
	v_fma_f64 v[46:47], v[46:47], v[22:23], v[24:25]
	s_waitcnt lgkmcnt(1)
	v_mul_f64 v[88:89], v[6:7], v[12:13]
	v_mul_f64 v[76:77], v[4:5], v[12:13]
	s_waitcnt lgkmcnt(0)
	v_mul_f64 v[78:79], v[6:7], v[54:55]
	v_mul_f64 v[80:81], v[4:5], v[54:55]
	;; [unrolled: 1-line block ×5, first 2 shown]
	v_add_f64 v[40:41], v[60:61], v[40:41]
	v_add_f64 v[42:43], v[42:43], v[56:57]
	ds_read_b128 v[14:17], v35 offset:96
	ds_read_b128 v[18:21], v34 offset:3072
	;; [unrolled: 1-line block ×4, first 2 shown]
	v_add_f64 v[56:57], v[58:59], v[90:91]
	v_add_f64 v[58:59], v[92:93], v[62:63]
	;; [unrolled: 1-line block ×3, first 2 shown]
	v_fma_f64 v[82:83], v[48:49], v[10:11], -v[82:83]
	v_add_f64 v[62:63], v[68:69], v[94:95]
	v_add_f64 v[68:69], v[100:101], v[70:71]
	;; [unrolled: 1-line block ×3, first 2 shown]
	v_fma_f64 v[60:61], v[4:5], v[10:11], -v[88:89]
	v_fma_f64 v[70:71], v[6:7], v[10:11], v[76:77]
	v_fma_f64 v[72:73], v[4:5], v[52:53], -v[78:79]
	v_fma_f64 v[74:75], v[6:7], v[52:53], v[80:81]
	ds_read_b128 v[4:7], v35 offset:112
	v_fma_f64 v[88:89], v[50:51], v[10:11], v[12:13]
	s_waitcnt lgkmcnt(3)
	v_mul_f64 v[76:77], v[16:17], v[20:21]
	v_mul_f64 v[78:79], v[14:15], v[20:21]
	s_waitcnt lgkmcnt(2)
	v_mul_f64 v[80:81], v[16:17], v[38:39]
	v_mul_f64 v[86:87], v[14:15], v[38:39]
	v_fma_f64 v[48:49], v[48:49], v[52:53], -v[84:85]
	v_fma_f64 v[50:51], v[50:51], v[52:53], v[54:55]
	v_add_f64 v[52:53], v[40:41], v[44:45]
	v_add_f64 v[46:47], v[46:47], v[42:43]
	s_waitcnt lgkmcnt(1)
	v_mul_f64 v[54:55], v[24:25], v[20:21]
	v_mul_f64 v[20:21], v[22:23], v[20:21]
	;; [unrolled: 1-line block ×4, first 2 shown]
	ds_read_b128 v[10:13], v35 offset:2160
	ds_read_b128 v[38:41], v34 offset:3584
	;; [unrolled: 1-line block ×3, first 2 shown]
	v_add_f64 v[66:67], v[66:67], v[82:83]
	s_waitcnt lgkmcnt(0)
	v_add_f64 v[56:57], v[56:57], v[60:61]
	v_add_f64 v[58:59], v[70:71], v[58:59]
	;; [unrolled: 1-line block ×4, first 2 shown]
	s_barrier
	v_add_f64 v[64:65], v[88:89], v[64:65]
	v_fma_f64 v[60:61], v[14:15], v[18:19], -v[76:77]
	v_fma_f64 v[70:71], v[16:17], v[18:19], v[78:79]
	v_fma_f64 v[14:15], v[14:15], v[36:37], -v[80:81]
	v_fma_f64 v[16:17], v[16:17], v[36:37], v[86:87]
	buffer_gl0_inv
	v_add_f64 v[48:49], v[52:53], v[48:49]
	v_add_f64 v[46:47], v[50:51], v[46:47]
	v_fma_f64 v[50:51], v[22:23], v[18:19], -v[54:55]
	v_fma_f64 v[18:19], v[24:25], v[18:19], v[20:21]
	v_fma_f64 v[20:21], v[22:23], v[36:37], -v[84:85]
	v_fma_f64 v[22:23], v[24:25], v[36:37], v[90:91]
	v_mul_f64 v[24:25], v[6:7], v[40:41]
	v_mul_f64 v[36:37], v[4:5], v[40:41]
	;; [unrolled: 1-line block ×8, first 2 shown]
	v_add_f64 v[56:57], v[56:57], v[60:61]
	v_add_f64 v[58:59], v[70:71], v[58:59]
	;; [unrolled: 1-line block ×8, first 2 shown]
	v_fma_f64 v[18:19], v[4:5], v[38:39], -v[24:25]
	v_fma_f64 v[20:21], v[6:7], v[38:39], v[36:37]
	v_fma_f64 v[4:5], v[4:5], v[42:43], -v[52:53]
	v_fma_f64 v[6:7], v[6:7], v[42:43], v[54:55]
	;; [unrolled: 2-line block ×4, first 2 shown]
	v_add_f64 v[22:23], v[56:57], v[18:19]
	v_add_f64 v[24:25], v[20:21], v[58:59]
	v_add_f64 v[18:19], v[14:15], v[4:5]
	v_add_f64 v[20:21], v[6:7], v[16:17]
	v_add_f64 v[14:15], v[50:51], v[36:37]
	v_add_f64 v[16:17], v[38:39], v[60:61]
	v_add_f64 v[12:13], v[48:49], v[10:11]
	v_add_f64 v[10:11], v[40:41], v[46:47]
	s_cbranch_vccz .LBB263_15
.LBB263_7:                              ; =>This Inner Loop Header: Depth=1
	s_mov_b32 s14, s7
	s_mov_b32 s10, 0
	s_and_saveexec_b32 s11, s0
	s_cbranch_execnz .LBB263_13
; %bb.8:                                ;   in Loop: Header=BB263_7 Depth=1
	s_or_b32 exec_lo, exec_lo, s11
	s_and_saveexec_b32 s11, s14
	s_xor_b32 s11, exec_lo, s11
	s_cbranch_execnz .LBB263_14
.LBB263_9:                              ;   in Loop: Header=BB263_7 Depth=1
	s_or_b32 exec_lo, exec_lo, s11
	s_and_saveexec_b32 s11, s10
	s_cbranch_execz .LBB263_11
.LBB263_10:                             ;   in Loop: Header=BB263_7 Depth=1
	v_mul_lo_u32 v2, s19, v8
	v_mul_lo_u32 v6, s18, v9
	v_mad_u64_u32 v[4:5], null, s18, v8, 0
	v_add3_u32 v5, v5, v6, v2
	v_lshlrev_b64 v[4:5], 4, v[4:5]
	v_add_co_u32 v4, vcc_lo, v29, v4
	v_add_co_ci_u32_e64 v5, null, v30, v5, vcc_lo
	global_load_dwordx4 v[4:7], v[4:5], off
	s_waitcnt vmcnt(0)
	ds_write2_b64 v28, v[4:5], v[6:7] offset1:1
.LBB263_11:                             ;   in Loop: Header=BB263_7 Depth=1
	s_or_b32 exec_lo, exec_lo, s11
	v_add_nc_u32_e32 v2, s2, v26
	v_mov_b32_e32 v4, 0
	v_mov_b32_e32 v6, 0
	;; [unrolled: 1-line block ×4, first 2 shown]
	v_cmp_gt_u64_e32 vcc_lo, s[12:13], v[2:3]
	s_and_b32 s11, vcc_lo, s1
	s_and_saveexec_b32 s10, s11
	s_cbranch_execz .LBB263_6
; %bb.12:                               ;   in Loop: Header=BB263_7 Depth=1
	v_mad_u64_u32 v[4:5], null, s24, v2, 0
	v_mad_u64_u32 v[5:6], null, s25, v2, v[5:6]
	v_lshlrev_b64 v[4:5], 4, v[4:5]
	v_add_co_u32 v4, vcc_lo, v32, v4
	v_add_co_ci_u32_e64 v5, null, v33, v5, vcc_lo
	global_load_dwordx4 v[4:7], v[4:5], off
	s_waitcnt vmcnt(0)
	v_xor_b32_e32 v7, 0x80000000, v7
	s_branch .LBB263_6
.LBB263_13:                             ;   in Loop: Header=BB263_7 Depth=1
	v_add_nc_u32_e32 v2, s2, v27
	v_mov_b32_e32 v9, v3
	s_andn2_b32 s14, s7, exec_lo
	s_mov_b32 s10, exec_lo
	v_cmp_le_u64_e32 vcc_lo, s[12:13], v[2:3]
	v_mov_b32_e32 v8, v2
	s_and_b32 s15, vcc_lo, exec_lo
	s_or_b32 s14, s14, s15
	s_or_b32 exec_lo, exec_lo, s11
	s_and_saveexec_b32 s11, s14
	s_xor_b32 s11, exec_lo, s11
	s_cbranch_execz .LBB263_9
.LBB263_14:                             ;   in Loop: Header=BB263_7 Depth=1
	v_mov_b32_e32 v2, v3
	v_mov_b32_e32 v4, v3
	;; [unrolled: 1-line block ×3, first 2 shown]
	s_andn2_b32 s10, s10, exec_lo
	ds_write_b128 v28, v[2:5]
	s_or_b32 exec_lo, exec_lo, s11
	s_and_saveexec_b32 s11, s10
	s_cbranch_execnz .LBB263_10
	s_branch .LBB263_11
.LBB263_15:
	v_add_nc_u32_e32 v27, s6, v1
	v_cmp_neq_f64_e64 s2, s[28:29], 0
	s_mul_i32 s1, s43, s8
	s_mul_hi_u32 s3, s42, s8
	s_mul_i32 s0, s42, s8
	v_ashrrev_i32_e32 v3, 31, v27
	v_mul_lo_u32 v5, s41, v27
	v_mad_u64_u32 v[1:2], null, s40, v27, 0
	s_add_i32 s1, s3, s1
	v_mul_lo_u32 v3, s40, v3
	v_add_nc_u32_e32 v4, s5, v0
	s_lshl_b64 s[6:7], s[0:1], 4
	s_add_u32 s3, s38, s6
	s_addc_u32 s5, s39, s7
	s_xor_b32 s6, s9, -1
	v_cmp_le_i32_e32 vcc_lo, v27, v4
	v_add3_u32 v2, v2, v3, v5
	s_waitcnt lgkmcnt(0)
	v_cmp_gt_i32_e64 s0, s4, v4
	v_ashrrev_i32_e32 v5, 31, v4
	s_or_b32 s2, s2, s6
	v_lshlrev_b64 v[0:1], 4, v[1:2]
	v_cndmask_b32_e64 v26, 0, 1, s2
	s_and_b32 s6, vcc_lo, s0
	v_add_co_u32 v8, s1, s3, v0
	v_add_co_ci_u32_e64 v9, null, s5, v1, s1
	s_and_saveexec_b32 s1, s6
	s_cbranch_execz .LBB263_19
; %bb.16:
	v_mul_f64 v[0:1], s[46:47], v[24:25]
	v_mul_f64 v[2:3], s[44:45], v[24:25]
	v_lshlrev_b64 v[6:7], 4, v[4:5]
	v_add_co_u32 v6, vcc_lo, v8, v6
	v_add_co_ci_u32_e64 v7, null, v9, v7, vcc_lo
	s_andn2_b32 vcc_lo, exec_lo, s2
	v_fma_f64 v[0:1], s[44:45], v[22:23], -v[0:1]
	v_fma_f64 v[2:3], s[46:47], v[22:23], v[2:3]
	s_cbranch_vccnz .LBB263_18
; %bb.17:
	global_load_dwordx4 v[22:25], v[6:7], off
	s_waitcnt vmcnt(0)
	v_mul_f64 v[28:29], s[30:31], v[24:25]
	v_mul_f64 v[24:25], s[28:29], v[24:25]
	v_fma_f64 v[28:29], s[28:29], v[22:23], -v[28:29]
	v_fma_f64 v[22:23], s[30:31], v[22:23], v[24:25]
	v_add_f64 v[0:1], v[0:1], v[28:29]
	v_add_f64 v[2:3], v[2:3], v[22:23]
.LBB263_18:
	global_store_dwordx4 v[6:7], v[0:3], off
.LBB263_19:
	s_or_b32 exec_lo, exec_lo, s1
	v_add_nc_u32_e32 v6, 16, v4
	v_cmp_le_i32_e32 vcc_lo, v27, v6
	v_cmp_gt_i32_e64 s1, s4, v6
	v_ashrrev_i32_e32 v7, 31, v6
	s_and_b32 s2, vcc_lo, s1
	s_and_saveexec_b32 s4, s2
	s_cbranch_execz .LBB263_23
; %bb.20:
	v_mul_f64 v[0:1], s[46:47], v[20:21]
	v_mul_f64 v[2:3], s[44:45], v[20:21]
	v_cmp_ne_u32_e32 vcc_lo, 1, v26
	s_and_b32 vcc_lo, exec_lo, vcc_lo
	v_fma_f64 v[0:1], s[44:45], v[18:19], -v[0:1]
	v_fma_f64 v[2:3], s[46:47], v[18:19], v[2:3]
	v_lshlrev_b64 v[18:19], 4, v[6:7]
	v_add_co_u32 v8, s2, v8, v18
	v_add_co_ci_u32_e64 v9, null, v9, v19, s2
	s_cbranch_vccnz .LBB263_22
; %bb.21:
	global_load_dwordx4 v[18:21], v[8:9], off
	s_waitcnt vmcnt(0)
	v_mul_f64 v[22:23], s[30:31], v[20:21]
	v_mul_f64 v[20:21], s[28:29], v[20:21]
	v_fma_f64 v[22:23], s[28:29], v[18:19], -v[22:23]
	v_fma_f64 v[18:19], s[30:31], v[18:19], v[20:21]
	v_add_f64 v[0:1], v[0:1], v[22:23]
	v_add_f64 v[2:3], v[2:3], v[18:19]
.LBB263_22:
	global_store_dwordx4 v[8:9], v[0:3], off
.LBB263_23:
	s_or_b32 exec_lo, exec_lo, s4
	v_add_nc_u32_e32 v18, 16, v27
	v_ashrrev_i32_e32 v2, 31, v18
	v_mul_lo_u32 v3, s41, v18
	v_mad_u64_u32 v[0:1], null, s40, v18, 0
	v_cmp_le_i32_e32 vcc_lo, v18, v4
	v_mul_lo_u32 v2, s40, v2
	s_and_b32 s0, vcc_lo, s0
	v_add3_u32 v1, v1, v2, v3
	v_lshlrev_b64 v[0:1], 4, v[0:1]
	v_add_co_u32 v8, s2, s3, v0
	v_add_co_ci_u32_e64 v9, null, s5, v1, s2
	s_and_saveexec_b32 s2, s0
	s_cbranch_execz .LBB263_27
; %bb.24:
	v_mul_f64 v[0:1], s[46:47], v[16:17]
	v_mul_f64 v[2:3], s[44:45], v[16:17]
	v_lshlrev_b64 v[4:5], 4, v[4:5]
	v_cmp_ne_u32_e32 vcc_lo, 1, v26
	s_and_b32 vcc_lo, exec_lo, vcc_lo
	v_add_co_u32 v4, s0, v8, v4
	v_add_co_ci_u32_e64 v5, null, v9, v5, s0
	v_fma_f64 v[0:1], s[44:45], v[14:15], -v[0:1]
	v_fma_f64 v[2:3], s[46:47], v[14:15], v[2:3]
	s_cbranch_vccnz .LBB263_26
; %bb.25:
	global_load_dwordx4 v[14:17], v[4:5], off
	s_waitcnt vmcnt(0)
	v_mul_f64 v[19:20], s[30:31], v[16:17]
	v_mul_f64 v[16:17], s[28:29], v[16:17]
	v_fma_f64 v[19:20], s[28:29], v[14:15], -v[19:20]
	v_fma_f64 v[14:15], s[30:31], v[14:15], v[16:17]
	v_add_f64 v[0:1], v[0:1], v[19:20]
	v_add_f64 v[2:3], v[2:3], v[14:15]
.LBB263_26:
	global_store_dwordx4 v[4:5], v[0:3], off
.LBB263_27:
	s_or_b32 exec_lo, exec_lo, s2
	v_cmp_le_i32_e32 vcc_lo, v18, v6
	s_and_b32 s0, vcc_lo, s1
	s_and_saveexec_b32 s1, s0
	s_cbranch_execz .LBB263_32
; %bb.28:
	v_mul_f64 v[0:1], s[46:47], v[10:11]
	v_mul_f64 v[2:3], s[44:45], v[10:11]
	v_lshlrev_b64 v[4:5], 4, v[6:7]
	v_cmp_ne_u32_e32 vcc_lo, 1, v26
	s_and_b32 vcc_lo, exec_lo, vcc_lo
	v_add_co_u32 v4, s0, v8, v4
	v_add_co_ci_u32_e64 v5, null, v9, v5, s0
	v_fma_f64 v[0:1], s[44:45], v[12:13], -v[0:1]
	v_fma_f64 v[2:3], s[46:47], v[12:13], v[2:3]
	s_cbranch_vccnz .LBB263_30
; %bb.29:
	global_load_dwordx4 v[6:9], v[4:5], off
	s_waitcnt vmcnt(0)
	v_mul_f64 v[10:11], s[30:31], v[8:9]
	v_mul_f64 v[8:9], s[28:29], v[8:9]
	v_fma_f64 v[10:11], s[28:29], v[6:7], -v[10:11]
	v_fma_f64 v[6:7], s[30:31], v[6:7], v[8:9]
	v_add_f64 v[0:1], v[0:1], v[10:11]
	v_add_f64 v[2:3], v[2:3], v[6:7]
.LBB263_30:
	global_store_dwordx4 v[4:5], v[0:3], off
	s_endpgm
.LBB263_31:
.LBB263_32:
	s_endpgm
	.section	.rodata,"a",@progbits
	.p2align	6, 0x0
	.amdhsa_kernel _ZL29rocblas_internal_gemmt_kernelIlLi16ELi32ELi8ELc78ELc67ELc76ELb0ELb1E19rocblas_complex_numIdEPKS1_S3_PS1_EviT_T9_T10_S5_lS7_S5_lS6_T11_S5_li
		.amdhsa_group_segment_fixed_size 8192
		.amdhsa_private_segment_fixed_size 0
		.amdhsa_kernarg_size 108
		.amdhsa_user_sgpr_count 6
		.amdhsa_user_sgpr_private_segment_buffer 1
		.amdhsa_user_sgpr_dispatch_ptr 0
		.amdhsa_user_sgpr_queue_ptr 0
		.amdhsa_user_sgpr_kernarg_segment_ptr 1
		.amdhsa_user_sgpr_dispatch_id 0
		.amdhsa_user_sgpr_flat_scratch_init 0
		.amdhsa_user_sgpr_private_segment_size 0
		.amdhsa_wavefront_size32 1
		.amdhsa_uses_dynamic_stack 0
		.amdhsa_system_sgpr_private_segment_wavefront_offset 0
		.amdhsa_system_sgpr_workgroup_id_x 1
		.amdhsa_system_sgpr_workgroup_id_y 1
		.amdhsa_system_sgpr_workgroup_id_z 1
		.amdhsa_system_sgpr_workgroup_info 0
		.amdhsa_system_vgpr_workitem_id 1
		.amdhsa_next_free_vgpr 120
		.amdhsa_next_free_sgpr 48
		.amdhsa_reserve_vcc 1
		.amdhsa_reserve_flat_scratch 0
		.amdhsa_float_round_mode_32 0
		.amdhsa_float_round_mode_16_64 0
		.amdhsa_float_denorm_mode_32 3
		.amdhsa_float_denorm_mode_16_64 3
		.amdhsa_dx10_clamp 1
		.amdhsa_ieee_mode 1
		.amdhsa_fp16_overflow 0
		.amdhsa_workgroup_processor_mode 1
		.amdhsa_memory_ordered 1
		.amdhsa_forward_progress 1
		.amdhsa_shared_vgpr_count 0
		.amdhsa_exception_fp_ieee_invalid_op 0
		.amdhsa_exception_fp_denorm_src 0
		.amdhsa_exception_fp_ieee_div_zero 0
		.amdhsa_exception_fp_ieee_overflow 0
		.amdhsa_exception_fp_ieee_underflow 0
		.amdhsa_exception_fp_ieee_inexact 0
		.amdhsa_exception_int_div_zero 0
	.end_amdhsa_kernel
	.section	.text._ZL29rocblas_internal_gemmt_kernelIlLi16ELi32ELi8ELc78ELc67ELc76ELb0ELb1E19rocblas_complex_numIdEPKS1_S3_PS1_EviT_T9_T10_S5_lS7_S5_lS6_T11_S5_li,"axG",@progbits,_ZL29rocblas_internal_gemmt_kernelIlLi16ELi32ELi8ELc78ELc67ELc76ELb0ELb1E19rocblas_complex_numIdEPKS1_S3_PS1_EviT_T9_T10_S5_lS7_S5_lS6_T11_S5_li,comdat
.Lfunc_end263:
	.size	_ZL29rocblas_internal_gemmt_kernelIlLi16ELi32ELi8ELc78ELc67ELc76ELb0ELb1E19rocblas_complex_numIdEPKS1_S3_PS1_EviT_T9_T10_S5_lS7_S5_lS6_T11_S5_li, .Lfunc_end263-_ZL29rocblas_internal_gemmt_kernelIlLi16ELi32ELi8ELc78ELc67ELc76ELb0ELb1E19rocblas_complex_numIdEPKS1_S3_PS1_EviT_T9_T10_S5_lS7_S5_lS6_T11_S5_li
                                        ; -- End function
	.set _ZL29rocblas_internal_gemmt_kernelIlLi16ELi32ELi8ELc78ELc67ELc76ELb0ELb1E19rocblas_complex_numIdEPKS1_S3_PS1_EviT_T9_T10_S5_lS7_S5_lS6_T11_S5_li.num_vgpr, 120
	.set _ZL29rocblas_internal_gemmt_kernelIlLi16ELi32ELi8ELc78ELc67ELc76ELb0ELb1E19rocblas_complex_numIdEPKS1_S3_PS1_EviT_T9_T10_S5_lS7_S5_lS6_T11_S5_li.num_agpr, 0
	.set _ZL29rocblas_internal_gemmt_kernelIlLi16ELi32ELi8ELc78ELc67ELc76ELb0ELb1E19rocblas_complex_numIdEPKS1_S3_PS1_EviT_T9_T10_S5_lS7_S5_lS6_T11_S5_li.numbered_sgpr, 48
	.set _ZL29rocblas_internal_gemmt_kernelIlLi16ELi32ELi8ELc78ELc67ELc76ELb0ELb1E19rocblas_complex_numIdEPKS1_S3_PS1_EviT_T9_T10_S5_lS7_S5_lS6_T11_S5_li.num_named_barrier, 0
	.set _ZL29rocblas_internal_gemmt_kernelIlLi16ELi32ELi8ELc78ELc67ELc76ELb0ELb1E19rocblas_complex_numIdEPKS1_S3_PS1_EviT_T9_T10_S5_lS7_S5_lS6_T11_S5_li.private_seg_size, 0
	.set _ZL29rocblas_internal_gemmt_kernelIlLi16ELi32ELi8ELc78ELc67ELc76ELb0ELb1E19rocblas_complex_numIdEPKS1_S3_PS1_EviT_T9_T10_S5_lS7_S5_lS6_T11_S5_li.uses_vcc, 1
	.set _ZL29rocblas_internal_gemmt_kernelIlLi16ELi32ELi8ELc78ELc67ELc76ELb0ELb1E19rocblas_complex_numIdEPKS1_S3_PS1_EviT_T9_T10_S5_lS7_S5_lS6_T11_S5_li.uses_flat_scratch, 0
	.set _ZL29rocblas_internal_gemmt_kernelIlLi16ELi32ELi8ELc78ELc67ELc76ELb0ELb1E19rocblas_complex_numIdEPKS1_S3_PS1_EviT_T9_T10_S5_lS7_S5_lS6_T11_S5_li.has_dyn_sized_stack, 0
	.set _ZL29rocblas_internal_gemmt_kernelIlLi16ELi32ELi8ELc78ELc67ELc76ELb0ELb1E19rocblas_complex_numIdEPKS1_S3_PS1_EviT_T9_T10_S5_lS7_S5_lS6_T11_S5_li.has_recursion, 0
	.set _ZL29rocblas_internal_gemmt_kernelIlLi16ELi32ELi8ELc78ELc67ELc76ELb0ELb1E19rocblas_complex_numIdEPKS1_S3_PS1_EviT_T9_T10_S5_lS7_S5_lS6_T11_S5_li.has_indirect_call, 0
	.section	.AMDGPU.csdata,"",@progbits
; Kernel info:
; codeLenInByte = 3628
; TotalNumSgprs: 50
; NumVgprs: 120
; ScratchSize: 0
; MemoryBound: 1
; FloatMode: 240
; IeeeMode: 1
; LDSByteSize: 8192 bytes/workgroup (compile time only)
; SGPRBlocks: 0
; VGPRBlocks: 14
; NumSGPRsForWavesPerEU: 50
; NumVGPRsForWavesPerEU: 120
; Occupancy: 8
; WaveLimiterHint : 0
; COMPUTE_PGM_RSRC2:SCRATCH_EN: 0
; COMPUTE_PGM_RSRC2:USER_SGPR: 6
; COMPUTE_PGM_RSRC2:TRAP_HANDLER: 0
; COMPUTE_PGM_RSRC2:TGID_X_EN: 1
; COMPUTE_PGM_RSRC2:TGID_Y_EN: 1
; COMPUTE_PGM_RSRC2:TGID_Z_EN: 1
; COMPUTE_PGM_RSRC2:TIDIG_COMP_CNT: 1
	.section	.text._ZL29rocblas_internal_gemmt_kernelIlLi16ELi32ELi8ELc84ELc78ELc76ELb0ELb0E19rocblas_complex_numIdEPKS1_S3_PS1_EviT_T9_T10_S5_lS7_S5_lS6_T11_S5_li,"axG",@progbits,_ZL29rocblas_internal_gemmt_kernelIlLi16ELi32ELi8ELc84ELc78ELc76ELb0ELb0E19rocblas_complex_numIdEPKS1_S3_PS1_EviT_T9_T10_S5_lS7_S5_lS6_T11_S5_li,comdat
	.globl	_ZL29rocblas_internal_gemmt_kernelIlLi16ELi32ELi8ELc84ELc78ELc76ELb0ELb0E19rocblas_complex_numIdEPKS1_S3_PS1_EviT_T9_T10_S5_lS7_S5_lS6_T11_S5_li ; -- Begin function _ZL29rocblas_internal_gemmt_kernelIlLi16ELi32ELi8ELc84ELc78ELc76ELb0ELb0E19rocblas_complex_numIdEPKS1_S3_PS1_EviT_T9_T10_S5_lS7_S5_lS6_T11_S5_li
	.p2align	8
	.type	_ZL29rocblas_internal_gemmt_kernelIlLi16ELi32ELi8ELc84ELc78ELc76ELb0ELb0E19rocblas_complex_numIdEPKS1_S3_PS1_EviT_T9_T10_S5_lS7_S5_lS6_T11_S5_li,@function
_ZL29rocblas_internal_gemmt_kernelIlLi16ELi32ELi8ELc84ELc78ELc76ELb0ELb0E19rocblas_complex_numIdEPKS1_S3_PS1_EviT_T9_T10_S5_lS7_S5_lS6_T11_S5_li: ; @_ZL29rocblas_internal_gemmt_kernelIlLi16ELi32ELi8ELc84ELc78ELc76ELb0ELb0E19rocblas_complex_numIdEPKS1_S3_PS1_EviT_T9_T10_S5_lS7_S5_lS6_T11_S5_li
; %bb.0:
	s_load_dwordx8 s[36:43], s[4:5], 0x48
	s_waitcnt lgkmcnt(0)
	s_load_dwordx4 s[28:31], s[36:37], 0x0
	s_load_dwordx16 s[12:27], s[4:5], 0x8
	s_waitcnt lgkmcnt(0)
	v_cmp_eq_f64_e64 s0, s[28:29], 1.0
	v_cmp_eq_f64_e64 s9, s[30:31], 0
	s_load_dwordx4 s[44:47], s[14:15], 0x0
	s_and_b32 s0, s0, s9
	s_andn2_b32 vcc_lo, exec_lo, s0
	s_mov_b32 s0, -1
	s_cbranch_vccnz .LBB264_3
; %bb.1:
	s_cmp_lg_u64 s[12:13], 0
	s_cbranch_scc0 .LBB264_33
; %bb.2:
	s_waitcnt lgkmcnt(0)
	v_cmp_neq_f64_e64 s0, s[44:45], 0
	v_cmp_neq_f64_e64 s1, s[46:47], 0
	s_or_b32 s0, s0, s1
.LBB264_3:
	s_and_b32 vcc_lo, exec_lo, s0
	s_cbranch_vccz .LBB264_34
; %bb.4:
	s_waitcnt lgkmcnt(0)
	v_cmp_eq_f64_e64 s0, s[44:45], 0
	v_cmp_eq_f64_e64 s1, s[46:47], 0
	s_load_dword s4, s[4:5], 0x0
	v_cmp_lt_i64_e64 s2, s[12:13], 1
	v_mov_b32_e32 v20, 0
	v_mov_b32_e32 v22, 0
	;; [unrolled: 1-line block ×16, first 2 shown]
	s_lshl_b32 s5, s6, 5
	s_lshl_b32 s6, s7, 5
	s_and_b32 s0, s0, s1
	s_or_b32 s0, s0, s2
	s_and_b32 vcc_lo, exec_lo, s0
	s_cbranch_vccnz .LBB264_17
; %bb.5:
	v_lshl_add_u32 v6, v1, 4, v0
	s_mul_i32 s1, s27, s8
	s_mul_hi_u32 s2, s26, s8
	s_mul_i32 s0, s26, s8
	s_add_i32 s1, s2, s1
	v_lshrrev_b32_e32 v7, 3, v6
	v_and_b32_e32 v8, 31, v6
	s_lshl_b64 s[0:1], s[0:1], 4
	s_mul_hi_u32 s3, s20, s8
	s_add_u32 s2, s22, s0
	v_add_nc_u32_e32 v9, s6, v7
	v_or_b32_e32 v10, s5, v8
	s_mul_i32 s0, s21, s8
	s_addc_u32 s10, s23, s1
	s_add_i32 s1, s3, s0
	v_ashrrev_i32_e32 v4, 31, v9
	s_mul_i32 s0, s20, s8
	v_mul_lo_u32 v11, s19, v10
	v_mad_u64_u32 v[2:3], null, s18, v10, 0
	s_lshl_b64 s[0:1], s[0:1], 4
	v_mul_lo_u32 v12, s24, v4
	v_mul_lo_u32 v13, s25, v9
	v_mad_u64_u32 v[4:5], null, s24, v9, 0
	s_add_u32 s3, s16, s0
	s_addc_u32 s1, s17, s1
	s_ashr_i32 s0, s5, 31
	v_and_b32_e32 v24, 7, v0
	s_mul_i32 s0, s18, s0
	v_lshrrev_b32_e32 v25, 5, v6
	v_add3_u32 v3, v3, s0, v11
	v_add3_u32 v5, v5, v12, v13
	v_lshlrev_b32_e32 v6, 4, v8
	v_lshlrev_b32_e32 v8, 4, v24
	s_waitcnt lgkmcnt(0)
	v_cmp_gt_i32_e64 s0, s4, v10
	v_lshlrev_b64 v[2:3], 4, v[2:3]
	v_lshlrev_b64 v[4:5], 4, v[4:5]
	v_lshl_or_b32 v26, v25, 9, v6
	v_lshl_or_b32 v6, v7, 7, v8
	v_cmp_le_i32_e64 s7, s4, v10
	v_mov_b32_e32 v10, 0
	v_add_co_u32 v27, vcc_lo, s3, v2
	v_add_co_ci_u32_e64 v28, null, s1, v3, vcc_lo
	v_cmp_gt_i32_e32 vcc_lo, s4, v9
	v_add_co_u32 v30, s1, s2, v4
	v_mov_b32_e32 v8, 0
	v_mov_b32_e32 v14, 0
	;; [unrolled: 1-line block ×7, first 2 shown]
	v_add_nc_u32_e32 v29, 0x1000, v6
	v_add_co_ci_u32_e64 v31, null, s10, v5, s1
	v_lshlrev_b32_e32 v32, 4, v0
	v_lshl_add_u32 v33, v1, 7, 0x1000
	v_mov_b32_e32 v9, 0
	v_mov_b32_e32 v11, 0
	;; [unrolled: 1-line block ×9, first 2 shown]
	s_mov_b64 s[2:3], 0
	s_xor_b32 s1, vcc_lo, -1
                                        ; implicit-def: $vgpr6_vgpr7
	s_branch .LBB264_7
.LBB264_6:                              ;   in Loop: Header=BB264_7 Depth=1
	s_or_b32 exec_lo, exec_lo, s10
	s_waitcnt lgkmcnt(0)
	s_barrier
	buffer_gl0_inv
	ds_read_b128 v[34:37], v33
	ds_read_b128 v[38:41], v33 offset:16
	ds_read_b128 v[42:45], v33 offset:32
	;; [unrolled: 1-line block ×3, first 2 shown]
	ds_read_b128 v[50:53], v32
	s_add_u32 s2, s2, 8
	s_addc_u32 s3, s3, 0
	v_cmp_gt_i64_e64 s10, s[12:13], s[2:3]
	s_and_b32 vcc_lo, exec_lo, s10
	s_waitcnt lgkmcnt(0)
	v_mul_f64 v[4:5], v[36:37], v[52:53]
	v_mul_f64 v[54:55], v[34:35], v[52:53]
	v_fma_f64 v[4:5], v[34:35], v[50:51], -v[4:5]
	v_fma_f64 v[54:55], v[36:37], v[50:51], v[54:55]
	v_add_f64 v[4:5], v[20:21], v[4:5]
	v_add_f64 v[54:55], v[54:55], v[22:23]
	ds_read_b128 v[20:23], v32 offset:256
	s_waitcnt lgkmcnt(0)
	v_mul_f64 v[56:57], v[36:37], v[22:23]
	v_fma_f64 v[56:57], v[34:35], v[20:21], -v[56:57]
	v_mul_f64 v[34:35], v[34:35], v[22:23]
	v_fma_f64 v[34:35], v[36:37], v[20:21], v[34:35]
	v_add_f64 v[36:37], v[16:17], v[56:57]
	v_add_f64 v[34:35], v[34:35], v[18:19]
	ds_read_b128 v[16:19], v33 offset:2048
	s_waitcnt lgkmcnt(0)
	v_mul_f64 v[56:57], v[18:19], v[52:53]
	v_mul_f64 v[52:53], v[16:17], v[52:53]
	v_fma_f64 v[56:57], v[16:17], v[50:51], -v[56:57]
	v_fma_f64 v[50:51], v[18:19], v[50:51], v[52:53]
	v_add_f64 v[52:53], v[12:13], v[56:57]
	v_add_f64 v[50:51], v[50:51], v[14:15]
	v_mul_f64 v[12:13], v[18:19], v[22:23]
	v_mul_f64 v[14:15], v[16:17], v[22:23]
	v_fma_f64 v[12:13], v[16:17], v[20:21], -v[12:13]
	v_fma_f64 v[14:15], v[18:19], v[20:21], v[14:15]
	v_add_f64 v[20:21], v[10:11], v[12:13]
	v_add_f64 v[22:23], v[14:15], v[8:9]
	ds_read_b128 v[8:11], v32 offset:512
	s_waitcnt lgkmcnt(0)
	v_mul_f64 v[12:13], v[40:41], v[10:11]
	v_mul_f64 v[14:15], v[38:39], v[10:11]
	v_fma_f64 v[12:13], v[38:39], v[8:9], -v[12:13]
	v_fma_f64 v[14:15], v[40:41], v[8:9], v[14:15]
	v_add_f64 v[4:5], v[4:5], v[12:13]
	v_add_f64 v[54:55], v[14:15], v[54:55]
	ds_read_b128 v[12:15], v32 offset:768
	s_waitcnt lgkmcnt(0)
	;; [unrolled: 8-line block ×3, first 2 shown]
	v_mul_f64 v[38:39], v[18:19], v[10:11]
	v_mul_f64 v[10:11], v[16:17], v[10:11]
	v_fma_f64 v[38:39], v[16:17], v[8:9], -v[38:39]
	v_fma_f64 v[8:9], v[18:19], v[8:9], v[10:11]
	v_mul_f64 v[10:11], v[16:17], v[14:15]
	v_add_f64 v[38:39], v[52:53], v[38:39]
	v_add_f64 v[40:41], v[8:9], v[50:51]
	v_mul_f64 v[8:9], v[18:19], v[14:15]
	v_fma_f64 v[10:11], v[18:19], v[12:13], v[10:11]
	v_fma_f64 v[8:9], v[16:17], v[12:13], -v[8:9]
	v_add_f64 v[22:23], v[10:11], v[22:23]
	v_add_f64 v[20:21], v[20:21], v[8:9]
	ds_read_b128 v[8:11], v32 offset:1024
	s_waitcnt lgkmcnt(0)
	v_mul_f64 v[12:13], v[44:45], v[10:11]
	v_mul_f64 v[14:15], v[42:43], v[10:11]
	v_fma_f64 v[12:13], v[42:43], v[8:9], -v[12:13]
	v_fma_f64 v[14:15], v[44:45], v[8:9], v[14:15]
	v_add_f64 v[4:5], v[4:5], v[12:13]
	v_add_f64 v[50:51], v[14:15], v[54:55]
	ds_read_b128 v[12:15], v32 offset:1280
	s_waitcnt lgkmcnt(0)
	v_mul_f64 v[16:17], v[44:45], v[14:15]
	v_mul_f64 v[18:19], v[42:43], v[14:15]
	v_fma_f64 v[16:17], v[42:43], v[12:13], -v[16:17]
	v_fma_f64 v[18:19], v[44:45], v[12:13], v[18:19]
	;; [unrolled: 8-line block ×3, first 2 shown]
	v_mul_f64 v[10:11], v[16:17], v[14:15]
	v_add_f64 v[38:39], v[38:39], v[42:43]
	v_add_f64 v[40:41], v[8:9], v[40:41]
	v_mul_f64 v[8:9], v[18:19], v[14:15]
	v_fma_f64 v[10:11], v[18:19], v[12:13], v[10:11]
	v_fma_f64 v[8:9], v[16:17], v[12:13], -v[8:9]
	v_add_f64 v[22:23], v[10:11], v[22:23]
	v_add_f64 v[20:21], v[20:21], v[8:9]
	ds_read_b128 v[8:11], v32 offset:1536
	s_waitcnt lgkmcnt(0)
	v_mul_f64 v[12:13], v[48:49], v[10:11]
	v_mul_f64 v[14:15], v[46:47], v[10:11]
	v_fma_f64 v[12:13], v[46:47], v[8:9], -v[12:13]
	v_fma_f64 v[14:15], v[48:49], v[8:9], v[14:15]
	v_add_f64 v[4:5], v[4:5], v[12:13]
	v_add_f64 v[42:43], v[14:15], v[50:51]
	ds_read_b128 v[12:15], v32 offset:1792
	s_waitcnt lgkmcnt(0)
	v_mul_f64 v[16:17], v[48:49], v[14:15]
	v_mul_f64 v[18:19], v[46:47], v[14:15]
	v_fma_f64 v[16:17], v[46:47], v[12:13], -v[16:17]
	v_fma_f64 v[18:19], v[48:49], v[12:13], v[18:19]
	;; [unrolled: 8-line block ×3, first 2 shown]
	v_mul_f64 v[10:11], v[16:17], v[14:15]
	v_add_f64 v[38:39], v[38:39], v[44:45]
	v_add_f64 v[40:41], v[8:9], v[40:41]
	v_mul_f64 v[8:9], v[18:19], v[14:15]
	v_fma_f64 v[10:11], v[18:19], v[12:13], v[10:11]
	v_fma_f64 v[8:9], v[16:17], v[12:13], -v[8:9]
	v_add_f64 v[22:23], v[10:11], v[22:23]
	v_add_f64 v[20:21], v[20:21], v[8:9]
	ds_read_b128 v[8:11], v33 offset:64
	ds_read_b128 v[12:15], v32 offset:2048
	s_waitcnt lgkmcnt(0)
	v_mul_f64 v[16:17], v[10:11], v[14:15]
	v_mul_f64 v[18:19], v[8:9], v[14:15]
	v_fma_f64 v[16:17], v[8:9], v[12:13], -v[16:17]
	v_fma_f64 v[18:19], v[10:11], v[12:13], v[18:19]
	v_add_f64 v[4:5], v[4:5], v[16:17]
	v_add_f64 v[42:43], v[18:19], v[42:43]
	ds_read_b128 v[16:19], v32 offset:2304
	s_waitcnt lgkmcnt(0)
	v_mul_f64 v[44:45], v[10:11], v[18:19]
	v_fma_f64 v[44:45], v[8:9], v[16:17], -v[44:45]
	v_mul_f64 v[8:9], v[8:9], v[18:19]
	v_add_f64 v[36:37], v[36:37], v[44:45]
	v_fma_f64 v[8:9], v[10:11], v[16:17], v[8:9]
	v_add_f64 v[34:35], v[8:9], v[34:35]
	ds_read_b128 v[8:11], v33 offset:2112
	s_waitcnt lgkmcnt(0)
	v_mul_f64 v[44:45], v[10:11], v[14:15]
	v_mul_f64 v[14:15], v[8:9], v[14:15]
	v_fma_f64 v[44:45], v[8:9], v[12:13], -v[44:45]
	v_fma_f64 v[12:13], v[10:11], v[12:13], v[14:15]
	v_add_f64 v[38:39], v[38:39], v[44:45]
	v_add_f64 v[40:41], v[12:13], v[40:41]
	v_mul_f64 v[12:13], v[10:11], v[18:19]
	v_fma_f64 v[12:13], v[8:9], v[16:17], -v[12:13]
	v_mul_f64 v[8:9], v[8:9], v[18:19]
	v_add_f64 v[20:21], v[20:21], v[12:13]
	v_fma_f64 v[8:9], v[10:11], v[16:17], v[8:9]
	v_add_f64 v[22:23], v[8:9], v[22:23]
	ds_read_b128 v[8:11], v33 offset:80
	ds_read_b128 v[12:15], v32 offset:2560
	s_waitcnt lgkmcnt(0)
	v_mul_f64 v[16:17], v[10:11], v[14:15]
	v_mul_f64 v[18:19], v[8:9], v[14:15]
	v_fma_f64 v[16:17], v[8:9], v[12:13], -v[16:17]
	v_fma_f64 v[18:19], v[10:11], v[12:13], v[18:19]
	v_add_f64 v[4:5], v[4:5], v[16:17]
	v_add_f64 v[42:43], v[18:19], v[42:43]
	ds_read_b128 v[16:19], v32 offset:2816
	s_waitcnt lgkmcnt(0)
	v_mul_f64 v[44:45], v[10:11], v[18:19]
	v_fma_f64 v[44:45], v[8:9], v[16:17], -v[44:45]
	v_mul_f64 v[8:9], v[8:9], v[18:19]
	v_add_f64 v[36:37], v[36:37], v[44:45]
	v_fma_f64 v[8:9], v[10:11], v[16:17], v[8:9]
	v_add_f64 v[34:35], v[8:9], v[34:35]
	ds_read_b128 v[8:11], v33 offset:2128
	s_waitcnt lgkmcnt(0)
	v_mul_f64 v[44:45], v[10:11], v[14:15]
	v_mul_f64 v[14:15], v[8:9], v[14:15]
	v_fma_f64 v[44:45], v[8:9], v[12:13], -v[44:45]
	v_fma_f64 v[12:13], v[10:11], v[12:13], v[14:15]
	v_add_f64 v[38:39], v[38:39], v[44:45]
	v_add_f64 v[40:41], v[12:13], v[40:41]
	v_mul_f64 v[12:13], v[10:11], v[18:19]
	v_fma_f64 v[12:13], v[8:9], v[16:17], -v[12:13]
	v_mul_f64 v[8:9], v[8:9], v[18:19]
	v_add_f64 v[20:21], v[20:21], v[12:13]
	v_fma_f64 v[8:9], v[10:11], v[16:17], v[8:9]
	;; [unrolled: 31-line block ×3, first 2 shown]
	v_add_f64 v[50:51], v[8:9], v[22:23]
	ds_read_b128 v[8:11], v33 offset:112
	ds_read_b128 v[12:15], v32 offset:3584
	;; [unrolled: 1-line block ×3, first 2 shown]
	s_waitcnt lgkmcnt(1)
	v_mul_f64 v[16:17], v[10:11], v[14:15]
	v_mul_f64 v[18:19], v[8:9], v[14:15]
	v_fma_f64 v[16:17], v[8:9], v[12:13], -v[16:17]
	v_fma_f64 v[18:19], v[10:11], v[12:13], v[18:19]
	v_add_f64 v[20:21], v[4:5], v[16:17]
	s_waitcnt lgkmcnt(0)
	v_mul_f64 v[4:5], v[10:11], v[36:37]
	v_add_f64 v[22:23], v[18:19], v[42:43]
	v_fma_f64 v[4:5], v[8:9], v[34:35], -v[4:5]
	v_mul_f64 v[8:9], v[8:9], v[36:37]
	v_add_f64 v[16:17], v[44:45], v[4:5]
	v_fma_f64 v[8:9], v[10:11], v[34:35], v[8:9]
	v_add_f64 v[18:19], v[8:9], v[46:47]
	ds_read_b128 v[8:11], v33 offset:2160
	s_waitcnt lgkmcnt(0)
	s_barrier
	buffer_gl0_inv
	v_mul_f64 v[4:5], v[10:11], v[14:15]
	v_mul_f64 v[14:15], v[8:9], v[14:15]
	v_fma_f64 v[4:5], v[8:9], v[12:13], -v[4:5]
	v_fma_f64 v[14:15], v[10:11], v[12:13], v[14:15]
	v_add_f64 v[12:13], v[38:39], v[4:5]
	v_mul_f64 v[4:5], v[10:11], v[36:37]
	v_add_f64 v[14:15], v[14:15], v[40:41]
	v_fma_f64 v[4:5], v[8:9], v[34:35], -v[4:5]
	v_mul_f64 v[8:9], v[8:9], v[36:37]
	v_fma_f64 v[8:9], v[10:11], v[34:35], v[8:9]
	v_add_f64 v[10:11], v[48:49], v[4:5]
	v_add_f64 v[8:9], v[8:9], v[50:51]
	s_cbranch_vccz .LBB264_17
.LBB264_7:                              ; =>This Inner Loop Header: Depth=1
	s_mov_b32 s14, s7
	s_mov_b32 s10, 0
	s_and_saveexec_b32 s11, s0
	s_cbranch_execnz .LBB264_15
; %bb.8:                                ;   in Loop: Header=BB264_7 Depth=1
	s_or_b32 exec_lo, exec_lo, s11
	s_and_saveexec_b32 s11, s14
	s_xor_b32 s11, exec_lo, s11
	s_cbranch_execnz .LBB264_16
.LBB264_9:                              ;   in Loop: Header=BB264_7 Depth=1
	s_or_b32 exec_lo, exec_lo, s11
	s_and_saveexec_b32 s11, s10
	s_cbranch_execz .LBB264_11
.LBB264_10:                             ;   in Loop: Header=BB264_7 Depth=1
	v_lshlrev_b64 v[4:5], 4, v[6:7]
	v_add_co_u32 v4, vcc_lo, v27, v4
	v_add_co_ci_u32_e64 v5, null, v28, v5, vcc_lo
	global_load_dwordx4 v[34:37], v[4:5], off
	s_waitcnt vmcnt(0)
	ds_write2_b64 v26, v[34:35], v[36:37] offset1:1
.LBB264_11:                             ;   in Loop: Header=BB264_7 Depth=1
	s_or_b32 exec_lo, exec_lo, s11
	v_add_nc_u32_e32 v2, s2, v24
	v_cmp_le_u64_e32 vcc_lo, s[12:13], v[2:3]
	s_or_b32 s10, vcc_lo, s1
	s_and_saveexec_b32 s11, s10
	s_xor_b32 s10, exec_lo, s11
	s_cbranch_execz .LBB264_13
; %bb.12:                               ;   in Loop: Header=BB264_7 Depth=1
	v_mov_b32_e32 v2, v3
	v_mov_b32_e32 v4, v3
	;; [unrolled: 1-line block ×3, first 2 shown]
	ds_write_b128 v29, v[2:5]
.LBB264_13:                             ;   in Loop: Header=BB264_7 Depth=1
	s_andn2_saveexec_b32 s10, s10
	s_cbranch_execz .LBB264_6
; %bb.14:                               ;   in Loop: Header=BB264_7 Depth=1
	v_lshlrev_b64 v[4:5], 4, v[2:3]
	v_add_co_u32 v4, vcc_lo, v30, v4
	v_add_co_ci_u32_e64 v5, null, v31, v5, vcc_lo
	global_load_dwordx4 v[34:37], v[4:5], off
	s_waitcnt vmcnt(0)
	ds_write2_b64 v29, v[34:35], v[36:37] offset1:1
	s_branch .LBB264_6
.LBB264_15:                             ;   in Loop: Header=BB264_7 Depth=1
	v_add_nc_u32_e32 v2, s2, v25
	v_mov_b32_e32 v7, v3
	s_andn2_b32 s14, s7, exec_lo
	s_mov_b32 s10, exec_lo
	v_cmp_le_u64_e32 vcc_lo, s[12:13], v[2:3]
	v_mov_b32_e32 v6, v2
	s_and_b32 s15, vcc_lo, exec_lo
	s_or_b32 s14, s14, s15
	s_or_b32 exec_lo, exec_lo, s11
	s_and_saveexec_b32 s11, s14
	s_xor_b32 s11, exec_lo, s11
	s_cbranch_execz .LBB264_9
.LBB264_16:                             ;   in Loop: Header=BB264_7 Depth=1
	v_mov_b32_e32 v2, v3
	v_mov_b32_e32 v4, v3
	;; [unrolled: 1-line block ×3, first 2 shown]
	s_andn2_b32 s10, s10, exec_lo
	ds_write_b128 v26, v[2:5]
	s_or_b32 exec_lo, exec_lo, s11
	s_and_saveexec_b32 s11, s10
	s_cbranch_execnz .LBB264_10
	s_branch .LBB264_11
.LBB264_17:
	v_add_nc_u32_e32 v25, s6, v1
	v_cmp_neq_f64_e64 s2, s[28:29], 0
	s_mul_i32 s1, s43, s8
	s_mul_hi_u32 s3, s42, s8
	s_mul_i32 s0, s42, s8
	v_ashrrev_i32_e32 v3, 31, v25
	v_mul_lo_u32 v5, s41, v25
	v_mad_u64_u32 v[1:2], null, s40, v25, 0
	s_add_i32 s1, s3, s1
	v_mul_lo_u32 v3, s40, v3
	v_add_nc_u32_e32 v4, s5, v0
	s_lshl_b64 s[6:7], s[0:1], 4
	s_add_u32 s3, s38, s6
	s_addc_u32 s5, s39, s7
	s_xor_b32 s6, s9, -1
	v_cmp_le_i32_e32 vcc_lo, v25, v4
	v_add3_u32 v2, v2, v3, v5
	s_waitcnt lgkmcnt(0)
	v_cmp_gt_i32_e64 s0, s4, v4
	v_ashrrev_i32_e32 v5, 31, v4
	s_or_b32 s2, s2, s6
	v_lshlrev_b64 v[0:1], 4, v[1:2]
	v_cndmask_b32_e64 v24, 0, 1, s2
	s_and_b32 s6, vcc_lo, s0
	v_add_co_u32 v26, s1, s3, v0
	v_add_co_ci_u32_e64 v27, null, s5, v1, s1
	s_and_saveexec_b32 s1, s6
	s_cbranch_execz .LBB264_21
; %bb.18:
	v_mul_f64 v[0:1], s[46:47], v[22:23]
	v_mul_f64 v[2:3], s[44:45], v[22:23]
	v_lshlrev_b64 v[6:7], 4, v[4:5]
	v_add_co_u32 v6, vcc_lo, v26, v6
	v_add_co_ci_u32_e64 v7, null, v27, v7, vcc_lo
	s_andn2_b32 vcc_lo, exec_lo, s2
	v_fma_f64 v[0:1], s[44:45], v[20:21], -v[0:1]
	v_fma_f64 v[2:3], s[46:47], v[20:21], v[2:3]
	s_cbranch_vccnz .LBB264_20
; %bb.19:
	global_load_dwordx4 v[20:23], v[6:7], off
	s_waitcnt vmcnt(0)
	v_mul_f64 v[28:29], s[30:31], v[22:23]
	v_mul_f64 v[22:23], s[28:29], v[22:23]
	v_fma_f64 v[28:29], s[28:29], v[20:21], -v[28:29]
	v_fma_f64 v[20:21], s[30:31], v[20:21], v[22:23]
	v_add_f64 v[0:1], v[0:1], v[28:29]
	v_add_f64 v[2:3], v[2:3], v[20:21]
.LBB264_20:
	global_store_dwordx4 v[6:7], v[0:3], off
.LBB264_21:
	s_or_b32 exec_lo, exec_lo, s1
	v_add_nc_u32_e32 v6, 16, v4
	v_cmp_le_i32_e32 vcc_lo, v25, v6
	v_cmp_gt_i32_e64 s1, s4, v6
	v_ashrrev_i32_e32 v7, 31, v6
	s_and_b32 s2, vcc_lo, s1
	s_and_saveexec_b32 s4, s2
	s_cbranch_execz .LBB264_25
; %bb.22:
	v_mul_f64 v[0:1], s[46:47], v[18:19]
	v_mul_f64 v[2:3], s[44:45], v[18:19]
	v_cmp_ne_u32_e32 vcc_lo, 1, v24
	s_and_b32 vcc_lo, exec_lo, vcc_lo
	v_fma_f64 v[0:1], s[44:45], v[16:17], -v[0:1]
	v_fma_f64 v[2:3], s[46:47], v[16:17], v[2:3]
	v_lshlrev_b64 v[16:17], 4, v[6:7]
	v_add_co_u32 v16, s2, v26, v16
	v_add_co_ci_u32_e64 v17, null, v27, v17, s2
	s_cbranch_vccnz .LBB264_24
; %bb.23:
	global_load_dwordx4 v[18:21], v[16:17], off
	s_waitcnt vmcnt(0)
	v_mul_f64 v[22:23], s[30:31], v[20:21]
	v_mul_f64 v[20:21], s[28:29], v[20:21]
	v_fma_f64 v[22:23], s[28:29], v[18:19], -v[22:23]
	v_fma_f64 v[18:19], s[30:31], v[18:19], v[20:21]
	v_add_f64 v[0:1], v[0:1], v[22:23]
	v_add_f64 v[2:3], v[2:3], v[18:19]
.LBB264_24:
	global_store_dwordx4 v[16:17], v[0:3], off
.LBB264_25:
	s_or_b32 exec_lo, exec_lo, s4
	v_add_nc_u32_e32 v18, 16, v25
	v_ashrrev_i32_e32 v2, 31, v18
	v_mul_lo_u32 v3, s41, v18
	v_mad_u64_u32 v[0:1], null, s40, v18, 0
	v_cmp_le_i32_e32 vcc_lo, v18, v4
	v_mul_lo_u32 v2, s40, v2
	s_and_b32 s0, vcc_lo, s0
	v_add3_u32 v1, v1, v2, v3
	v_lshlrev_b64 v[0:1], 4, v[0:1]
	v_add_co_u32 v16, s2, s3, v0
	v_add_co_ci_u32_e64 v17, null, s5, v1, s2
	s_and_saveexec_b32 s2, s0
	s_cbranch_execz .LBB264_29
; %bb.26:
	v_mul_f64 v[0:1], s[46:47], v[14:15]
	v_mul_f64 v[2:3], s[44:45], v[14:15]
	v_lshlrev_b64 v[4:5], 4, v[4:5]
	v_cmp_ne_u32_e32 vcc_lo, 1, v24
	s_and_b32 vcc_lo, exec_lo, vcc_lo
	v_add_co_u32 v4, s0, v16, v4
	v_add_co_ci_u32_e64 v5, null, v17, v5, s0
	v_fma_f64 v[0:1], s[44:45], v[12:13], -v[0:1]
	v_fma_f64 v[2:3], s[46:47], v[12:13], v[2:3]
	s_cbranch_vccnz .LBB264_28
; %bb.27:
	global_load_dwordx4 v[12:15], v[4:5], off
	s_waitcnt vmcnt(0)
	v_mul_f64 v[19:20], s[30:31], v[14:15]
	v_mul_f64 v[14:15], s[28:29], v[14:15]
	v_fma_f64 v[19:20], s[28:29], v[12:13], -v[19:20]
	v_fma_f64 v[12:13], s[30:31], v[12:13], v[14:15]
	v_add_f64 v[0:1], v[0:1], v[19:20]
	v_add_f64 v[2:3], v[2:3], v[12:13]
.LBB264_28:
	global_store_dwordx4 v[4:5], v[0:3], off
.LBB264_29:
	s_or_b32 exec_lo, exec_lo, s2
	v_cmp_le_i32_e32 vcc_lo, v18, v6
	s_and_b32 s0, vcc_lo, s1
	s_and_saveexec_b32 s1, s0
	s_cbranch_execz .LBB264_34
; %bb.30:
	v_mul_f64 v[0:1], s[46:47], v[8:9]
	v_mul_f64 v[2:3], s[44:45], v[8:9]
	v_lshlrev_b64 v[4:5], 4, v[6:7]
	v_cmp_ne_u32_e32 vcc_lo, 1, v24
	s_and_b32 vcc_lo, exec_lo, vcc_lo
	v_add_co_u32 v4, s0, v16, v4
	v_add_co_ci_u32_e64 v5, null, v17, v5, s0
	v_fma_f64 v[0:1], s[44:45], v[10:11], -v[0:1]
	v_fma_f64 v[2:3], s[46:47], v[10:11], v[2:3]
	s_cbranch_vccnz .LBB264_32
; %bb.31:
	global_load_dwordx4 v[6:9], v[4:5], off
	s_waitcnt vmcnt(0)
	v_mul_f64 v[10:11], s[30:31], v[8:9]
	v_mul_f64 v[8:9], s[28:29], v[8:9]
	v_fma_f64 v[10:11], s[28:29], v[6:7], -v[10:11]
	v_fma_f64 v[6:7], s[30:31], v[6:7], v[8:9]
	v_add_f64 v[0:1], v[0:1], v[10:11]
	v_add_f64 v[2:3], v[2:3], v[6:7]
.LBB264_32:
	global_store_dwordx4 v[4:5], v[0:3], off
	s_endpgm
.LBB264_33:
.LBB264_34:
	s_endpgm
	.section	.rodata,"a",@progbits
	.p2align	6, 0x0
	.amdhsa_kernel _ZL29rocblas_internal_gemmt_kernelIlLi16ELi32ELi8ELc84ELc78ELc76ELb0ELb0E19rocblas_complex_numIdEPKS1_S3_PS1_EviT_T9_T10_S5_lS7_S5_lS6_T11_S5_li
		.amdhsa_group_segment_fixed_size 8192
		.amdhsa_private_segment_fixed_size 0
		.amdhsa_kernarg_size 108
		.amdhsa_user_sgpr_count 6
		.amdhsa_user_sgpr_private_segment_buffer 1
		.amdhsa_user_sgpr_dispatch_ptr 0
		.amdhsa_user_sgpr_queue_ptr 0
		.amdhsa_user_sgpr_kernarg_segment_ptr 1
		.amdhsa_user_sgpr_dispatch_id 0
		.amdhsa_user_sgpr_flat_scratch_init 0
		.amdhsa_user_sgpr_private_segment_size 0
		.amdhsa_wavefront_size32 1
		.amdhsa_uses_dynamic_stack 0
		.amdhsa_system_sgpr_private_segment_wavefront_offset 0
		.amdhsa_system_sgpr_workgroup_id_x 1
		.amdhsa_system_sgpr_workgroup_id_y 1
		.amdhsa_system_sgpr_workgroup_id_z 1
		.amdhsa_system_sgpr_workgroup_info 0
		.amdhsa_system_vgpr_workitem_id 1
		.amdhsa_next_free_vgpr 58
		.amdhsa_next_free_sgpr 48
		.amdhsa_reserve_vcc 1
		.amdhsa_reserve_flat_scratch 0
		.amdhsa_float_round_mode_32 0
		.amdhsa_float_round_mode_16_64 0
		.amdhsa_float_denorm_mode_32 3
		.amdhsa_float_denorm_mode_16_64 3
		.amdhsa_dx10_clamp 1
		.amdhsa_ieee_mode 1
		.amdhsa_fp16_overflow 0
		.amdhsa_workgroup_processor_mode 1
		.amdhsa_memory_ordered 1
		.amdhsa_forward_progress 1
		.amdhsa_shared_vgpr_count 0
		.amdhsa_exception_fp_ieee_invalid_op 0
		.amdhsa_exception_fp_denorm_src 0
		.amdhsa_exception_fp_ieee_div_zero 0
		.amdhsa_exception_fp_ieee_overflow 0
		.amdhsa_exception_fp_ieee_underflow 0
		.amdhsa_exception_fp_ieee_inexact 0
		.amdhsa_exception_int_div_zero 0
	.end_amdhsa_kernel
	.section	.text._ZL29rocblas_internal_gemmt_kernelIlLi16ELi32ELi8ELc84ELc78ELc76ELb0ELb0E19rocblas_complex_numIdEPKS1_S3_PS1_EviT_T9_T10_S5_lS7_S5_lS6_T11_S5_li,"axG",@progbits,_ZL29rocblas_internal_gemmt_kernelIlLi16ELi32ELi8ELc84ELc78ELc76ELb0ELb0E19rocblas_complex_numIdEPKS1_S3_PS1_EviT_T9_T10_S5_lS7_S5_lS6_T11_S5_li,comdat
.Lfunc_end264:
	.size	_ZL29rocblas_internal_gemmt_kernelIlLi16ELi32ELi8ELc84ELc78ELc76ELb0ELb0E19rocblas_complex_numIdEPKS1_S3_PS1_EviT_T9_T10_S5_lS7_S5_lS6_T11_S5_li, .Lfunc_end264-_ZL29rocblas_internal_gemmt_kernelIlLi16ELi32ELi8ELc84ELc78ELc76ELb0ELb0E19rocblas_complex_numIdEPKS1_S3_PS1_EviT_T9_T10_S5_lS7_S5_lS6_T11_S5_li
                                        ; -- End function
	.set _ZL29rocblas_internal_gemmt_kernelIlLi16ELi32ELi8ELc84ELc78ELc76ELb0ELb0E19rocblas_complex_numIdEPKS1_S3_PS1_EviT_T9_T10_S5_lS7_S5_lS6_T11_S5_li.num_vgpr, 58
	.set _ZL29rocblas_internal_gemmt_kernelIlLi16ELi32ELi8ELc84ELc78ELc76ELb0ELb0E19rocblas_complex_numIdEPKS1_S3_PS1_EviT_T9_T10_S5_lS7_S5_lS6_T11_S5_li.num_agpr, 0
	.set _ZL29rocblas_internal_gemmt_kernelIlLi16ELi32ELi8ELc84ELc78ELc76ELb0ELb0E19rocblas_complex_numIdEPKS1_S3_PS1_EviT_T9_T10_S5_lS7_S5_lS6_T11_S5_li.numbered_sgpr, 48
	.set _ZL29rocblas_internal_gemmt_kernelIlLi16ELi32ELi8ELc84ELc78ELc76ELb0ELb0E19rocblas_complex_numIdEPKS1_S3_PS1_EviT_T9_T10_S5_lS7_S5_lS6_T11_S5_li.num_named_barrier, 0
	.set _ZL29rocblas_internal_gemmt_kernelIlLi16ELi32ELi8ELc84ELc78ELc76ELb0ELb0E19rocblas_complex_numIdEPKS1_S3_PS1_EviT_T9_T10_S5_lS7_S5_lS6_T11_S5_li.private_seg_size, 0
	.set _ZL29rocblas_internal_gemmt_kernelIlLi16ELi32ELi8ELc84ELc78ELc76ELb0ELb0E19rocblas_complex_numIdEPKS1_S3_PS1_EviT_T9_T10_S5_lS7_S5_lS6_T11_S5_li.uses_vcc, 1
	.set _ZL29rocblas_internal_gemmt_kernelIlLi16ELi32ELi8ELc84ELc78ELc76ELb0ELb0E19rocblas_complex_numIdEPKS1_S3_PS1_EviT_T9_T10_S5_lS7_S5_lS6_T11_S5_li.uses_flat_scratch, 0
	.set _ZL29rocblas_internal_gemmt_kernelIlLi16ELi32ELi8ELc84ELc78ELc76ELb0ELb0E19rocblas_complex_numIdEPKS1_S3_PS1_EviT_T9_T10_S5_lS7_S5_lS6_T11_S5_li.has_dyn_sized_stack, 0
	.set _ZL29rocblas_internal_gemmt_kernelIlLi16ELi32ELi8ELc84ELc78ELc76ELb0ELb0E19rocblas_complex_numIdEPKS1_S3_PS1_EviT_T9_T10_S5_lS7_S5_lS6_T11_S5_li.has_recursion, 0
	.set _ZL29rocblas_internal_gemmt_kernelIlLi16ELi32ELi8ELc84ELc78ELc76ELb0ELb0E19rocblas_complex_numIdEPKS1_S3_PS1_EviT_T9_T10_S5_lS7_S5_lS6_T11_S5_li.has_indirect_call, 0
	.section	.AMDGPU.csdata,"",@progbits
; Kernel info:
; codeLenInByte = 3656
; TotalNumSgprs: 50
; NumVgprs: 58
; ScratchSize: 0
; MemoryBound: 0
; FloatMode: 240
; IeeeMode: 1
; LDSByteSize: 8192 bytes/workgroup (compile time only)
; SGPRBlocks: 0
; VGPRBlocks: 7
; NumSGPRsForWavesPerEU: 50
; NumVGPRsForWavesPerEU: 58
; Occupancy: 16
; WaveLimiterHint : 0
; COMPUTE_PGM_RSRC2:SCRATCH_EN: 0
; COMPUTE_PGM_RSRC2:USER_SGPR: 6
; COMPUTE_PGM_RSRC2:TRAP_HANDLER: 0
; COMPUTE_PGM_RSRC2:TGID_X_EN: 1
; COMPUTE_PGM_RSRC2:TGID_Y_EN: 1
; COMPUTE_PGM_RSRC2:TGID_Z_EN: 1
; COMPUTE_PGM_RSRC2:TIDIG_COMP_CNT: 1
	.section	.text._ZL29rocblas_internal_gemmt_kernelIlLi16ELi32ELi8ELc84ELc84ELc76ELb0ELb0E19rocblas_complex_numIdEPKS1_S3_PS1_EviT_T9_T10_S5_lS7_S5_lS6_T11_S5_li,"axG",@progbits,_ZL29rocblas_internal_gemmt_kernelIlLi16ELi32ELi8ELc84ELc84ELc76ELb0ELb0E19rocblas_complex_numIdEPKS1_S3_PS1_EviT_T9_T10_S5_lS7_S5_lS6_T11_S5_li,comdat
	.globl	_ZL29rocblas_internal_gemmt_kernelIlLi16ELi32ELi8ELc84ELc84ELc76ELb0ELb0E19rocblas_complex_numIdEPKS1_S3_PS1_EviT_T9_T10_S5_lS7_S5_lS6_T11_S5_li ; -- Begin function _ZL29rocblas_internal_gemmt_kernelIlLi16ELi32ELi8ELc84ELc84ELc76ELb0ELb0E19rocblas_complex_numIdEPKS1_S3_PS1_EviT_T9_T10_S5_lS7_S5_lS6_T11_S5_li
	.p2align	8
	.type	_ZL29rocblas_internal_gemmt_kernelIlLi16ELi32ELi8ELc84ELc84ELc76ELb0ELb0E19rocblas_complex_numIdEPKS1_S3_PS1_EviT_T9_T10_S5_lS7_S5_lS6_T11_S5_li,@function
_ZL29rocblas_internal_gemmt_kernelIlLi16ELi32ELi8ELc84ELc84ELc76ELb0ELb0E19rocblas_complex_numIdEPKS1_S3_PS1_EviT_T9_T10_S5_lS7_S5_lS6_T11_S5_li: ; @_ZL29rocblas_internal_gemmt_kernelIlLi16ELi32ELi8ELc84ELc84ELc76ELb0ELb0E19rocblas_complex_numIdEPKS1_S3_PS1_EviT_T9_T10_S5_lS7_S5_lS6_T11_S5_li
; %bb.0:
	s_load_dwordx8 s[36:43], s[4:5], 0x48
	s_waitcnt lgkmcnt(0)
	s_load_dwordx4 s[28:31], s[36:37], 0x0
	s_load_dwordx16 s[12:27], s[4:5], 0x8
	s_waitcnt lgkmcnt(0)
	v_cmp_eq_f64_e64 s0, s[28:29], 1.0
	v_cmp_eq_f64_e64 s9, s[30:31], 0
	s_load_dwordx4 s[44:47], s[14:15], 0x0
	s_and_b32 s0, s0, s9
	s_andn2_b32 vcc_lo, exec_lo, s0
	s_mov_b32 s0, -1
	s_cbranch_vccnz .LBB265_3
; %bb.1:
	s_cmp_lg_u64 s[12:13], 0
	s_cbranch_scc0 .LBB265_33
; %bb.2:
	s_waitcnt lgkmcnt(0)
	v_cmp_neq_f64_e64 s0, s[44:45], 0
	v_cmp_neq_f64_e64 s1, s[46:47], 0
	s_or_b32 s0, s0, s1
.LBB265_3:
	s_and_b32 vcc_lo, exec_lo, s0
	s_cbranch_vccz .LBB265_34
; %bb.4:
	s_waitcnt lgkmcnt(0)
	v_cmp_eq_f64_e64 s0, s[44:45], 0
	v_cmp_eq_f64_e64 s1, s[46:47], 0
	s_load_dword s4, s[4:5], 0x0
	v_cmp_lt_i64_e64 s2, s[12:13], 1
	v_mov_b32_e32 v20, 0
	v_mov_b32_e32 v22, 0
	;; [unrolled: 1-line block ×16, first 2 shown]
	s_lshl_b32 s5, s6, 5
	s_lshl_b32 s6, s7, 5
	s_and_b32 s0, s0, s1
	s_or_b32 s0, s0, s2
	s_and_b32 vcc_lo, exec_lo, s0
	s_cbranch_vccnz .LBB265_17
; %bb.5:
	v_lshl_add_u32 v4, v1, 4, v0
	s_mul_i32 s1, s27, s8
	s_mul_hi_u32 s2, s26, s8
	s_mul_i32 s0, s26, s8
	s_add_i32 s1, s2, s1
	v_and_b32_e32 v5, 31, v4
	s_lshl_b64 s[0:1], s[0:1], 4
	s_mul_i32 s2, s21, s8
	s_mul_hi_u32 s3, s20, s8
	s_add_u32 s10, s22, s0
	v_or_b32_e32 v6, s5, v5
	s_addc_u32 s11, s23, s1
	s_add_i32 s1, s3, s2
	s_mul_i32 s0, s20, s8
	v_lshrrev_b32_e32 v8, 3, v4
	v_mul_lo_u32 v7, s19, v6
	v_mad_u64_u32 v[2:3], null, s18, v6, 0
	s_lshl_b64 s[0:1], s[0:1], 4
	v_lshrrev_b32_e32 v25, 5, v4
	s_add_u32 s2, s16, s0
	s_addc_u32 s1, s17, s1
	s_ashr_i32 s0, s5, 31
	v_add_nc_u32_e32 v4, s6, v8
	s_mul_i32 s0, s18, s0
	v_and_b32_e32 v24, 7, v0
	v_add3_u32 v3, v3, s0, v7
	v_lshlrev_b32_e32 v7, 4, v5
	v_ashrrev_i32_e32 v5, 31, v4
	s_waitcnt lgkmcnt(0)
	v_cmp_gt_i32_e64 s0, s4, v6
	v_lshlrev_b32_e32 v9, 4, v24
	v_lshlrev_b64 v[2:3], 4, v[2:3]
	v_cmp_le_i32_e64 s7, s4, v6
	v_lshlrev_b64 v[5:6], 4, v[4:5]
	v_lshl_or_b32 v26, v25, 9, v7
	v_lshl_or_b32 v7, v8, 7, v9
	v_mov_b32_e32 v8, 0
	v_add_co_u32 v27, vcc_lo, s2, v2
	v_add_co_ci_u32_e64 v28, null, s1, v3, vcc_lo
	v_cmp_gt_i32_e32 vcc_lo, s4, v4
	v_add_co_u32 v30, s1, s10, v5
	v_mov_b32_e32 v10, 0
	v_mov_b32_e32 v14, 0
	;; [unrolled: 1-line block ×7, first 2 shown]
	v_add_nc_u32_e32 v29, 0x1000, v7
	v_add_co_ci_u32_e64 v31, null, s11, v6, s1
	v_lshlrev_b32_e32 v32, 4, v0
	v_lshl_add_u32 v33, v1, 7, 0x1000
	v_mov_b32_e32 v9, 0
	v_mov_b32_e32 v11, 0
	;; [unrolled: 1-line block ×9, first 2 shown]
	s_mov_b64 s[2:3], 0
	s_xor_b32 s1, vcc_lo, -1
                                        ; implicit-def: $vgpr6_vgpr7
	s_branch .LBB265_7
.LBB265_6:                              ;   in Loop: Header=BB265_7 Depth=1
	s_or_b32 exec_lo, exec_lo, s10
	s_waitcnt lgkmcnt(0)
	s_barrier
	buffer_gl0_inv
	ds_read_b128 v[34:37], v33
	ds_read_b128 v[38:41], v33 offset:16
	ds_read_b128 v[42:45], v33 offset:32
	;; [unrolled: 1-line block ×3, first 2 shown]
	ds_read_b128 v[50:53], v32
	s_add_u32 s2, s2, 8
	s_addc_u32 s3, s3, 0
	v_cmp_gt_i64_e64 s10, s[12:13], s[2:3]
	s_and_b32 vcc_lo, exec_lo, s10
	s_waitcnt lgkmcnt(0)
	v_mul_f64 v[4:5], v[36:37], v[52:53]
	v_mul_f64 v[54:55], v[34:35], v[52:53]
	v_fma_f64 v[4:5], v[34:35], v[50:51], -v[4:5]
	v_fma_f64 v[54:55], v[36:37], v[50:51], v[54:55]
	v_add_f64 v[4:5], v[20:21], v[4:5]
	v_add_f64 v[54:55], v[54:55], v[22:23]
	ds_read_b128 v[20:23], v32 offset:256
	s_waitcnt lgkmcnt(0)
	v_mul_f64 v[56:57], v[36:37], v[22:23]
	v_fma_f64 v[56:57], v[34:35], v[20:21], -v[56:57]
	v_mul_f64 v[34:35], v[34:35], v[22:23]
	v_fma_f64 v[34:35], v[36:37], v[20:21], v[34:35]
	v_add_f64 v[36:37], v[16:17], v[56:57]
	v_add_f64 v[34:35], v[34:35], v[18:19]
	ds_read_b128 v[16:19], v33 offset:2048
	s_waitcnt lgkmcnt(0)
	v_mul_f64 v[56:57], v[18:19], v[52:53]
	v_mul_f64 v[52:53], v[16:17], v[52:53]
	v_fma_f64 v[56:57], v[16:17], v[50:51], -v[56:57]
	v_fma_f64 v[50:51], v[18:19], v[50:51], v[52:53]
	v_add_f64 v[52:53], v[12:13], v[56:57]
	v_add_f64 v[50:51], v[50:51], v[14:15]
	v_mul_f64 v[12:13], v[18:19], v[22:23]
	v_mul_f64 v[14:15], v[16:17], v[22:23]
	v_fma_f64 v[12:13], v[16:17], v[20:21], -v[12:13]
	v_fma_f64 v[14:15], v[18:19], v[20:21], v[14:15]
	v_add_f64 v[20:21], v[10:11], v[12:13]
	v_add_f64 v[22:23], v[14:15], v[8:9]
	ds_read_b128 v[8:11], v32 offset:512
	s_waitcnt lgkmcnt(0)
	v_mul_f64 v[12:13], v[40:41], v[10:11]
	v_mul_f64 v[14:15], v[38:39], v[10:11]
	v_fma_f64 v[12:13], v[38:39], v[8:9], -v[12:13]
	v_fma_f64 v[14:15], v[40:41], v[8:9], v[14:15]
	v_add_f64 v[4:5], v[4:5], v[12:13]
	v_add_f64 v[54:55], v[14:15], v[54:55]
	ds_read_b128 v[12:15], v32 offset:768
	s_waitcnt lgkmcnt(0)
	;; [unrolled: 8-line block ×3, first 2 shown]
	v_mul_f64 v[38:39], v[18:19], v[10:11]
	v_mul_f64 v[10:11], v[16:17], v[10:11]
	v_fma_f64 v[38:39], v[16:17], v[8:9], -v[38:39]
	v_fma_f64 v[8:9], v[18:19], v[8:9], v[10:11]
	v_mul_f64 v[10:11], v[16:17], v[14:15]
	v_add_f64 v[38:39], v[52:53], v[38:39]
	v_add_f64 v[40:41], v[8:9], v[50:51]
	v_mul_f64 v[8:9], v[18:19], v[14:15]
	v_fma_f64 v[10:11], v[18:19], v[12:13], v[10:11]
	v_fma_f64 v[8:9], v[16:17], v[12:13], -v[8:9]
	v_add_f64 v[22:23], v[10:11], v[22:23]
	v_add_f64 v[20:21], v[20:21], v[8:9]
	ds_read_b128 v[8:11], v32 offset:1024
	s_waitcnt lgkmcnt(0)
	v_mul_f64 v[12:13], v[44:45], v[10:11]
	v_mul_f64 v[14:15], v[42:43], v[10:11]
	v_fma_f64 v[12:13], v[42:43], v[8:9], -v[12:13]
	v_fma_f64 v[14:15], v[44:45], v[8:9], v[14:15]
	v_add_f64 v[4:5], v[4:5], v[12:13]
	v_add_f64 v[50:51], v[14:15], v[54:55]
	ds_read_b128 v[12:15], v32 offset:1280
	s_waitcnt lgkmcnt(0)
	v_mul_f64 v[16:17], v[44:45], v[14:15]
	v_mul_f64 v[18:19], v[42:43], v[14:15]
	v_fma_f64 v[16:17], v[42:43], v[12:13], -v[16:17]
	v_fma_f64 v[18:19], v[44:45], v[12:13], v[18:19]
	;; [unrolled: 8-line block ×3, first 2 shown]
	v_mul_f64 v[10:11], v[16:17], v[14:15]
	v_add_f64 v[38:39], v[38:39], v[42:43]
	v_add_f64 v[40:41], v[8:9], v[40:41]
	v_mul_f64 v[8:9], v[18:19], v[14:15]
	v_fma_f64 v[10:11], v[18:19], v[12:13], v[10:11]
	v_fma_f64 v[8:9], v[16:17], v[12:13], -v[8:9]
	v_add_f64 v[22:23], v[10:11], v[22:23]
	v_add_f64 v[20:21], v[20:21], v[8:9]
	ds_read_b128 v[8:11], v32 offset:1536
	s_waitcnt lgkmcnt(0)
	v_mul_f64 v[12:13], v[48:49], v[10:11]
	v_mul_f64 v[14:15], v[46:47], v[10:11]
	v_fma_f64 v[12:13], v[46:47], v[8:9], -v[12:13]
	v_fma_f64 v[14:15], v[48:49], v[8:9], v[14:15]
	v_add_f64 v[4:5], v[4:5], v[12:13]
	v_add_f64 v[42:43], v[14:15], v[50:51]
	ds_read_b128 v[12:15], v32 offset:1792
	s_waitcnt lgkmcnt(0)
	v_mul_f64 v[16:17], v[48:49], v[14:15]
	v_mul_f64 v[18:19], v[46:47], v[14:15]
	v_fma_f64 v[16:17], v[46:47], v[12:13], -v[16:17]
	v_fma_f64 v[18:19], v[48:49], v[12:13], v[18:19]
	;; [unrolled: 8-line block ×3, first 2 shown]
	v_mul_f64 v[10:11], v[16:17], v[14:15]
	v_add_f64 v[38:39], v[38:39], v[44:45]
	v_add_f64 v[40:41], v[8:9], v[40:41]
	v_mul_f64 v[8:9], v[18:19], v[14:15]
	v_fma_f64 v[10:11], v[18:19], v[12:13], v[10:11]
	v_fma_f64 v[8:9], v[16:17], v[12:13], -v[8:9]
	v_add_f64 v[22:23], v[10:11], v[22:23]
	v_add_f64 v[20:21], v[20:21], v[8:9]
	ds_read_b128 v[8:11], v33 offset:64
	ds_read_b128 v[12:15], v32 offset:2048
	s_waitcnt lgkmcnt(0)
	v_mul_f64 v[16:17], v[10:11], v[14:15]
	v_mul_f64 v[18:19], v[8:9], v[14:15]
	v_fma_f64 v[16:17], v[8:9], v[12:13], -v[16:17]
	v_fma_f64 v[18:19], v[10:11], v[12:13], v[18:19]
	v_add_f64 v[4:5], v[4:5], v[16:17]
	v_add_f64 v[42:43], v[18:19], v[42:43]
	ds_read_b128 v[16:19], v32 offset:2304
	s_waitcnt lgkmcnt(0)
	v_mul_f64 v[44:45], v[10:11], v[18:19]
	v_fma_f64 v[44:45], v[8:9], v[16:17], -v[44:45]
	v_mul_f64 v[8:9], v[8:9], v[18:19]
	v_add_f64 v[36:37], v[36:37], v[44:45]
	v_fma_f64 v[8:9], v[10:11], v[16:17], v[8:9]
	v_add_f64 v[34:35], v[8:9], v[34:35]
	ds_read_b128 v[8:11], v33 offset:2112
	s_waitcnt lgkmcnt(0)
	v_mul_f64 v[44:45], v[10:11], v[14:15]
	v_mul_f64 v[14:15], v[8:9], v[14:15]
	v_fma_f64 v[44:45], v[8:9], v[12:13], -v[44:45]
	v_fma_f64 v[12:13], v[10:11], v[12:13], v[14:15]
	v_add_f64 v[38:39], v[38:39], v[44:45]
	v_add_f64 v[40:41], v[12:13], v[40:41]
	v_mul_f64 v[12:13], v[10:11], v[18:19]
	v_fma_f64 v[12:13], v[8:9], v[16:17], -v[12:13]
	v_mul_f64 v[8:9], v[8:9], v[18:19]
	v_add_f64 v[20:21], v[20:21], v[12:13]
	v_fma_f64 v[8:9], v[10:11], v[16:17], v[8:9]
	v_add_f64 v[22:23], v[8:9], v[22:23]
	ds_read_b128 v[8:11], v33 offset:80
	ds_read_b128 v[12:15], v32 offset:2560
	s_waitcnt lgkmcnt(0)
	v_mul_f64 v[16:17], v[10:11], v[14:15]
	v_mul_f64 v[18:19], v[8:9], v[14:15]
	v_fma_f64 v[16:17], v[8:9], v[12:13], -v[16:17]
	v_fma_f64 v[18:19], v[10:11], v[12:13], v[18:19]
	v_add_f64 v[4:5], v[4:5], v[16:17]
	v_add_f64 v[42:43], v[18:19], v[42:43]
	ds_read_b128 v[16:19], v32 offset:2816
	s_waitcnt lgkmcnt(0)
	v_mul_f64 v[44:45], v[10:11], v[18:19]
	v_fma_f64 v[44:45], v[8:9], v[16:17], -v[44:45]
	v_mul_f64 v[8:9], v[8:9], v[18:19]
	v_add_f64 v[36:37], v[36:37], v[44:45]
	v_fma_f64 v[8:9], v[10:11], v[16:17], v[8:9]
	v_add_f64 v[34:35], v[8:9], v[34:35]
	ds_read_b128 v[8:11], v33 offset:2128
	s_waitcnt lgkmcnt(0)
	v_mul_f64 v[44:45], v[10:11], v[14:15]
	v_mul_f64 v[14:15], v[8:9], v[14:15]
	v_fma_f64 v[44:45], v[8:9], v[12:13], -v[44:45]
	v_fma_f64 v[12:13], v[10:11], v[12:13], v[14:15]
	v_add_f64 v[38:39], v[38:39], v[44:45]
	v_add_f64 v[40:41], v[12:13], v[40:41]
	v_mul_f64 v[12:13], v[10:11], v[18:19]
	v_fma_f64 v[12:13], v[8:9], v[16:17], -v[12:13]
	v_mul_f64 v[8:9], v[8:9], v[18:19]
	v_add_f64 v[20:21], v[20:21], v[12:13]
	v_fma_f64 v[8:9], v[10:11], v[16:17], v[8:9]
	;; [unrolled: 31-line block ×3, first 2 shown]
	v_add_f64 v[50:51], v[8:9], v[22:23]
	ds_read_b128 v[8:11], v33 offset:112
	ds_read_b128 v[12:15], v32 offset:3584
	;; [unrolled: 1-line block ×3, first 2 shown]
	s_waitcnt lgkmcnt(1)
	v_mul_f64 v[16:17], v[10:11], v[14:15]
	v_mul_f64 v[18:19], v[8:9], v[14:15]
	v_fma_f64 v[16:17], v[8:9], v[12:13], -v[16:17]
	v_fma_f64 v[18:19], v[10:11], v[12:13], v[18:19]
	v_add_f64 v[20:21], v[4:5], v[16:17]
	s_waitcnt lgkmcnt(0)
	v_mul_f64 v[4:5], v[10:11], v[36:37]
	v_add_f64 v[22:23], v[18:19], v[42:43]
	v_fma_f64 v[4:5], v[8:9], v[34:35], -v[4:5]
	v_mul_f64 v[8:9], v[8:9], v[36:37]
	v_add_f64 v[16:17], v[44:45], v[4:5]
	v_fma_f64 v[8:9], v[10:11], v[34:35], v[8:9]
	v_add_f64 v[18:19], v[8:9], v[46:47]
	ds_read_b128 v[8:11], v33 offset:2160
	s_waitcnt lgkmcnt(0)
	s_barrier
	buffer_gl0_inv
	v_mul_f64 v[4:5], v[10:11], v[14:15]
	v_mul_f64 v[14:15], v[8:9], v[14:15]
	v_fma_f64 v[4:5], v[8:9], v[12:13], -v[4:5]
	v_fma_f64 v[14:15], v[10:11], v[12:13], v[14:15]
	v_add_f64 v[12:13], v[38:39], v[4:5]
	v_mul_f64 v[4:5], v[10:11], v[36:37]
	v_add_f64 v[14:15], v[14:15], v[40:41]
	v_fma_f64 v[4:5], v[8:9], v[34:35], -v[4:5]
	v_mul_f64 v[8:9], v[8:9], v[36:37]
	v_fma_f64 v[8:9], v[10:11], v[34:35], v[8:9]
	v_add_f64 v[10:11], v[48:49], v[4:5]
	v_add_f64 v[8:9], v[8:9], v[50:51]
	s_cbranch_vccz .LBB265_17
.LBB265_7:                              ; =>This Inner Loop Header: Depth=1
	s_mov_b32 s14, s7
	s_mov_b32 s10, 0
	s_and_saveexec_b32 s11, s0
	s_cbranch_execnz .LBB265_15
; %bb.8:                                ;   in Loop: Header=BB265_7 Depth=1
	s_or_b32 exec_lo, exec_lo, s11
	s_and_saveexec_b32 s11, s14
	s_xor_b32 s11, exec_lo, s11
	s_cbranch_execnz .LBB265_16
.LBB265_9:                              ;   in Loop: Header=BB265_7 Depth=1
	s_or_b32 exec_lo, exec_lo, s11
	s_and_saveexec_b32 s11, s10
	s_cbranch_execz .LBB265_11
.LBB265_10:                             ;   in Loop: Header=BB265_7 Depth=1
	v_lshlrev_b64 v[4:5], 4, v[6:7]
	v_add_co_u32 v4, vcc_lo, v27, v4
	v_add_co_ci_u32_e64 v5, null, v28, v5, vcc_lo
	global_load_dwordx4 v[34:37], v[4:5], off
	s_waitcnt vmcnt(0)
	ds_write2_b64 v26, v[34:35], v[36:37] offset1:1
.LBB265_11:                             ;   in Loop: Header=BB265_7 Depth=1
	s_or_b32 exec_lo, exec_lo, s11
	v_add_nc_u32_e32 v2, s2, v24
	v_cmp_le_u64_e32 vcc_lo, s[12:13], v[2:3]
	s_or_b32 s10, vcc_lo, s1
	s_and_saveexec_b32 s11, s10
	s_xor_b32 s10, exec_lo, s11
	s_cbranch_execz .LBB265_13
; %bb.12:                               ;   in Loop: Header=BB265_7 Depth=1
	v_mov_b32_e32 v2, v3
	v_mov_b32_e32 v4, v3
	v_mov_b32_e32 v5, v3
	ds_write_b128 v29, v[2:5]
.LBB265_13:                             ;   in Loop: Header=BB265_7 Depth=1
	s_andn2_saveexec_b32 s10, s10
	s_cbranch_execz .LBB265_6
; %bb.14:                               ;   in Loop: Header=BB265_7 Depth=1
	v_mad_u64_u32 v[4:5], null, s24, v2, 0
	v_mad_u64_u32 v[34:35], null, s25, v2, v[5:6]
	v_mov_b32_e32 v5, v34
	v_lshlrev_b64 v[4:5], 4, v[4:5]
	v_add_co_u32 v4, vcc_lo, v30, v4
	v_add_co_ci_u32_e64 v5, null, v31, v5, vcc_lo
	global_load_dwordx4 v[34:37], v[4:5], off
	s_waitcnt vmcnt(0)
	ds_write2_b64 v29, v[34:35], v[36:37] offset1:1
	s_branch .LBB265_6
.LBB265_15:                             ;   in Loop: Header=BB265_7 Depth=1
	v_add_nc_u32_e32 v2, s2, v25
	v_mov_b32_e32 v7, v3
	s_andn2_b32 s14, s7, exec_lo
	s_mov_b32 s10, exec_lo
	v_cmp_le_u64_e32 vcc_lo, s[12:13], v[2:3]
	v_mov_b32_e32 v6, v2
	s_and_b32 s15, vcc_lo, exec_lo
	s_or_b32 s14, s14, s15
	s_or_b32 exec_lo, exec_lo, s11
	s_and_saveexec_b32 s11, s14
	s_xor_b32 s11, exec_lo, s11
	s_cbranch_execz .LBB265_9
.LBB265_16:                             ;   in Loop: Header=BB265_7 Depth=1
	v_mov_b32_e32 v2, v3
	v_mov_b32_e32 v4, v3
	;; [unrolled: 1-line block ×3, first 2 shown]
	s_andn2_b32 s10, s10, exec_lo
	ds_write_b128 v26, v[2:5]
	s_or_b32 exec_lo, exec_lo, s11
	s_and_saveexec_b32 s11, s10
	s_cbranch_execnz .LBB265_10
	s_branch .LBB265_11
.LBB265_17:
	v_add_nc_u32_e32 v25, s6, v1
	v_cmp_neq_f64_e64 s2, s[28:29], 0
	s_mul_i32 s1, s43, s8
	s_mul_hi_u32 s3, s42, s8
	s_mul_i32 s0, s42, s8
	v_ashrrev_i32_e32 v3, 31, v25
	v_mul_lo_u32 v5, s41, v25
	v_mad_u64_u32 v[1:2], null, s40, v25, 0
	s_add_i32 s1, s3, s1
	v_mul_lo_u32 v3, s40, v3
	v_add_nc_u32_e32 v4, s5, v0
	s_lshl_b64 s[6:7], s[0:1], 4
	s_add_u32 s3, s38, s6
	s_addc_u32 s5, s39, s7
	s_xor_b32 s6, s9, -1
	v_cmp_le_i32_e32 vcc_lo, v25, v4
	v_add3_u32 v2, v2, v3, v5
	s_waitcnt lgkmcnt(0)
	v_cmp_gt_i32_e64 s0, s4, v4
	v_ashrrev_i32_e32 v5, 31, v4
	s_or_b32 s2, s2, s6
	v_lshlrev_b64 v[0:1], 4, v[1:2]
	v_cndmask_b32_e64 v24, 0, 1, s2
	s_and_b32 s6, vcc_lo, s0
	v_add_co_u32 v26, s1, s3, v0
	v_add_co_ci_u32_e64 v27, null, s5, v1, s1
	s_and_saveexec_b32 s1, s6
	s_cbranch_execz .LBB265_21
; %bb.18:
	v_mul_f64 v[0:1], s[46:47], v[22:23]
	v_mul_f64 v[2:3], s[44:45], v[22:23]
	v_lshlrev_b64 v[6:7], 4, v[4:5]
	v_add_co_u32 v6, vcc_lo, v26, v6
	v_add_co_ci_u32_e64 v7, null, v27, v7, vcc_lo
	s_andn2_b32 vcc_lo, exec_lo, s2
	v_fma_f64 v[0:1], s[44:45], v[20:21], -v[0:1]
	v_fma_f64 v[2:3], s[46:47], v[20:21], v[2:3]
	s_cbranch_vccnz .LBB265_20
; %bb.19:
	global_load_dwordx4 v[20:23], v[6:7], off
	s_waitcnt vmcnt(0)
	v_mul_f64 v[28:29], s[30:31], v[22:23]
	v_mul_f64 v[22:23], s[28:29], v[22:23]
	v_fma_f64 v[28:29], s[28:29], v[20:21], -v[28:29]
	v_fma_f64 v[20:21], s[30:31], v[20:21], v[22:23]
	v_add_f64 v[0:1], v[0:1], v[28:29]
	v_add_f64 v[2:3], v[2:3], v[20:21]
.LBB265_20:
	global_store_dwordx4 v[6:7], v[0:3], off
.LBB265_21:
	s_or_b32 exec_lo, exec_lo, s1
	v_add_nc_u32_e32 v6, 16, v4
	v_cmp_le_i32_e32 vcc_lo, v25, v6
	v_cmp_gt_i32_e64 s1, s4, v6
	v_ashrrev_i32_e32 v7, 31, v6
	s_and_b32 s2, vcc_lo, s1
	s_and_saveexec_b32 s4, s2
	s_cbranch_execz .LBB265_25
; %bb.22:
	v_mul_f64 v[0:1], s[46:47], v[18:19]
	v_mul_f64 v[2:3], s[44:45], v[18:19]
	v_cmp_ne_u32_e32 vcc_lo, 1, v24
	s_and_b32 vcc_lo, exec_lo, vcc_lo
	v_fma_f64 v[0:1], s[44:45], v[16:17], -v[0:1]
	v_fma_f64 v[2:3], s[46:47], v[16:17], v[2:3]
	v_lshlrev_b64 v[16:17], 4, v[6:7]
	v_add_co_u32 v16, s2, v26, v16
	v_add_co_ci_u32_e64 v17, null, v27, v17, s2
	s_cbranch_vccnz .LBB265_24
; %bb.23:
	global_load_dwordx4 v[18:21], v[16:17], off
	s_waitcnt vmcnt(0)
	v_mul_f64 v[22:23], s[30:31], v[20:21]
	v_mul_f64 v[20:21], s[28:29], v[20:21]
	v_fma_f64 v[22:23], s[28:29], v[18:19], -v[22:23]
	v_fma_f64 v[18:19], s[30:31], v[18:19], v[20:21]
	v_add_f64 v[0:1], v[0:1], v[22:23]
	v_add_f64 v[2:3], v[2:3], v[18:19]
.LBB265_24:
	global_store_dwordx4 v[16:17], v[0:3], off
.LBB265_25:
	s_or_b32 exec_lo, exec_lo, s4
	v_add_nc_u32_e32 v18, 16, v25
	v_ashrrev_i32_e32 v2, 31, v18
	v_mul_lo_u32 v3, s41, v18
	v_mad_u64_u32 v[0:1], null, s40, v18, 0
	v_cmp_le_i32_e32 vcc_lo, v18, v4
	v_mul_lo_u32 v2, s40, v2
	s_and_b32 s0, vcc_lo, s0
	v_add3_u32 v1, v1, v2, v3
	v_lshlrev_b64 v[0:1], 4, v[0:1]
	v_add_co_u32 v16, s2, s3, v0
	v_add_co_ci_u32_e64 v17, null, s5, v1, s2
	s_and_saveexec_b32 s2, s0
	s_cbranch_execz .LBB265_29
; %bb.26:
	v_mul_f64 v[0:1], s[46:47], v[14:15]
	v_mul_f64 v[2:3], s[44:45], v[14:15]
	v_lshlrev_b64 v[4:5], 4, v[4:5]
	v_cmp_ne_u32_e32 vcc_lo, 1, v24
	s_and_b32 vcc_lo, exec_lo, vcc_lo
	v_add_co_u32 v4, s0, v16, v4
	v_add_co_ci_u32_e64 v5, null, v17, v5, s0
	v_fma_f64 v[0:1], s[44:45], v[12:13], -v[0:1]
	v_fma_f64 v[2:3], s[46:47], v[12:13], v[2:3]
	s_cbranch_vccnz .LBB265_28
; %bb.27:
	global_load_dwordx4 v[12:15], v[4:5], off
	s_waitcnt vmcnt(0)
	v_mul_f64 v[19:20], s[30:31], v[14:15]
	v_mul_f64 v[14:15], s[28:29], v[14:15]
	v_fma_f64 v[19:20], s[28:29], v[12:13], -v[19:20]
	v_fma_f64 v[12:13], s[30:31], v[12:13], v[14:15]
	v_add_f64 v[0:1], v[0:1], v[19:20]
	v_add_f64 v[2:3], v[2:3], v[12:13]
.LBB265_28:
	global_store_dwordx4 v[4:5], v[0:3], off
.LBB265_29:
	s_or_b32 exec_lo, exec_lo, s2
	v_cmp_le_i32_e32 vcc_lo, v18, v6
	s_and_b32 s0, vcc_lo, s1
	s_and_saveexec_b32 s1, s0
	s_cbranch_execz .LBB265_34
; %bb.30:
	v_mul_f64 v[0:1], s[46:47], v[8:9]
	v_mul_f64 v[2:3], s[44:45], v[8:9]
	v_lshlrev_b64 v[4:5], 4, v[6:7]
	v_cmp_ne_u32_e32 vcc_lo, 1, v24
	s_and_b32 vcc_lo, exec_lo, vcc_lo
	v_add_co_u32 v4, s0, v16, v4
	v_add_co_ci_u32_e64 v5, null, v17, v5, s0
	v_fma_f64 v[0:1], s[44:45], v[10:11], -v[0:1]
	v_fma_f64 v[2:3], s[46:47], v[10:11], v[2:3]
	s_cbranch_vccnz .LBB265_32
; %bb.31:
	global_load_dwordx4 v[6:9], v[4:5], off
	s_waitcnt vmcnt(0)
	v_mul_f64 v[10:11], s[30:31], v[8:9]
	v_mul_f64 v[8:9], s[28:29], v[8:9]
	v_fma_f64 v[10:11], s[28:29], v[6:7], -v[10:11]
	v_fma_f64 v[6:7], s[30:31], v[6:7], v[8:9]
	v_add_f64 v[0:1], v[0:1], v[10:11]
	v_add_f64 v[2:3], v[2:3], v[6:7]
.LBB265_32:
	global_store_dwordx4 v[4:5], v[0:3], off
	s_endpgm
.LBB265_33:
.LBB265_34:
	s_endpgm
	.section	.rodata,"a",@progbits
	.p2align	6, 0x0
	.amdhsa_kernel _ZL29rocblas_internal_gemmt_kernelIlLi16ELi32ELi8ELc84ELc84ELc76ELb0ELb0E19rocblas_complex_numIdEPKS1_S3_PS1_EviT_T9_T10_S5_lS7_S5_lS6_T11_S5_li
		.amdhsa_group_segment_fixed_size 8192
		.amdhsa_private_segment_fixed_size 0
		.amdhsa_kernarg_size 108
		.amdhsa_user_sgpr_count 6
		.amdhsa_user_sgpr_private_segment_buffer 1
		.amdhsa_user_sgpr_dispatch_ptr 0
		.amdhsa_user_sgpr_queue_ptr 0
		.amdhsa_user_sgpr_kernarg_segment_ptr 1
		.amdhsa_user_sgpr_dispatch_id 0
		.amdhsa_user_sgpr_flat_scratch_init 0
		.amdhsa_user_sgpr_private_segment_size 0
		.amdhsa_wavefront_size32 1
		.amdhsa_uses_dynamic_stack 0
		.amdhsa_system_sgpr_private_segment_wavefront_offset 0
		.amdhsa_system_sgpr_workgroup_id_x 1
		.amdhsa_system_sgpr_workgroup_id_y 1
		.amdhsa_system_sgpr_workgroup_id_z 1
		.amdhsa_system_sgpr_workgroup_info 0
		.amdhsa_system_vgpr_workitem_id 1
		.amdhsa_next_free_vgpr 58
		.amdhsa_next_free_sgpr 48
		.amdhsa_reserve_vcc 1
		.amdhsa_reserve_flat_scratch 0
		.amdhsa_float_round_mode_32 0
		.amdhsa_float_round_mode_16_64 0
		.amdhsa_float_denorm_mode_32 3
		.amdhsa_float_denorm_mode_16_64 3
		.amdhsa_dx10_clamp 1
		.amdhsa_ieee_mode 1
		.amdhsa_fp16_overflow 0
		.amdhsa_workgroup_processor_mode 1
		.amdhsa_memory_ordered 1
		.amdhsa_forward_progress 1
		.amdhsa_shared_vgpr_count 0
		.amdhsa_exception_fp_ieee_invalid_op 0
		.amdhsa_exception_fp_denorm_src 0
		.amdhsa_exception_fp_ieee_div_zero 0
		.amdhsa_exception_fp_ieee_overflow 0
		.amdhsa_exception_fp_ieee_underflow 0
		.amdhsa_exception_fp_ieee_inexact 0
		.amdhsa_exception_int_div_zero 0
	.end_amdhsa_kernel
	.section	.text._ZL29rocblas_internal_gemmt_kernelIlLi16ELi32ELi8ELc84ELc84ELc76ELb0ELb0E19rocblas_complex_numIdEPKS1_S3_PS1_EviT_T9_T10_S5_lS7_S5_lS6_T11_S5_li,"axG",@progbits,_ZL29rocblas_internal_gemmt_kernelIlLi16ELi32ELi8ELc84ELc84ELc76ELb0ELb0E19rocblas_complex_numIdEPKS1_S3_PS1_EviT_T9_T10_S5_lS7_S5_lS6_T11_S5_li,comdat
.Lfunc_end265:
	.size	_ZL29rocblas_internal_gemmt_kernelIlLi16ELi32ELi8ELc84ELc84ELc76ELb0ELb0E19rocblas_complex_numIdEPKS1_S3_PS1_EviT_T9_T10_S5_lS7_S5_lS6_T11_S5_li, .Lfunc_end265-_ZL29rocblas_internal_gemmt_kernelIlLi16ELi32ELi8ELc84ELc84ELc76ELb0ELb0E19rocblas_complex_numIdEPKS1_S3_PS1_EviT_T9_T10_S5_lS7_S5_lS6_T11_S5_li
                                        ; -- End function
	.set _ZL29rocblas_internal_gemmt_kernelIlLi16ELi32ELi8ELc84ELc84ELc76ELb0ELb0E19rocblas_complex_numIdEPKS1_S3_PS1_EviT_T9_T10_S5_lS7_S5_lS6_T11_S5_li.num_vgpr, 58
	.set _ZL29rocblas_internal_gemmt_kernelIlLi16ELi32ELi8ELc84ELc84ELc76ELb0ELb0E19rocblas_complex_numIdEPKS1_S3_PS1_EviT_T9_T10_S5_lS7_S5_lS6_T11_S5_li.num_agpr, 0
	.set _ZL29rocblas_internal_gemmt_kernelIlLi16ELi32ELi8ELc84ELc84ELc76ELb0ELb0E19rocblas_complex_numIdEPKS1_S3_PS1_EviT_T9_T10_S5_lS7_S5_lS6_T11_S5_li.numbered_sgpr, 48
	.set _ZL29rocblas_internal_gemmt_kernelIlLi16ELi32ELi8ELc84ELc84ELc76ELb0ELb0E19rocblas_complex_numIdEPKS1_S3_PS1_EviT_T9_T10_S5_lS7_S5_lS6_T11_S5_li.num_named_barrier, 0
	.set _ZL29rocblas_internal_gemmt_kernelIlLi16ELi32ELi8ELc84ELc84ELc76ELb0ELb0E19rocblas_complex_numIdEPKS1_S3_PS1_EviT_T9_T10_S5_lS7_S5_lS6_T11_S5_li.private_seg_size, 0
	.set _ZL29rocblas_internal_gemmt_kernelIlLi16ELi32ELi8ELc84ELc84ELc76ELb0ELb0E19rocblas_complex_numIdEPKS1_S3_PS1_EviT_T9_T10_S5_lS7_S5_lS6_T11_S5_li.uses_vcc, 1
	.set _ZL29rocblas_internal_gemmt_kernelIlLi16ELi32ELi8ELc84ELc84ELc76ELb0ELb0E19rocblas_complex_numIdEPKS1_S3_PS1_EviT_T9_T10_S5_lS7_S5_lS6_T11_S5_li.uses_flat_scratch, 0
	.set _ZL29rocblas_internal_gemmt_kernelIlLi16ELi32ELi8ELc84ELc84ELc76ELb0ELb0E19rocblas_complex_numIdEPKS1_S3_PS1_EviT_T9_T10_S5_lS7_S5_lS6_T11_S5_li.has_dyn_sized_stack, 0
	.set _ZL29rocblas_internal_gemmt_kernelIlLi16ELi32ELi8ELc84ELc84ELc76ELb0ELb0E19rocblas_complex_numIdEPKS1_S3_PS1_EviT_T9_T10_S5_lS7_S5_lS6_T11_S5_li.has_recursion, 0
	.set _ZL29rocblas_internal_gemmt_kernelIlLi16ELi32ELi8ELc84ELc84ELc76ELb0ELb0E19rocblas_complex_numIdEPKS1_S3_PS1_EviT_T9_T10_S5_lS7_S5_lS6_T11_S5_li.has_indirect_call, 0
	.section	.AMDGPU.csdata,"",@progbits
; Kernel info:
; codeLenInByte = 3644
; TotalNumSgprs: 50
; NumVgprs: 58
; ScratchSize: 0
; MemoryBound: 0
; FloatMode: 240
; IeeeMode: 1
; LDSByteSize: 8192 bytes/workgroup (compile time only)
; SGPRBlocks: 0
; VGPRBlocks: 7
; NumSGPRsForWavesPerEU: 50
; NumVGPRsForWavesPerEU: 58
; Occupancy: 16
; WaveLimiterHint : 0
; COMPUTE_PGM_RSRC2:SCRATCH_EN: 0
; COMPUTE_PGM_RSRC2:USER_SGPR: 6
; COMPUTE_PGM_RSRC2:TRAP_HANDLER: 0
; COMPUTE_PGM_RSRC2:TGID_X_EN: 1
; COMPUTE_PGM_RSRC2:TGID_Y_EN: 1
; COMPUTE_PGM_RSRC2:TGID_Z_EN: 1
; COMPUTE_PGM_RSRC2:TIDIG_COMP_CNT: 1
	.section	.text._ZL29rocblas_internal_gemmt_kernelIlLi16ELi32ELi8ELc84ELc67ELc76ELb0ELb1E19rocblas_complex_numIdEPKS1_S3_PS1_EviT_T9_T10_S5_lS7_S5_lS6_T11_S5_li,"axG",@progbits,_ZL29rocblas_internal_gemmt_kernelIlLi16ELi32ELi8ELc84ELc67ELc76ELb0ELb1E19rocblas_complex_numIdEPKS1_S3_PS1_EviT_T9_T10_S5_lS7_S5_lS6_T11_S5_li,comdat
	.globl	_ZL29rocblas_internal_gemmt_kernelIlLi16ELi32ELi8ELc84ELc67ELc76ELb0ELb1E19rocblas_complex_numIdEPKS1_S3_PS1_EviT_T9_T10_S5_lS7_S5_lS6_T11_S5_li ; -- Begin function _ZL29rocblas_internal_gemmt_kernelIlLi16ELi32ELi8ELc84ELc67ELc76ELb0ELb1E19rocblas_complex_numIdEPKS1_S3_PS1_EviT_T9_T10_S5_lS7_S5_lS6_T11_S5_li
	.p2align	8
	.type	_ZL29rocblas_internal_gemmt_kernelIlLi16ELi32ELi8ELc84ELc67ELc76ELb0ELb1E19rocblas_complex_numIdEPKS1_S3_PS1_EviT_T9_T10_S5_lS7_S5_lS6_T11_S5_li,@function
_ZL29rocblas_internal_gemmt_kernelIlLi16ELi32ELi8ELc84ELc67ELc76ELb0ELb1E19rocblas_complex_numIdEPKS1_S3_PS1_EviT_T9_T10_S5_lS7_S5_lS6_T11_S5_li: ; @_ZL29rocblas_internal_gemmt_kernelIlLi16ELi32ELi8ELc84ELc67ELc76ELb0ELb1E19rocblas_complex_numIdEPKS1_S3_PS1_EviT_T9_T10_S5_lS7_S5_lS6_T11_S5_li
; %bb.0:
	s_load_dwordx8 s[36:43], s[4:5], 0x48
	s_waitcnt lgkmcnt(0)
	s_load_dwordx4 s[28:31], s[36:37], 0x0
	s_load_dwordx16 s[12:27], s[4:5], 0x8
	s_waitcnt lgkmcnt(0)
	v_cmp_eq_f64_e64 s0, s[28:29], 1.0
	v_cmp_eq_f64_e64 s9, s[30:31], 0
	s_load_dwordx4 s[44:47], s[14:15], 0x0
	s_and_b32 s0, s0, s9
	s_andn2_b32 vcc_lo, exec_lo, s0
	s_mov_b32 s0, -1
	s_cbranch_vccnz .LBB266_3
; %bb.1:
	s_cmp_lg_u64 s[12:13], 0
	s_cbranch_scc0 .LBB266_31
; %bb.2:
	s_waitcnt lgkmcnt(0)
	v_cmp_neq_f64_e64 s0, s[44:45], 0
	v_cmp_neq_f64_e64 s1, s[46:47], 0
	s_or_b32 s0, s0, s1
.LBB266_3:
	s_and_b32 vcc_lo, exec_lo, s0
	s_cbranch_vccz .LBB266_32
; %bb.4:
	s_waitcnt lgkmcnt(0)
	v_cmp_eq_f64_e64 s0, s[44:45], 0
	v_cmp_eq_f64_e64 s1, s[46:47], 0
	s_load_dword s4, s[4:5], 0x0
	v_cmp_lt_i64_e64 s2, s[12:13], 1
	v_mov_b32_e32 v22, 0
	v_mov_b32_e32 v24, 0
	;; [unrolled: 1-line block ×16, first 2 shown]
	s_lshl_b32 s5, s6, 5
	s_lshl_b32 s6, s7, 5
	s_and_b32 s0, s0, s1
	s_or_b32 s0, s0, s2
	s_and_b32 vcc_lo, exec_lo, s0
	s_cbranch_vccnz .LBB266_15
; %bb.5:
	v_lshl_add_u32 v4, v1, 4, v0
	s_mul_i32 s1, s27, s8
	s_mul_hi_u32 s2, s26, s8
	s_mul_i32 s0, s26, s8
	s_add_i32 s1, s2, s1
	v_and_b32_e32 v5, 31, v4
	s_lshl_b64 s[0:1], s[0:1], 4
	s_mul_i32 s2, s21, s8
	s_mul_hi_u32 s3, s20, s8
	s_add_u32 s10, s22, s0
	v_or_b32_e32 v6, s5, v5
	s_addc_u32 s11, s23, s1
	s_add_i32 s1, s3, s2
	s_mul_i32 s0, s20, s8
	v_lshrrev_b32_e32 v8, 3, v4
	v_mul_lo_u32 v7, s19, v6
	v_mad_u64_u32 v[2:3], null, s18, v6, 0
	s_lshl_b64 s[0:1], s[0:1], 4
	v_lshrrev_b32_e32 v27, 5, v4
	s_add_u32 s2, s16, s0
	s_addc_u32 s1, s17, s1
	s_ashr_i32 s0, s5, 31
	v_add_nc_u32_e32 v4, s6, v8
	s_mul_i32 s0, s18, s0
	v_and_b32_e32 v26, 7, v0
	v_add3_u32 v3, v3, s0, v7
	v_lshlrev_b32_e32 v7, 4, v5
	v_ashrrev_i32_e32 v5, 31, v4
	s_waitcnt lgkmcnt(0)
	v_cmp_gt_i32_e64 s0, s4, v6
	v_lshlrev_b32_e32 v9, 4, v26
	v_lshlrev_b64 v[2:3], 4, v[2:3]
	v_cmp_le_i32_e64 s7, s4, v6
	v_lshlrev_b64 v[5:6], 4, v[4:5]
	v_lshl_or_b32 v28, v27, 9, v7
	v_lshl_or_b32 v7, v8, 7, v9
	v_mov_b32_e32 v10, 0
	v_add_co_u32 v29, vcc_lo, s2, v2
	v_add_co_ci_u32_e64 v30, null, s1, v3, vcc_lo
	v_add_co_u32 v32, vcc_lo, s10, v5
	v_mov_b32_e32 v12, 0
	v_mov_b32_e32 v16, 0
	;; [unrolled: 1-line block ×7, first 2 shown]
	v_cmp_gt_i32_e64 s1, s4, v4
	v_add_nc_u32_e32 v31, 0x1000, v7
	v_add_co_ci_u32_e64 v33, null, s11, v6, vcc_lo
	v_lshlrev_b32_e32 v34, 4, v0
	v_lshl_add_u32 v35, v1, 7, 0x1000
	v_mov_b32_e32 v11, 0
	v_mov_b32_e32 v13, 0
	;; [unrolled: 1-line block ×9, first 2 shown]
	s_mov_b64 s[2:3], 0
                                        ; implicit-def: $vgpr8_vgpr9
	s_branch .LBB266_7
.LBB266_6:                              ;   in Loop: Header=BB266_7 Depth=1
	s_or_b32 exec_lo, exec_lo, s10
	ds_write_b128 v31, v[4:7]
	s_waitcnt lgkmcnt(0)
	s_barrier
	buffer_gl0_inv
	ds_read_b128 v[4:7], v35
	ds_read_b128 v[36:39], v34
	ds_read_b128 v[40:43], v34 offset:256
	ds_read_b128 v[44:47], v35 offset:2048
	;; [unrolled: 1-line block ×11, first 2 shown]
	s_add_u32 s2, s2, 8
	s_addc_u32 s3, s3, 0
	v_cmp_gt_i64_e64 s10, s[12:13], s[2:3]
	s_waitcnt lgkmcnt(11)
	v_mul_f64 v[84:85], v[6:7], v[38:39]
	v_mul_f64 v[86:87], v[4:5], v[38:39]
	s_waitcnt lgkmcnt(10)
	v_mul_f64 v[88:89], v[6:7], v[42:43]
	v_mul_f64 v[90:91], v[4:5], v[42:43]
	;; [unrolled: 3-line block ×3, first 2 shown]
	v_mul_f64 v[94:95], v[46:47], v[42:43]
	v_mul_f64 v[42:43], v[44:45], v[42:43]
	s_waitcnt lgkmcnt(7)
	v_mul_f64 v[96:97], v[50:51], v[54:55]
	v_mul_f64 v[98:99], v[48:49], v[54:55]
	s_waitcnt lgkmcnt(6)
	v_mul_f64 v[100:101], v[50:51], v[58:59]
	s_waitcnt lgkmcnt(5)
	v_mul_f64 v[104:105], v[62:63], v[54:55]
	v_mul_f64 v[54:55], v[60:61], v[54:55]
	;; [unrolled: 1-line block ×5, first 2 shown]
	s_waitcnt lgkmcnt(3)
	v_mul_f64 v[108:109], v[70:71], v[66:67]
	v_mul_f64 v[110:111], v[68:69], v[66:67]
	s_and_b32 vcc_lo, exec_lo, s10
	v_fma_f64 v[84:85], v[4:5], v[36:37], -v[84:85]
	v_fma_f64 v[86:87], v[6:7], v[36:37], v[86:87]
	v_fma_f64 v[88:89], v[4:5], v[40:41], -v[88:89]
	v_fma_f64 v[90:91], v[6:7], v[40:41], v[90:91]
	;; [unrolled: 2-line block ×3, first 2 shown]
	v_fma_f64 v[94:95], v[44:45], v[40:41], -v[94:95]
	ds_read_b128 v[4:7], v34 offset:1536
	s_waitcnt lgkmcnt(3)
	v_mul_f64 v[112:113], v[70:71], v[74:75]
	v_mul_f64 v[114:115], v[68:69], v[74:75]
	v_fma_f64 v[118:119], v[46:47], v[40:41], v[42:43]
	v_fma_f64 v[96:97], v[48:49], v[52:53], -v[96:97]
	v_fma_f64 v[98:99], v[50:51], v[52:53], v[98:99]
	v_fma_f64 v[48:49], v[48:49], v[56:57], -v[100:101]
	s_waitcnt lgkmcnt(2)
	v_mul_f64 v[44:45], v[78:79], v[66:67]
	v_fma_f64 v[100:101], v[60:61], v[52:53], -v[104:105]
	v_fma_f64 v[52:53], v[62:63], v[52:53], v[54:55]
	v_mul_f64 v[46:47], v[76:77], v[66:67]
	v_mul_f64 v[54:55], v[78:79], v[74:75]
	;; [unrolled: 1-line block ×3, first 2 shown]
	v_fma_f64 v[50:51], v[50:51], v[56:57], v[102:103]
	v_fma_f64 v[60:61], v[60:61], v[56:57], -v[106:107]
	v_fma_f64 v[56:57], v[62:63], v[56:57], v[58:59]
	v_fma_f64 v[58:59], v[68:69], v[64:65], -v[108:109]
	v_fma_f64 v[62:63], v[70:71], v[64:65], v[110:111]
	v_add_f64 v[84:85], v[22:23], v[84:85]
	v_add_f64 v[86:87], v[86:87], v[24:25]
	;; [unrolled: 1-line block ×5, first 2 shown]
	v_fma_f64 v[68:69], v[68:69], v[72:73], -v[112:113]
	v_fma_f64 v[70:71], v[70:71], v[72:73], v[114:115]
	v_add_f64 v[106:107], v[116:117], v[16:17]
	ds_read_b128 v[36:39], v34 offset:1792
	ds_read_b128 v[40:43], v35 offset:2096
	s_waitcnt lgkmcnt(2)
	v_mul_f64 v[74:75], v[82:83], v[6:7]
	v_mul_f64 v[102:103], v[80:81], v[6:7]
	v_fma_f64 v[110:111], v[76:77], v[64:65], -v[44:45]
	ds_read_b128 v[14:17], v35 offset:64
	v_fma_f64 v[64:65], v[78:79], v[64:65], v[46:47]
	v_fma_f64 v[76:77], v[76:77], v[72:73], -v[54:55]
	v_fma_f64 v[66:67], v[78:79], v[72:73], v[66:67]
	v_add_f64 v[54:55], v[12:13], v[94:95]
	v_add_f64 v[72:73], v[118:119], v[10:11]
	ds_read_b128 v[18:21], v34 offset:2048
	ds_read_b128 v[22:25], v34 offset:2304
	;; [unrolled: 1-line block ×4, first 2 shown]
	v_add_f64 v[84:85], v[84:85], v[96:97]
	v_add_f64 v[86:87], v[98:99], v[86:87]
	;; [unrolled: 1-line block ×5, first 2 shown]
	s_waitcnt lgkmcnt(6)
	v_mul_f64 v[104:105], v[82:83], v[38:39]
	v_mul_f64 v[108:109], v[80:81], v[38:39]
	s_waitcnt lgkmcnt(5)
	v_mul_f64 v[112:113], v[42:43], v[6:7]
	v_mul_f64 v[6:7], v[40:41], v[6:7]
	v_add_f64 v[52:53], v[52:53], v[106:107]
	v_mul_f64 v[94:95], v[42:43], v[38:39]
	v_mul_f64 v[38:39], v[40:41], v[38:39]
	v_fma_f64 v[74:75], v[80:81], v[4:5], -v[74:75]
	v_fma_f64 v[78:79], v[82:83], v[4:5], v[102:103]
	ds_read_b128 v[48:51], v35 offset:2128
	s_waitcnt lgkmcnt(4)
	v_mul_f64 v[100:101], v[16:17], v[20:21]
	v_mul_f64 v[102:103], v[14:15], v[20:21]
	v_add_f64 v[60:61], v[54:55], v[60:61]
	v_add_f64 v[56:57], v[56:57], v[72:73]
	s_waitcnt lgkmcnt(3)
	v_mul_f64 v[106:107], v[14:15], v[24:25]
	s_waitcnt lgkmcnt(2)
	v_mul_f64 v[72:73], v[46:47], v[20:21]
	v_mul_f64 v[20:21], v[44:45], v[20:21]
	v_add_f64 v[58:59], v[84:85], v[58:59]
	v_add_f64 v[62:63], v[62:63], v[86:87]
	;; [unrolled: 1-line block ×5, first 2 shown]
	v_fma_f64 v[80:81], v[80:81], v[36:37], -v[104:105]
	v_fma_f64 v[82:83], v[82:83], v[36:37], v[108:109]
	v_fma_f64 v[96:97], v[40:41], v[4:5], -v[112:113]
	v_fma_f64 v[98:99], v[42:43], v[4:5], v[6:7]
	v_mul_f64 v[104:105], v[16:17], v[24:25]
	v_add_f64 v[64:65], v[64:65], v[52:53]
	v_mul_f64 v[86:87], v[46:47], v[24:25]
	v_mul_f64 v[24:25], v[44:45], v[24:25]
	v_fma_f64 v[40:41], v[40:41], v[36:37], -v[94:95]
	v_fma_f64 v[42:43], v[42:43], v[36:37], v[38:39]
	ds_read_b128 v[4:7], v35 offset:80
	ds_read_b128 v[52:55], v34 offset:2816
	v_add_f64 v[60:61], v[60:61], v[76:77]
	v_add_f64 v[56:57], v[66:67], v[56:57]
	v_fma_f64 v[90:91], v[14:15], v[18:19], -v[100:101]
	v_fma_f64 v[92:93], v[16:17], v[18:19], v[102:103]
	v_fma_f64 v[100:101], v[16:17], v[22:23], v[106:107]
	v_fma_f64 v[66:67], v[44:45], v[18:19], -v[72:73]
	v_add_f64 v[58:59], v[58:59], v[74:75]
	v_add_f64 v[62:63], v[78:79], v[62:63]
	v_fma_f64 v[72:73], v[46:47], v[18:19], v[20:21]
	v_add_f64 v[68:69], v[68:69], v[80:81]
	v_add_f64 v[70:71], v[82:83], v[70:71]
	;; [unrolled: 1-line block ×3, first 2 shown]
	s_waitcnt lgkmcnt(2)
	v_mul_f64 v[82:83], v[50:51], v[12:13]
	v_fma_f64 v[94:95], v[14:15], v[22:23], -v[104:105]
	v_add_f64 v[64:65], v[98:99], v[64:65]
	v_fma_f64 v[44:45], v[44:45], v[22:23], -v[86:87]
	v_fma_f64 v[46:47], v[46:47], v[22:23], v[24:25]
	s_waitcnt lgkmcnt(1)
	v_mul_f64 v[88:89], v[6:7], v[12:13]
	v_mul_f64 v[76:77], v[4:5], v[12:13]
	s_waitcnt lgkmcnt(0)
	v_mul_f64 v[78:79], v[6:7], v[54:55]
	v_mul_f64 v[80:81], v[4:5], v[54:55]
	;; [unrolled: 1-line block ×5, first 2 shown]
	v_add_f64 v[40:41], v[60:61], v[40:41]
	v_add_f64 v[42:43], v[42:43], v[56:57]
	ds_read_b128 v[14:17], v35 offset:96
	ds_read_b128 v[18:21], v34 offset:3072
	;; [unrolled: 1-line block ×4, first 2 shown]
	v_add_f64 v[56:57], v[58:59], v[90:91]
	v_add_f64 v[58:59], v[92:93], v[62:63]
	;; [unrolled: 1-line block ×3, first 2 shown]
	v_fma_f64 v[82:83], v[48:49], v[10:11], -v[82:83]
	v_add_f64 v[62:63], v[68:69], v[94:95]
	v_add_f64 v[68:69], v[100:101], v[70:71]
	;; [unrolled: 1-line block ×3, first 2 shown]
	v_fma_f64 v[60:61], v[4:5], v[10:11], -v[88:89]
	v_fma_f64 v[70:71], v[6:7], v[10:11], v[76:77]
	v_fma_f64 v[72:73], v[4:5], v[52:53], -v[78:79]
	v_fma_f64 v[74:75], v[6:7], v[52:53], v[80:81]
	ds_read_b128 v[4:7], v35 offset:112
	v_fma_f64 v[88:89], v[50:51], v[10:11], v[12:13]
	s_waitcnt lgkmcnt(3)
	v_mul_f64 v[76:77], v[16:17], v[20:21]
	v_mul_f64 v[78:79], v[14:15], v[20:21]
	s_waitcnt lgkmcnt(2)
	v_mul_f64 v[80:81], v[16:17], v[38:39]
	v_mul_f64 v[86:87], v[14:15], v[38:39]
	v_fma_f64 v[48:49], v[48:49], v[52:53], -v[84:85]
	v_fma_f64 v[50:51], v[50:51], v[52:53], v[54:55]
	v_add_f64 v[52:53], v[40:41], v[44:45]
	v_add_f64 v[46:47], v[46:47], v[42:43]
	s_waitcnt lgkmcnt(1)
	v_mul_f64 v[54:55], v[24:25], v[20:21]
	v_mul_f64 v[20:21], v[22:23], v[20:21]
	;; [unrolled: 1-line block ×4, first 2 shown]
	ds_read_b128 v[10:13], v35 offset:2160
	ds_read_b128 v[38:41], v34 offset:3584
	;; [unrolled: 1-line block ×3, first 2 shown]
	v_add_f64 v[66:67], v[66:67], v[82:83]
	s_waitcnt lgkmcnt(0)
	v_add_f64 v[56:57], v[56:57], v[60:61]
	v_add_f64 v[58:59], v[70:71], v[58:59]
	;; [unrolled: 1-line block ×4, first 2 shown]
	s_barrier
	v_add_f64 v[64:65], v[88:89], v[64:65]
	v_fma_f64 v[60:61], v[14:15], v[18:19], -v[76:77]
	v_fma_f64 v[70:71], v[16:17], v[18:19], v[78:79]
	v_fma_f64 v[14:15], v[14:15], v[36:37], -v[80:81]
	v_fma_f64 v[16:17], v[16:17], v[36:37], v[86:87]
	buffer_gl0_inv
	v_add_f64 v[48:49], v[52:53], v[48:49]
	v_add_f64 v[46:47], v[50:51], v[46:47]
	v_fma_f64 v[50:51], v[22:23], v[18:19], -v[54:55]
	v_fma_f64 v[18:19], v[24:25], v[18:19], v[20:21]
	v_fma_f64 v[20:21], v[22:23], v[36:37], -v[84:85]
	v_fma_f64 v[22:23], v[24:25], v[36:37], v[90:91]
	v_mul_f64 v[24:25], v[6:7], v[40:41]
	v_mul_f64 v[36:37], v[4:5], v[40:41]
	;; [unrolled: 1-line block ×8, first 2 shown]
	v_add_f64 v[56:57], v[56:57], v[60:61]
	v_add_f64 v[58:59], v[70:71], v[58:59]
	;; [unrolled: 1-line block ×8, first 2 shown]
	v_fma_f64 v[18:19], v[4:5], v[38:39], -v[24:25]
	v_fma_f64 v[20:21], v[6:7], v[38:39], v[36:37]
	v_fma_f64 v[4:5], v[4:5], v[42:43], -v[52:53]
	v_fma_f64 v[6:7], v[6:7], v[42:43], v[54:55]
	;; [unrolled: 2-line block ×4, first 2 shown]
	v_add_f64 v[22:23], v[56:57], v[18:19]
	v_add_f64 v[24:25], v[20:21], v[58:59]
	;; [unrolled: 1-line block ×8, first 2 shown]
	s_cbranch_vccz .LBB266_15
.LBB266_7:                              ; =>This Inner Loop Header: Depth=1
	s_mov_b32 s14, s7
	s_mov_b32 s10, 0
	s_and_saveexec_b32 s11, s0
	s_cbranch_execnz .LBB266_13
; %bb.8:                                ;   in Loop: Header=BB266_7 Depth=1
	s_or_b32 exec_lo, exec_lo, s11
	s_and_saveexec_b32 s11, s14
	s_xor_b32 s11, exec_lo, s11
	s_cbranch_execnz .LBB266_14
.LBB266_9:                              ;   in Loop: Header=BB266_7 Depth=1
	s_or_b32 exec_lo, exec_lo, s11
	s_and_saveexec_b32 s11, s10
	s_cbranch_execz .LBB266_11
.LBB266_10:                             ;   in Loop: Header=BB266_7 Depth=1
	v_lshlrev_b64 v[4:5], 4, v[8:9]
	v_add_co_u32 v4, vcc_lo, v29, v4
	v_add_co_ci_u32_e64 v5, null, v30, v5, vcc_lo
	global_load_dwordx4 v[4:7], v[4:5], off
	s_waitcnt vmcnt(0)
	ds_write2_b64 v28, v[4:5], v[6:7] offset1:1
.LBB266_11:                             ;   in Loop: Header=BB266_7 Depth=1
	s_or_b32 exec_lo, exec_lo, s11
	v_add_nc_u32_e32 v2, s2, v26
	v_mov_b32_e32 v4, 0
	v_mov_b32_e32 v6, 0
	;; [unrolled: 1-line block ×4, first 2 shown]
	v_cmp_gt_u64_e32 vcc_lo, s[12:13], v[2:3]
	s_and_b32 s11, vcc_lo, s1
	s_and_saveexec_b32 s10, s11
	s_cbranch_execz .LBB266_6
; %bb.12:                               ;   in Loop: Header=BB266_7 Depth=1
	v_mad_u64_u32 v[4:5], null, s24, v2, 0
	v_mad_u64_u32 v[5:6], null, s25, v2, v[5:6]
	v_lshlrev_b64 v[4:5], 4, v[4:5]
	v_add_co_u32 v4, vcc_lo, v32, v4
	v_add_co_ci_u32_e64 v5, null, v33, v5, vcc_lo
	global_load_dwordx4 v[4:7], v[4:5], off
	s_waitcnt vmcnt(0)
	v_xor_b32_e32 v7, 0x80000000, v7
	s_branch .LBB266_6
.LBB266_13:                             ;   in Loop: Header=BB266_7 Depth=1
	v_add_nc_u32_e32 v2, s2, v27
	v_mov_b32_e32 v9, v3
	s_andn2_b32 s14, s7, exec_lo
	s_mov_b32 s10, exec_lo
	v_cmp_le_u64_e32 vcc_lo, s[12:13], v[2:3]
	v_mov_b32_e32 v8, v2
	s_and_b32 s15, vcc_lo, exec_lo
	s_or_b32 s14, s14, s15
	s_or_b32 exec_lo, exec_lo, s11
	s_and_saveexec_b32 s11, s14
	s_xor_b32 s11, exec_lo, s11
	s_cbranch_execz .LBB266_9
.LBB266_14:                             ;   in Loop: Header=BB266_7 Depth=1
	v_mov_b32_e32 v2, v3
	v_mov_b32_e32 v4, v3
	;; [unrolled: 1-line block ×3, first 2 shown]
	s_andn2_b32 s10, s10, exec_lo
	ds_write_b128 v28, v[2:5]
	s_or_b32 exec_lo, exec_lo, s11
	s_and_saveexec_b32 s11, s10
	s_cbranch_execnz .LBB266_10
	s_branch .LBB266_11
.LBB266_15:
	v_add_nc_u32_e32 v27, s6, v1
	v_cmp_neq_f64_e64 s2, s[28:29], 0
	s_mul_i32 s1, s43, s8
	s_mul_hi_u32 s3, s42, s8
	s_mul_i32 s0, s42, s8
	v_ashrrev_i32_e32 v3, 31, v27
	v_mul_lo_u32 v5, s41, v27
	v_mad_u64_u32 v[1:2], null, s40, v27, 0
	s_add_i32 s1, s3, s1
	v_mul_lo_u32 v3, s40, v3
	v_add_nc_u32_e32 v4, s5, v0
	s_lshl_b64 s[6:7], s[0:1], 4
	s_add_u32 s3, s38, s6
	s_addc_u32 s5, s39, s7
	s_xor_b32 s6, s9, -1
	v_cmp_le_i32_e32 vcc_lo, v27, v4
	v_add3_u32 v2, v2, v3, v5
	s_waitcnt lgkmcnt(0)
	v_cmp_gt_i32_e64 s0, s4, v4
	v_ashrrev_i32_e32 v5, 31, v4
	s_or_b32 s2, s2, s6
	v_lshlrev_b64 v[0:1], 4, v[1:2]
	v_cndmask_b32_e64 v26, 0, 1, s2
	s_and_b32 s6, vcc_lo, s0
	v_add_co_u32 v8, s1, s3, v0
	v_add_co_ci_u32_e64 v9, null, s5, v1, s1
	s_and_saveexec_b32 s1, s6
	s_cbranch_execz .LBB266_19
; %bb.16:
	v_mul_f64 v[0:1], s[46:47], v[24:25]
	v_mul_f64 v[2:3], s[44:45], v[24:25]
	v_lshlrev_b64 v[6:7], 4, v[4:5]
	v_add_co_u32 v6, vcc_lo, v8, v6
	v_add_co_ci_u32_e64 v7, null, v9, v7, vcc_lo
	s_andn2_b32 vcc_lo, exec_lo, s2
	v_fma_f64 v[0:1], s[44:45], v[22:23], -v[0:1]
	v_fma_f64 v[2:3], s[46:47], v[22:23], v[2:3]
	s_cbranch_vccnz .LBB266_18
; %bb.17:
	global_load_dwordx4 v[22:25], v[6:7], off
	s_waitcnt vmcnt(0)
	v_mul_f64 v[28:29], s[30:31], v[24:25]
	v_mul_f64 v[24:25], s[28:29], v[24:25]
	v_fma_f64 v[28:29], s[28:29], v[22:23], -v[28:29]
	v_fma_f64 v[22:23], s[30:31], v[22:23], v[24:25]
	v_add_f64 v[0:1], v[0:1], v[28:29]
	v_add_f64 v[2:3], v[2:3], v[22:23]
.LBB266_18:
	global_store_dwordx4 v[6:7], v[0:3], off
.LBB266_19:
	s_or_b32 exec_lo, exec_lo, s1
	v_add_nc_u32_e32 v6, 16, v4
	v_cmp_le_i32_e32 vcc_lo, v27, v6
	v_cmp_gt_i32_e64 s1, s4, v6
	v_ashrrev_i32_e32 v7, 31, v6
	s_and_b32 s2, vcc_lo, s1
	s_and_saveexec_b32 s4, s2
	s_cbranch_execz .LBB266_23
; %bb.20:
	v_mul_f64 v[0:1], s[46:47], v[20:21]
	v_mul_f64 v[2:3], s[44:45], v[20:21]
	v_cmp_ne_u32_e32 vcc_lo, 1, v26
	s_and_b32 vcc_lo, exec_lo, vcc_lo
	v_fma_f64 v[0:1], s[44:45], v[18:19], -v[0:1]
	v_fma_f64 v[2:3], s[46:47], v[18:19], v[2:3]
	v_lshlrev_b64 v[18:19], 4, v[6:7]
	v_add_co_u32 v8, s2, v8, v18
	v_add_co_ci_u32_e64 v9, null, v9, v19, s2
	s_cbranch_vccnz .LBB266_22
; %bb.21:
	global_load_dwordx4 v[18:21], v[8:9], off
	s_waitcnt vmcnt(0)
	v_mul_f64 v[22:23], s[30:31], v[20:21]
	v_mul_f64 v[20:21], s[28:29], v[20:21]
	v_fma_f64 v[22:23], s[28:29], v[18:19], -v[22:23]
	v_fma_f64 v[18:19], s[30:31], v[18:19], v[20:21]
	v_add_f64 v[0:1], v[0:1], v[22:23]
	v_add_f64 v[2:3], v[2:3], v[18:19]
.LBB266_22:
	global_store_dwordx4 v[8:9], v[0:3], off
.LBB266_23:
	s_or_b32 exec_lo, exec_lo, s4
	v_add_nc_u32_e32 v18, 16, v27
	v_ashrrev_i32_e32 v2, 31, v18
	v_mul_lo_u32 v3, s41, v18
	v_mad_u64_u32 v[0:1], null, s40, v18, 0
	v_cmp_le_i32_e32 vcc_lo, v18, v4
	v_mul_lo_u32 v2, s40, v2
	s_and_b32 s0, vcc_lo, s0
	v_add3_u32 v1, v1, v2, v3
	v_lshlrev_b64 v[0:1], 4, v[0:1]
	v_add_co_u32 v8, s2, s3, v0
	v_add_co_ci_u32_e64 v9, null, s5, v1, s2
	s_and_saveexec_b32 s2, s0
	s_cbranch_execz .LBB266_27
; %bb.24:
	v_mul_f64 v[0:1], s[46:47], v[16:17]
	v_mul_f64 v[2:3], s[44:45], v[16:17]
	v_lshlrev_b64 v[4:5], 4, v[4:5]
	v_cmp_ne_u32_e32 vcc_lo, 1, v26
	s_and_b32 vcc_lo, exec_lo, vcc_lo
	v_add_co_u32 v4, s0, v8, v4
	v_add_co_ci_u32_e64 v5, null, v9, v5, s0
	v_fma_f64 v[0:1], s[44:45], v[14:15], -v[0:1]
	v_fma_f64 v[2:3], s[46:47], v[14:15], v[2:3]
	s_cbranch_vccnz .LBB266_26
; %bb.25:
	global_load_dwordx4 v[14:17], v[4:5], off
	s_waitcnt vmcnt(0)
	v_mul_f64 v[19:20], s[30:31], v[16:17]
	v_mul_f64 v[16:17], s[28:29], v[16:17]
	v_fma_f64 v[19:20], s[28:29], v[14:15], -v[19:20]
	v_fma_f64 v[14:15], s[30:31], v[14:15], v[16:17]
	v_add_f64 v[0:1], v[0:1], v[19:20]
	v_add_f64 v[2:3], v[2:3], v[14:15]
.LBB266_26:
	global_store_dwordx4 v[4:5], v[0:3], off
.LBB266_27:
	s_or_b32 exec_lo, exec_lo, s2
	v_cmp_le_i32_e32 vcc_lo, v18, v6
	s_and_b32 s0, vcc_lo, s1
	s_and_saveexec_b32 s1, s0
	s_cbranch_execz .LBB266_32
; %bb.28:
	v_mul_f64 v[0:1], s[46:47], v[10:11]
	v_mul_f64 v[2:3], s[44:45], v[10:11]
	v_lshlrev_b64 v[4:5], 4, v[6:7]
	v_cmp_ne_u32_e32 vcc_lo, 1, v26
	s_and_b32 vcc_lo, exec_lo, vcc_lo
	v_add_co_u32 v4, s0, v8, v4
	v_add_co_ci_u32_e64 v5, null, v9, v5, s0
	v_fma_f64 v[0:1], s[44:45], v[12:13], -v[0:1]
	v_fma_f64 v[2:3], s[46:47], v[12:13], v[2:3]
	s_cbranch_vccnz .LBB266_30
; %bb.29:
	global_load_dwordx4 v[6:9], v[4:5], off
	s_waitcnt vmcnt(0)
	v_mul_f64 v[10:11], s[30:31], v[8:9]
	v_mul_f64 v[8:9], s[28:29], v[8:9]
	v_fma_f64 v[10:11], s[28:29], v[6:7], -v[10:11]
	v_fma_f64 v[6:7], s[30:31], v[6:7], v[8:9]
	v_add_f64 v[0:1], v[0:1], v[10:11]
	v_add_f64 v[2:3], v[2:3], v[6:7]
.LBB266_30:
	global_store_dwordx4 v[4:5], v[0:3], off
	s_endpgm
.LBB266_31:
.LBB266_32:
	s_endpgm
	.section	.rodata,"a",@progbits
	.p2align	6, 0x0
	.amdhsa_kernel _ZL29rocblas_internal_gemmt_kernelIlLi16ELi32ELi8ELc84ELc67ELc76ELb0ELb1E19rocblas_complex_numIdEPKS1_S3_PS1_EviT_T9_T10_S5_lS7_S5_lS6_T11_S5_li
		.amdhsa_group_segment_fixed_size 8192
		.amdhsa_private_segment_fixed_size 0
		.amdhsa_kernarg_size 108
		.amdhsa_user_sgpr_count 6
		.amdhsa_user_sgpr_private_segment_buffer 1
		.amdhsa_user_sgpr_dispatch_ptr 0
		.amdhsa_user_sgpr_queue_ptr 0
		.amdhsa_user_sgpr_kernarg_segment_ptr 1
		.amdhsa_user_sgpr_dispatch_id 0
		.amdhsa_user_sgpr_flat_scratch_init 0
		.amdhsa_user_sgpr_private_segment_size 0
		.amdhsa_wavefront_size32 1
		.amdhsa_uses_dynamic_stack 0
		.amdhsa_system_sgpr_private_segment_wavefront_offset 0
		.amdhsa_system_sgpr_workgroup_id_x 1
		.amdhsa_system_sgpr_workgroup_id_y 1
		.amdhsa_system_sgpr_workgroup_id_z 1
		.amdhsa_system_sgpr_workgroup_info 0
		.amdhsa_system_vgpr_workitem_id 1
		.amdhsa_next_free_vgpr 120
		.amdhsa_next_free_sgpr 48
		.amdhsa_reserve_vcc 1
		.amdhsa_reserve_flat_scratch 0
		.amdhsa_float_round_mode_32 0
		.amdhsa_float_round_mode_16_64 0
		.amdhsa_float_denorm_mode_32 3
		.amdhsa_float_denorm_mode_16_64 3
		.amdhsa_dx10_clamp 1
		.amdhsa_ieee_mode 1
		.amdhsa_fp16_overflow 0
		.amdhsa_workgroup_processor_mode 1
		.amdhsa_memory_ordered 1
		.amdhsa_forward_progress 1
		.amdhsa_shared_vgpr_count 0
		.amdhsa_exception_fp_ieee_invalid_op 0
		.amdhsa_exception_fp_denorm_src 0
		.amdhsa_exception_fp_ieee_div_zero 0
		.amdhsa_exception_fp_ieee_overflow 0
		.amdhsa_exception_fp_ieee_underflow 0
		.amdhsa_exception_fp_ieee_inexact 0
		.amdhsa_exception_int_div_zero 0
	.end_amdhsa_kernel
	.section	.text._ZL29rocblas_internal_gemmt_kernelIlLi16ELi32ELi8ELc84ELc67ELc76ELb0ELb1E19rocblas_complex_numIdEPKS1_S3_PS1_EviT_T9_T10_S5_lS7_S5_lS6_T11_S5_li,"axG",@progbits,_ZL29rocblas_internal_gemmt_kernelIlLi16ELi32ELi8ELc84ELc67ELc76ELb0ELb1E19rocblas_complex_numIdEPKS1_S3_PS1_EviT_T9_T10_S5_lS7_S5_lS6_T11_S5_li,comdat
.Lfunc_end266:
	.size	_ZL29rocblas_internal_gemmt_kernelIlLi16ELi32ELi8ELc84ELc67ELc76ELb0ELb1E19rocblas_complex_numIdEPKS1_S3_PS1_EviT_T9_T10_S5_lS7_S5_lS6_T11_S5_li, .Lfunc_end266-_ZL29rocblas_internal_gemmt_kernelIlLi16ELi32ELi8ELc84ELc67ELc76ELb0ELb1E19rocblas_complex_numIdEPKS1_S3_PS1_EviT_T9_T10_S5_lS7_S5_lS6_T11_S5_li
                                        ; -- End function
	.set _ZL29rocblas_internal_gemmt_kernelIlLi16ELi32ELi8ELc84ELc67ELc76ELb0ELb1E19rocblas_complex_numIdEPKS1_S3_PS1_EviT_T9_T10_S5_lS7_S5_lS6_T11_S5_li.num_vgpr, 120
	.set _ZL29rocblas_internal_gemmt_kernelIlLi16ELi32ELi8ELc84ELc67ELc76ELb0ELb1E19rocblas_complex_numIdEPKS1_S3_PS1_EviT_T9_T10_S5_lS7_S5_lS6_T11_S5_li.num_agpr, 0
	.set _ZL29rocblas_internal_gemmt_kernelIlLi16ELi32ELi8ELc84ELc67ELc76ELb0ELb1E19rocblas_complex_numIdEPKS1_S3_PS1_EviT_T9_T10_S5_lS7_S5_lS6_T11_S5_li.numbered_sgpr, 48
	.set _ZL29rocblas_internal_gemmt_kernelIlLi16ELi32ELi8ELc84ELc67ELc76ELb0ELb1E19rocblas_complex_numIdEPKS1_S3_PS1_EviT_T9_T10_S5_lS7_S5_lS6_T11_S5_li.num_named_barrier, 0
	.set _ZL29rocblas_internal_gemmt_kernelIlLi16ELi32ELi8ELc84ELc67ELc76ELb0ELb1E19rocblas_complex_numIdEPKS1_S3_PS1_EviT_T9_T10_S5_lS7_S5_lS6_T11_S5_li.private_seg_size, 0
	.set _ZL29rocblas_internal_gemmt_kernelIlLi16ELi32ELi8ELc84ELc67ELc76ELb0ELb1E19rocblas_complex_numIdEPKS1_S3_PS1_EviT_T9_T10_S5_lS7_S5_lS6_T11_S5_li.uses_vcc, 1
	.set _ZL29rocblas_internal_gemmt_kernelIlLi16ELi32ELi8ELc84ELc67ELc76ELb0ELb1E19rocblas_complex_numIdEPKS1_S3_PS1_EviT_T9_T10_S5_lS7_S5_lS6_T11_S5_li.uses_flat_scratch, 0
	.set _ZL29rocblas_internal_gemmt_kernelIlLi16ELi32ELi8ELc84ELc67ELc76ELb0ELb1E19rocblas_complex_numIdEPKS1_S3_PS1_EviT_T9_T10_S5_lS7_S5_lS6_T11_S5_li.has_dyn_sized_stack, 0
	.set _ZL29rocblas_internal_gemmt_kernelIlLi16ELi32ELi8ELc84ELc67ELc76ELb0ELb1E19rocblas_complex_numIdEPKS1_S3_PS1_EviT_T9_T10_S5_lS7_S5_lS6_T11_S5_li.has_recursion, 0
	.set _ZL29rocblas_internal_gemmt_kernelIlLi16ELi32ELi8ELc84ELc67ELc76ELb0ELb1E19rocblas_complex_numIdEPKS1_S3_PS1_EviT_T9_T10_S5_lS7_S5_lS6_T11_S5_li.has_indirect_call, 0
	.section	.AMDGPU.csdata,"",@progbits
; Kernel info:
; codeLenInByte = 3624
; TotalNumSgprs: 50
; NumVgprs: 120
; ScratchSize: 0
; MemoryBound: 1
; FloatMode: 240
; IeeeMode: 1
; LDSByteSize: 8192 bytes/workgroup (compile time only)
; SGPRBlocks: 0
; VGPRBlocks: 14
; NumSGPRsForWavesPerEU: 50
; NumVGPRsForWavesPerEU: 120
; Occupancy: 8
; WaveLimiterHint : 0
; COMPUTE_PGM_RSRC2:SCRATCH_EN: 0
; COMPUTE_PGM_RSRC2:USER_SGPR: 6
; COMPUTE_PGM_RSRC2:TRAP_HANDLER: 0
; COMPUTE_PGM_RSRC2:TGID_X_EN: 1
; COMPUTE_PGM_RSRC2:TGID_Y_EN: 1
; COMPUTE_PGM_RSRC2:TGID_Z_EN: 1
; COMPUTE_PGM_RSRC2:TIDIG_COMP_CNT: 1
	.section	.text._ZL29rocblas_internal_gemmt_kernelIlLi16ELi32ELi8ELc67ELc78ELc76ELb1ELb0E19rocblas_complex_numIdEPKS1_S3_PS1_EviT_T9_T10_S5_lS7_S5_lS6_T11_S5_li,"axG",@progbits,_ZL29rocblas_internal_gemmt_kernelIlLi16ELi32ELi8ELc67ELc78ELc76ELb1ELb0E19rocblas_complex_numIdEPKS1_S3_PS1_EviT_T9_T10_S5_lS7_S5_lS6_T11_S5_li,comdat
	.globl	_ZL29rocblas_internal_gemmt_kernelIlLi16ELi32ELi8ELc67ELc78ELc76ELb1ELb0E19rocblas_complex_numIdEPKS1_S3_PS1_EviT_T9_T10_S5_lS7_S5_lS6_T11_S5_li ; -- Begin function _ZL29rocblas_internal_gemmt_kernelIlLi16ELi32ELi8ELc67ELc78ELc76ELb1ELb0E19rocblas_complex_numIdEPKS1_S3_PS1_EviT_T9_T10_S5_lS7_S5_lS6_T11_S5_li
	.p2align	8
	.type	_ZL29rocblas_internal_gemmt_kernelIlLi16ELi32ELi8ELc67ELc78ELc76ELb1ELb0E19rocblas_complex_numIdEPKS1_S3_PS1_EviT_T9_T10_S5_lS7_S5_lS6_T11_S5_li,@function
_ZL29rocblas_internal_gemmt_kernelIlLi16ELi32ELi8ELc67ELc78ELc76ELb1ELb0E19rocblas_complex_numIdEPKS1_S3_PS1_EviT_T9_T10_S5_lS7_S5_lS6_T11_S5_li: ; @_ZL29rocblas_internal_gemmt_kernelIlLi16ELi32ELi8ELc67ELc78ELc76ELb1ELb0E19rocblas_complex_numIdEPKS1_S3_PS1_EviT_T9_T10_S5_lS7_S5_lS6_T11_S5_li
; %bb.0:
	s_load_dwordx8 s[36:43], s[4:5], 0x48
	s_waitcnt lgkmcnt(0)
	s_load_dwordx4 s[28:31], s[36:37], 0x0
	s_load_dwordx16 s[12:27], s[4:5], 0x8
	s_waitcnt lgkmcnt(0)
	v_cmp_eq_f64_e64 s0, s[28:29], 1.0
	v_cmp_eq_f64_e64 s9, s[30:31], 0
	s_load_dwordx4 s[44:47], s[14:15], 0x0
	s_and_b32 s0, s0, s9
	s_andn2_b32 vcc_lo, exec_lo, s0
	s_mov_b32 s0, -1
	s_cbranch_vccnz .LBB267_3
; %bb.1:
	s_cmp_lg_u64 s[12:13], 0
	s_cbranch_scc0 .LBB267_31
; %bb.2:
	s_waitcnt lgkmcnt(0)
	v_cmp_neq_f64_e64 s0, s[44:45], 0
	v_cmp_neq_f64_e64 s1, s[46:47], 0
	s_or_b32 s0, s0, s1
.LBB267_3:
	s_and_b32 vcc_lo, exec_lo, s0
	s_cbranch_vccz .LBB267_32
; %bb.4:
	s_waitcnt lgkmcnt(0)
	v_cmp_eq_f64_e64 s0, s[44:45], 0
	v_cmp_eq_f64_e64 s1, s[46:47], 0
	s_load_dword s4, s[4:5], 0x0
	v_cmp_lt_i64_e64 s2, s[12:13], 1
	v_mov_b32_e32 v20, 0
	v_mov_b32_e32 v22, 0
	;; [unrolled: 1-line block ×16, first 2 shown]
	s_lshl_b32 s5, s6, 5
	s_lshl_b32 s6, s7, 5
	s_and_b32 s0, s0, s1
	s_or_b32 s0, s0, s2
	s_and_b32 vcc_lo, exec_lo, s0
	s_cbranch_vccnz .LBB267_15
; %bb.5:
	v_lshl_add_u32 v6, v1, 4, v0
	s_mul_i32 s1, s27, s8
	s_mul_hi_u32 s2, s26, s8
	s_mul_i32 s0, s26, s8
	s_add_i32 s1, s2, s1
	v_lshrrev_b32_e32 v7, 3, v6
	v_and_b32_e32 v8, 31, v6
	s_lshl_b64 s[0:1], s[0:1], 4
	s_mul_hi_u32 s3, s20, s8
	s_add_u32 s2, s22, s0
	v_add_nc_u32_e32 v9, s6, v7
	v_or_b32_e32 v10, s5, v8
	s_mul_i32 s0, s21, s8
	s_addc_u32 s7, s23, s1
	s_add_i32 s1, s3, s0
	v_ashrrev_i32_e32 v4, 31, v9
	s_mul_i32 s0, s20, s8
	v_mul_lo_u32 v11, s19, v10
	v_mad_u64_u32 v[2:3], null, s18, v10, 0
	s_lshl_b64 s[0:1], s[0:1], 4
	v_mul_lo_u32 v12, s24, v4
	v_mul_lo_u32 v13, s25, v9
	v_mad_u64_u32 v[4:5], null, s24, v9, 0
	s_add_u32 s3, s16, s0
	s_addc_u32 s1, s17, s1
	s_ashr_i32 s0, s5, 31
	v_and_b32_e32 v24, 7, v0
	s_mul_i32 s0, s18, s0
	v_lshrrev_b32_e32 v25, 5, v6
	v_add3_u32 v3, v3, s0, v11
	v_add3_u32 v5, v5, v12, v13
	v_lshlrev_b32_e32 v6, 4, v8
	v_lshlrev_b32_e32 v8, 4, v24
	s_waitcnt lgkmcnt(0)
	v_cmp_gt_i32_e64 s0, s4, v10
	v_lshlrev_b64 v[2:3], 4, v[2:3]
	v_lshlrev_b64 v[4:5], 4, v[4:5]
	v_lshl_or_b32 v26, v25, 9, v6
	v_lshl_or_b32 v6, v7, 7, v8
	v_mov_b32_e32 v10, 0
	v_mov_b32_e32 v12, 0
	v_add_co_u32 v27, vcc_lo, s3, v2
	v_add_co_ci_u32_e64 v28, null, s1, v3, vcc_lo
	v_cmp_gt_i32_e32 vcc_lo, s4, v9
	v_add_co_u32 v30, s1, s2, v4
	v_mov_b32_e32 v8, 0
	v_mov_b32_e32 v14, 0
	;; [unrolled: 1-line block ×6, first 2 shown]
	v_add_nc_u32_e32 v29, 0x1000, v6
	v_add_co_ci_u32_e64 v31, null, s7, v5, s1
	v_lshlrev_b32_e32 v32, 4, v0
	v_lshl_add_u32 v33, v1, 7, 0x1000
	v_mov_b32_e32 v9, 0
	v_mov_b32_e32 v11, 0
	;; [unrolled: 1-line block ×9, first 2 shown]
	s_mov_b64 s[2:3], 0
	s_xor_b32 s1, vcc_lo, -1
	s_branch .LBB267_7
.LBB267_6:                              ;   in Loop: Header=BB267_7 Depth=1
	s_or_b32 exec_lo, exec_lo, s7
	s_waitcnt lgkmcnt(0)
	s_barrier
	buffer_gl0_inv
	ds_read_b128 v[4:7], v33
	ds_read_b128 v[34:37], v32
	ds_read_b128 v[38:41], v32 offset:256
	ds_read_b128 v[42:45], v33 offset:2048
	;; [unrolled: 1-line block ×12, first 2 shown]
	s_add_u32 s2, s2, 8
	s_addc_u32 s3, s3, 0
	v_cmp_gt_i64_e64 s7, s[12:13], s[2:3]
	s_and_b32 vcc_lo, exec_lo, s7
	s_waitcnt lgkmcnt(12)
	v_mul_f64 v[86:87], v[6:7], v[36:37]
	v_mul_f64 v[88:89], v[4:5], v[36:37]
	s_waitcnt lgkmcnt(11)
	v_mul_f64 v[90:91], v[6:7], v[40:41]
	v_mul_f64 v[92:93], v[4:5], v[40:41]
	;; [unrolled: 3-line block ×3, first 2 shown]
	v_mul_f64 v[96:97], v[44:45], v[40:41]
	v_mul_f64 v[40:41], v[42:43], v[40:41]
	s_waitcnt lgkmcnt(8)
	v_mul_f64 v[98:99], v[48:49], v[52:53]
	v_mul_f64 v[100:101], v[46:47], v[52:53]
	s_waitcnt lgkmcnt(7)
	;; [unrolled: 3-line block ×3, first 2 shown]
	v_mul_f64 v[106:107], v[60:61], v[52:53]
	v_mul_f64 v[52:53], v[58:59], v[52:53]
	;; [unrolled: 1-line block ×4, first 2 shown]
	s_waitcnt lgkmcnt(3)
	v_mul_f64 v[112:113], v[72:73], v[64:65]
	v_mul_f64 v[116:117], v[70:71], v[64:65]
	;; [unrolled: 1-line block ×4, first 2 shown]
	s_waitcnt lgkmcnt(1)
	v_mul_f64 v[122:123], v[80:81], v[64:65]
	v_mul_f64 v[64:65], v[78:79], v[64:65]
	v_fma_f64 v[86:87], v[4:5], v[34:35], -v[86:87]
	v_fma_f64 v[88:89], v[6:7], v[34:35], v[88:89]
	v_fma_f64 v[90:91], v[4:5], v[38:39], -v[90:91]
	v_fma_f64 v[92:93], v[6:7], v[38:39], v[92:93]
	;; [unrolled: 2-line block ×8, first 2 shown]
	ds_read_b128 v[4:7], v32 offset:1536
	ds_read_b128 v[34:37], v32 offset:1792
	ds_read_b128 v[38:41], v32 offset:2048
	ds_read_b128 v[42:45], v32 offset:2304
	ds_read_b128 v[46:49], v33 offset:64
	ds_read_b128 v[50:53], v33 offset:80
	v_add_f64 v[54:55], v[20:21], v[86:87]
	v_add_f64 v[22:23], v[88:89], v[22:23]
	;; [unrolled: 1-line block ×3, first 2 shown]
	v_mul_f64 v[86:87], v[80:81], v[68:69]
	v_mul_f64 v[68:69], v[78:79], v[68:69]
	v_add_f64 v[88:89], v[92:93], v[18:19]
	v_add_f64 v[92:93], v[14:15], v[94:95]
	;; [unrolled: 1-line block ×5, first 2 shown]
	v_fma_f64 v[90:91], v[70:71], v[62:63], -v[112:113]
	v_fma_f64 v[94:95], v[72:73], v[62:63], v[116:117]
	v_fma_f64 v[70:71], v[70:71], v[66:67], -v[118:119]
	v_fma_f64 v[72:73], v[72:73], v[66:67], v[120:121]
	s_waitcnt lgkmcnt(5)
	v_mul_f64 v[108:109], v[76:77], v[6:7]
	v_mul_f64 v[110:111], v[74:75], v[6:7]
	v_fma_f64 v[112:113], v[78:79], v[62:63], -v[122:123]
	v_fma_f64 v[62:63], v[80:81], v[62:63], v[64:65]
	s_waitcnt lgkmcnt(4)
	v_mul_f64 v[64:65], v[76:77], v[36:37]
	v_mul_f64 v[116:117], v[74:75], v[36:37]
	ds_read_b128 v[14:17], v32 offset:2560
	ds_read_b128 v[18:21], v32 offset:2816
	v_add_f64 v[98:99], v[54:55], v[98:99]
	v_add_f64 v[22:23], v[100:101], v[22:23]
	v_add_f64 v[100:101], v[56:57], v[102:103]
	v_mul_f64 v[102:103], v[84:85], v[6:7]
	v_mul_f64 v[6:7], v[82:83], v[6:7]
	v_add_f64 v[88:89], v[104:105], v[88:89]
	v_add_f64 v[92:93], v[92:93], v[106:107]
	v_fma_f64 v[78:79], v[78:79], v[66:67], -v[86:87]
	v_fma_f64 v[66:67], v[80:81], v[66:67], v[68:69]
	v_mul_f64 v[68:69], v[84:85], v[36:37]
	v_mul_f64 v[36:37], v[82:83], v[36:37]
	v_add_f64 v[12:13], v[124:125], v[12:13]
	v_add_f64 v[58:59], v[96:97], v[58:59]
	v_add_f64 v[60:61], v[60:61], v[114:115]
	ds_read_b128 v[8:11], v33 offset:2112
	ds_read_b128 v[54:57], v33 offset:2128
	s_waitcnt lgkmcnt(5)
	v_mul_f64 v[80:81], v[48:49], v[40:41]
	v_mul_f64 v[86:87], v[46:47], v[40:41]
	;; [unrolled: 1-line block ×4, first 2 shown]
	v_fma_f64 v[106:107], v[74:75], v[4:5], -v[108:109]
	v_fma_f64 v[108:109], v[76:77], v[4:5], v[110:111]
	v_fma_f64 v[64:65], v[74:75], v[34:35], -v[64:65]
	v_fma_f64 v[74:75], v[76:77], v[34:35], v[116:117]
	v_add_f64 v[90:91], v[98:99], v[90:91]
	v_add_f64 v[22:23], v[94:95], v[22:23]
	;; [unrolled: 1-line block ×3, first 2 shown]
	v_fma_f64 v[94:95], v[82:83], v[4:5], -v[102:103]
	v_add_f64 v[72:73], v[72:73], v[88:89]
	v_add_f64 v[88:89], v[92:93], v[112:113]
	v_fma_f64 v[4:5], v[84:85], v[4:5], v[6:7]
	s_waitcnt lgkmcnt(3)
	v_mul_f64 v[98:99], v[52:53], v[16:17]
	v_fma_f64 v[6:7], v[82:83], v[34:35], -v[68:69]
	v_fma_f64 v[68:69], v[84:85], v[34:35], v[36:37]
	s_waitcnt lgkmcnt(1)
	v_mul_f64 v[76:77], v[10:11], v[40:41]
	v_mul_f64 v[40:41], v[8:9], v[40:41]
	;; [unrolled: 1-line block ×4, first 2 shown]
	v_add_f64 v[12:13], v[62:63], v[12:13]
	v_add_f64 v[58:59], v[58:59], v[78:79]
	;; [unrolled: 1-line block ×3, first 2 shown]
	v_mul_f64 v[100:101], v[50:51], v[16:17]
	v_mul_f64 v[62:63], v[52:53], v[20:21]
	v_fma_f64 v[78:79], v[46:47], v[38:39], -v[80:81]
	v_fma_f64 v[80:81], v[48:49], v[38:39], v[86:87]
	v_fma_f64 v[46:47], v[46:47], v[42:43], -v[104:105]
	v_fma_f64 v[48:49], v[48:49], v[42:43], v[96:97]
	v_add_f64 v[66:67], v[90:91], v[106:107]
	v_add_f64 v[82:83], v[108:109], v[22:23]
	;; [unrolled: 1-line block ×5, first 2 shown]
	s_waitcnt lgkmcnt(0)
	v_mul_f64 v[84:85], v[56:57], v[16:17]
	v_mul_f64 v[16:17], v[54:55], v[16:17]
	;; [unrolled: 1-line block ×4, first 2 shown]
	v_fma_f64 v[70:71], v[8:9], v[38:39], -v[76:77]
	v_mul_f64 v[76:77], v[50:51], v[20:21]
	v_fma_f64 v[90:91], v[10:11], v[38:39], v[40:41]
	v_fma_f64 v[8:9], v[8:9], v[42:43], -v[92:93]
	v_add_f64 v[12:13], v[4:5], v[12:13]
	v_add_f64 v[58:59], v[58:59], v[6:7]
	v_fma_f64 v[42:43], v[10:11], v[42:43], v[44:45]
	v_add_f64 v[44:45], v[68:69], v[60:61]
	ds_read_b128 v[4:7], v33 offset:96
	ds_read_b128 v[20:23], v32 offset:3072
	;; [unrolled: 1-line block ×4, first 2 shown]
	v_add_f64 v[60:61], v[66:67], v[78:79]
	v_add_f64 v[66:67], v[80:81], v[82:83]
	;; [unrolled: 1-line block ×3, first 2 shown]
	v_fma_f64 v[64:65], v[50:51], v[14:15], -v[98:99]
	v_add_f64 v[48:49], v[48:49], v[72:73]
	v_fma_f64 v[50:51], v[50:51], v[18:19], -v[62:63]
	v_fma_f64 v[62:63], v[54:55], v[14:15], -v[84:85]
	v_fma_f64 v[72:73], v[56:57], v[14:15], v[16:17]
	v_fma_f64 v[54:55], v[54:55], v[18:19], -v[86:87]
	v_add_f64 v[68:69], v[74:75], v[70:71]
	v_fma_f64 v[70:71], v[52:53], v[14:15], v[100:101]
	v_fma_f64 v[52:53], v[52:53], v[18:19], v[76:77]
	;; [unrolled: 1-line block ×3, first 2 shown]
	v_add_f64 v[74:75], v[90:91], v[12:13]
	v_add_f64 v[58:59], v[58:59], v[8:9]
	s_waitcnt lgkmcnt(2)
	v_mul_f64 v[76:77], v[6:7], v[22:23]
	v_mul_f64 v[78:79], v[4:5], v[22:23]
	s_waitcnt lgkmcnt(1)
	v_mul_f64 v[80:81], v[6:7], v[36:37]
	v_mul_f64 v[82:83], v[4:5], v[36:37]
	;; [unrolled: 3-line block ×3, first 2 shown]
	v_mul_f64 v[86:87], v[40:41], v[36:37]
	v_add_f64 v[88:89], v[42:43], v[44:45]
	v_mul_f64 v[36:37], v[38:39], v[36:37]
	ds_read_b128 v[8:11], v33 offset:112
	ds_read_b128 v[12:15], v33 offset:2160
	;; [unrolled: 1-line block ×4, first 2 shown]
	v_add_f64 v[60:61], v[60:61], v[64:65]
	v_add_f64 v[46:47], v[46:47], v[50:51]
	s_waitcnt lgkmcnt(0)
	s_barrier
	v_add_f64 v[50:51], v[68:69], v[62:63]
	v_add_f64 v[64:65], v[70:71], v[66:67]
	;; [unrolled: 1-line block ×3, first 2 shown]
	buffer_gl0_inv
	v_add_f64 v[52:53], v[72:73], v[74:75]
	v_add_f64 v[54:55], v[58:59], v[54:55]
	v_fma_f64 v[58:59], v[4:5], v[20:21], -v[76:77]
	v_fma_f64 v[62:63], v[6:7], v[20:21], v[78:79]
	v_fma_f64 v[4:5], v[4:5], v[34:35], -v[80:81]
	v_fma_f64 v[6:7], v[6:7], v[34:35], v[82:83]
	v_fma_f64 v[66:67], v[38:39], v[20:21], -v[84:85]
	v_fma_f64 v[20:21], v[40:41], v[20:21], v[22:23]
	v_fma_f64 v[22:23], v[38:39], v[34:35], -v[86:87]
	v_add_f64 v[38:39], v[56:57], v[88:89]
	v_fma_f64 v[34:35], v[40:41], v[34:35], v[36:37]
	v_mul_f64 v[36:37], v[10:11], v[18:19]
	v_mul_f64 v[40:41], v[8:9], v[18:19]
	;; [unrolled: 1-line block ×8, first 2 shown]
	v_add_f64 v[58:59], v[60:61], v[58:59]
	v_add_f64 v[60:61], v[62:63], v[64:65]
	;; [unrolled: 1-line block ×8, first 2 shown]
	v_fma_f64 v[20:21], v[8:9], v[16:17], -v[36:37]
	v_fma_f64 v[22:23], v[10:11], v[16:17], v[40:41]
	v_fma_f64 v[8:9], v[8:9], v[42:43], -v[56:57]
	v_fma_f64 v[10:11], v[10:11], v[42:43], v[68:69]
	;; [unrolled: 2-line block ×4, first 2 shown]
	v_add_f64 v[20:21], v[58:59], v[20:21]
	v_add_f64 v[22:23], v[22:23], v[60:61]
	;; [unrolled: 1-line block ×8, first 2 shown]
	s_cbranch_vccz .LBB267_15
.LBB267_7:                              ; =>This Inner Loop Header: Depth=1
	v_mov_b32_e32 v4, 0
	v_mov_b32_e32 v6, 0
	v_mov_b32_e32 v5, 0
	v_mov_b32_e32 v7, 0
	s_and_saveexec_b32 s7, s0
	s_cbranch_execz .LBB267_11
; %bb.8:                                ;   in Loop: Header=BB267_7 Depth=1
	v_mov_b32_e32 v6, 0
	v_mov_b32_e32 v4, 0
	v_add_nc_u32_e32 v2, s2, v25
	v_mov_b32_e32 v7, 0
	v_mov_b32_e32 v5, 0
	s_mov_b32 s10, exec_lo
	v_cmpx_gt_u64_e64 s[12:13], v[2:3]
	s_cbranch_execz .LBB267_10
; %bb.9:                                ;   in Loop: Header=BB267_7 Depth=1
	v_lshlrev_b64 v[4:5], 4, v[2:3]
	v_add_co_u32 v4, vcc_lo, v27, v4
	v_add_co_ci_u32_e64 v5, null, v28, v5, vcc_lo
	global_load_dwordx4 v[4:7], v[4:5], off
	s_waitcnt vmcnt(0)
	v_xor_b32_e32 v7, 0x80000000, v7
.LBB267_10:                             ;   in Loop: Header=BB267_7 Depth=1
	s_or_b32 exec_lo, exec_lo, s10
.LBB267_11:                             ;   in Loop: Header=BB267_7 Depth=1
	s_or_b32 exec_lo, exec_lo, s7
	v_add_nc_u32_e32 v2, s2, v24
	ds_write_b128 v26, v[4:7]
	v_cmp_le_u64_e32 vcc_lo, s[12:13], v[2:3]
	s_or_b32 s7, vcc_lo, s1
	s_and_saveexec_b32 s10, s7
	s_xor_b32 s7, exec_lo, s10
	s_cbranch_execz .LBB267_13
; %bb.12:                               ;   in Loop: Header=BB267_7 Depth=1
	v_mov_b32_e32 v2, v3
	v_mov_b32_e32 v4, v3
	;; [unrolled: 1-line block ×3, first 2 shown]
	ds_write_b128 v29, v[2:5]
.LBB267_13:                             ;   in Loop: Header=BB267_7 Depth=1
	s_andn2_saveexec_b32 s7, s7
	s_cbranch_execz .LBB267_6
; %bb.14:                               ;   in Loop: Header=BB267_7 Depth=1
	v_lshlrev_b64 v[4:5], 4, v[2:3]
	v_add_co_u32 v4, vcc_lo, v30, v4
	v_add_co_ci_u32_e64 v5, null, v31, v5, vcc_lo
	global_load_dwordx4 v[4:7], v[4:5], off
	s_waitcnt vmcnt(0)
	ds_write2_b64 v29, v[4:5], v[6:7] offset1:1
	s_branch .LBB267_6
.LBB267_15:
	v_add_nc_u32_e32 v25, s6, v1
	v_cmp_neq_f64_e64 s2, s[28:29], 0
	s_mul_i32 s1, s43, s8
	s_mul_hi_u32 s3, s42, s8
	s_mul_i32 s0, s42, s8
	v_ashrrev_i32_e32 v3, 31, v25
	v_mul_lo_u32 v5, s41, v25
	v_mad_u64_u32 v[1:2], null, s40, v25, 0
	s_add_i32 s1, s3, s1
	v_mul_lo_u32 v3, s40, v3
	v_add_nc_u32_e32 v4, s5, v0
	s_lshl_b64 s[6:7], s[0:1], 4
	s_add_u32 s3, s38, s6
	s_addc_u32 s5, s39, s7
	s_xor_b32 s6, s9, -1
	v_cmp_le_i32_e32 vcc_lo, v25, v4
	v_add3_u32 v2, v2, v3, v5
	s_waitcnt lgkmcnt(0)
	v_cmp_gt_i32_e64 s0, s4, v4
	v_ashrrev_i32_e32 v5, 31, v4
	s_or_b32 s2, s2, s6
	v_lshlrev_b64 v[0:1], 4, v[1:2]
	v_cndmask_b32_e64 v24, 0, 1, s2
	s_and_b32 s6, vcc_lo, s0
	v_add_co_u32 v26, s1, s3, v0
	v_add_co_ci_u32_e64 v27, null, s5, v1, s1
	s_and_saveexec_b32 s1, s6
	s_cbranch_execz .LBB267_19
; %bb.16:
	v_mul_f64 v[0:1], s[46:47], v[22:23]
	v_mul_f64 v[2:3], s[44:45], v[22:23]
	v_lshlrev_b64 v[6:7], 4, v[4:5]
	v_add_co_u32 v6, vcc_lo, v26, v6
	v_add_co_ci_u32_e64 v7, null, v27, v7, vcc_lo
	s_andn2_b32 vcc_lo, exec_lo, s2
	v_fma_f64 v[0:1], s[44:45], v[20:21], -v[0:1]
	v_fma_f64 v[2:3], s[46:47], v[20:21], v[2:3]
	s_cbranch_vccnz .LBB267_18
; %bb.17:
	global_load_dwordx4 v[20:23], v[6:7], off
	s_waitcnt vmcnt(0)
	v_mul_f64 v[28:29], s[30:31], v[22:23]
	v_mul_f64 v[22:23], s[28:29], v[22:23]
	v_fma_f64 v[28:29], s[28:29], v[20:21], -v[28:29]
	v_fma_f64 v[20:21], s[30:31], v[20:21], v[22:23]
	v_add_f64 v[0:1], v[0:1], v[28:29]
	v_add_f64 v[2:3], v[2:3], v[20:21]
.LBB267_18:
	global_store_dwordx4 v[6:7], v[0:3], off
.LBB267_19:
	s_or_b32 exec_lo, exec_lo, s1
	v_add_nc_u32_e32 v6, 16, v4
	v_cmp_le_i32_e32 vcc_lo, v25, v6
	v_cmp_gt_i32_e64 s1, s4, v6
	v_ashrrev_i32_e32 v7, 31, v6
	s_and_b32 s2, vcc_lo, s1
	s_and_saveexec_b32 s4, s2
	s_cbranch_execz .LBB267_23
; %bb.20:
	v_mul_f64 v[0:1], s[46:47], v[18:19]
	v_mul_f64 v[2:3], s[44:45], v[18:19]
	v_cmp_ne_u32_e32 vcc_lo, 1, v24
	s_and_b32 vcc_lo, exec_lo, vcc_lo
	v_fma_f64 v[0:1], s[44:45], v[16:17], -v[0:1]
	v_fma_f64 v[2:3], s[46:47], v[16:17], v[2:3]
	v_lshlrev_b64 v[16:17], 4, v[6:7]
	v_add_co_u32 v16, s2, v26, v16
	v_add_co_ci_u32_e64 v17, null, v27, v17, s2
	s_cbranch_vccnz .LBB267_22
; %bb.21:
	global_load_dwordx4 v[18:21], v[16:17], off
	s_waitcnt vmcnt(0)
	v_mul_f64 v[22:23], s[30:31], v[20:21]
	v_mul_f64 v[20:21], s[28:29], v[20:21]
	v_fma_f64 v[22:23], s[28:29], v[18:19], -v[22:23]
	v_fma_f64 v[18:19], s[30:31], v[18:19], v[20:21]
	v_add_f64 v[0:1], v[0:1], v[22:23]
	v_add_f64 v[2:3], v[2:3], v[18:19]
.LBB267_22:
	global_store_dwordx4 v[16:17], v[0:3], off
.LBB267_23:
	s_or_b32 exec_lo, exec_lo, s4
	v_add_nc_u32_e32 v18, 16, v25
	v_ashrrev_i32_e32 v2, 31, v18
	v_mul_lo_u32 v3, s41, v18
	v_mad_u64_u32 v[0:1], null, s40, v18, 0
	v_cmp_le_i32_e32 vcc_lo, v18, v4
	v_mul_lo_u32 v2, s40, v2
	s_and_b32 s0, vcc_lo, s0
	v_add3_u32 v1, v1, v2, v3
	v_lshlrev_b64 v[0:1], 4, v[0:1]
	v_add_co_u32 v16, s2, s3, v0
	v_add_co_ci_u32_e64 v17, null, s5, v1, s2
	s_and_saveexec_b32 s2, s0
	s_cbranch_execz .LBB267_27
; %bb.24:
	v_mul_f64 v[0:1], s[46:47], v[12:13]
	v_mul_f64 v[2:3], s[44:45], v[12:13]
	v_lshlrev_b64 v[4:5], 4, v[4:5]
	v_cmp_ne_u32_e32 vcc_lo, 1, v24
	s_and_b32 vcc_lo, exec_lo, vcc_lo
	v_add_co_u32 v4, s0, v16, v4
	v_add_co_ci_u32_e64 v5, null, v17, v5, s0
	v_fma_f64 v[0:1], s[44:45], v[14:15], -v[0:1]
	v_fma_f64 v[2:3], s[46:47], v[14:15], v[2:3]
	s_cbranch_vccnz .LBB267_26
; %bb.25:
	global_load_dwordx4 v[12:15], v[4:5], off
	s_waitcnt vmcnt(0)
	v_mul_f64 v[19:20], s[30:31], v[14:15]
	v_mul_f64 v[14:15], s[28:29], v[14:15]
	v_fma_f64 v[19:20], s[28:29], v[12:13], -v[19:20]
	v_fma_f64 v[12:13], s[30:31], v[12:13], v[14:15]
	v_add_f64 v[0:1], v[0:1], v[19:20]
	v_add_f64 v[2:3], v[2:3], v[12:13]
.LBB267_26:
	global_store_dwordx4 v[4:5], v[0:3], off
.LBB267_27:
	s_or_b32 exec_lo, exec_lo, s2
	v_cmp_le_i32_e32 vcc_lo, v18, v6
	s_and_b32 s0, vcc_lo, s1
	s_and_saveexec_b32 s1, s0
	s_cbranch_execz .LBB267_32
; %bb.28:
	v_mul_f64 v[0:1], s[46:47], v[8:9]
	v_mul_f64 v[2:3], s[44:45], v[8:9]
	v_lshlrev_b64 v[4:5], 4, v[6:7]
	v_cmp_ne_u32_e32 vcc_lo, 1, v24
	s_and_b32 vcc_lo, exec_lo, vcc_lo
	v_add_co_u32 v4, s0, v16, v4
	v_add_co_ci_u32_e64 v5, null, v17, v5, s0
	v_fma_f64 v[0:1], s[44:45], v[10:11], -v[0:1]
	v_fma_f64 v[2:3], s[46:47], v[10:11], v[2:3]
	s_cbranch_vccnz .LBB267_30
; %bb.29:
	global_load_dwordx4 v[6:9], v[4:5], off
	s_waitcnt vmcnt(0)
	v_mul_f64 v[10:11], s[30:31], v[8:9]
	v_mul_f64 v[8:9], s[28:29], v[8:9]
	v_fma_f64 v[10:11], s[28:29], v[6:7], -v[10:11]
	v_fma_f64 v[6:7], s[30:31], v[6:7], v[8:9]
	v_add_f64 v[0:1], v[0:1], v[10:11]
	v_add_f64 v[2:3], v[2:3], v[6:7]
.LBB267_30:
	global_store_dwordx4 v[4:5], v[0:3], off
	s_endpgm
.LBB267_31:
.LBB267_32:
	s_endpgm
	.section	.rodata,"a",@progbits
	.p2align	6, 0x0
	.amdhsa_kernel _ZL29rocblas_internal_gemmt_kernelIlLi16ELi32ELi8ELc67ELc78ELc76ELb1ELb0E19rocblas_complex_numIdEPKS1_S3_PS1_EviT_T9_T10_S5_lS7_S5_lS6_T11_S5_li
		.amdhsa_group_segment_fixed_size 8192
		.amdhsa_private_segment_fixed_size 0
		.amdhsa_kernarg_size 108
		.amdhsa_user_sgpr_count 6
		.amdhsa_user_sgpr_private_segment_buffer 1
		.amdhsa_user_sgpr_dispatch_ptr 0
		.amdhsa_user_sgpr_queue_ptr 0
		.amdhsa_user_sgpr_kernarg_segment_ptr 1
		.amdhsa_user_sgpr_dispatch_id 0
		.amdhsa_user_sgpr_flat_scratch_init 0
		.amdhsa_user_sgpr_private_segment_size 0
		.amdhsa_wavefront_size32 1
		.amdhsa_uses_dynamic_stack 0
		.amdhsa_system_sgpr_private_segment_wavefront_offset 0
		.amdhsa_system_sgpr_workgroup_id_x 1
		.amdhsa_system_sgpr_workgroup_id_y 1
		.amdhsa_system_sgpr_workgroup_id_z 1
		.amdhsa_system_sgpr_workgroup_info 0
		.amdhsa_system_vgpr_workitem_id 1
		.amdhsa_next_free_vgpr 126
		.amdhsa_next_free_sgpr 48
		.amdhsa_reserve_vcc 1
		.amdhsa_reserve_flat_scratch 0
		.amdhsa_float_round_mode_32 0
		.amdhsa_float_round_mode_16_64 0
		.amdhsa_float_denorm_mode_32 3
		.amdhsa_float_denorm_mode_16_64 3
		.amdhsa_dx10_clamp 1
		.amdhsa_ieee_mode 1
		.amdhsa_fp16_overflow 0
		.amdhsa_workgroup_processor_mode 1
		.amdhsa_memory_ordered 1
		.amdhsa_forward_progress 1
		.amdhsa_shared_vgpr_count 0
		.amdhsa_exception_fp_ieee_invalid_op 0
		.amdhsa_exception_fp_denorm_src 0
		.amdhsa_exception_fp_ieee_div_zero 0
		.amdhsa_exception_fp_ieee_overflow 0
		.amdhsa_exception_fp_ieee_underflow 0
		.amdhsa_exception_fp_ieee_inexact 0
		.amdhsa_exception_int_div_zero 0
	.end_amdhsa_kernel
	.section	.text._ZL29rocblas_internal_gemmt_kernelIlLi16ELi32ELi8ELc67ELc78ELc76ELb1ELb0E19rocblas_complex_numIdEPKS1_S3_PS1_EviT_T9_T10_S5_lS7_S5_lS6_T11_S5_li,"axG",@progbits,_ZL29rocblas_internal_gemmt_kernelIlLi16ELi32ELi8ELc67ELc78ELc76ELb1ELb0E19rocblas_complex_numIdEPKS1_S3_PS1_EviT_T9_T10_S5_lS7_S5_lS6_T11_S5_li,comdat
.Lfunc_end267:
	.size	_ZL29rocblas_internal_gemmt_kernelIlLi16ELi32ELi8ELc67ELc78ELc76ELb1ELb0E19rocblas_complex_numIdEPKS1_S3_PS1_EviT_T9_T10_S5_lS7_S5_lS6_T11_S5_li, .Lfunc_end267-_ZL29rocblas_internal_gemmt_kernelIlLi16ELi32ELi8ELc67ELc78ELc76ELb1ELb0E19rocblas_complex_numIdEPKS1_S3_PS1_EviT_T9_T10_S5_lS7_S5_lS6_T11_S5_li
                                        ; -- End function
	.set _ZL29rocblas_internal_gemmt_kernelIlLi16ELi32ELi8ELc67ELc78ELc76ELb1ELb0E19rocblas_complex_numIdEPKS1_S3_PS1_EviT_T9_T10_S5_lS7_S5_lS6_T11_S5_li.num_vgpr, 126
	.set _ZL29rocblas_internal_gemmt_kernelIlLi16ELi32ELi8ELc67ELc78ELc76ELb1ELb0E19rocblas_complex_numIdEPKS1_S3_PS1_EviT_T9_T10_S5_lS7_S5_lS6_T11_S5_li.num_agpr, 0
	.set _ZL29rocblas_internal_gemmt_kernelIlLi16ELi32ELi8ELc67ELc78ELc76ELb1ELb0E19rocblas_complex_numIdEPKS1_S3_PS1_EviT_T9_T10_S5_lS7_S5_lS6_T11_S5_li.numbered_sgpr, 48
	.set _ZL29rocblas_internal_gemmt_kernelIlLi16ELi32ELi8ELc67ELc78ELc76ELb1ELb0E19rocblas_complex_numIdEPKS1_S3_PS1_EviT_T9_T10_S5_lS7_S5_lS6_T11_S5_li.num_named_barrier, 0
	.set _ZL29rocblas_internal_gemmt_kernelIlLi16ELi32ELi8ELc67ELc78ELc76ELb1ELb0E19rocblas_complex_numIdEPKS1_S3_PS1_EviT_T9_T10_S5_lS7_S5_lS6_T11_S5_li.private_seg_size, 0
	.set _ZL29rocblas_internal_gemmt_kernelIlLi16ELi32ELi8ELc67ELc78ELc76ELb1ELb0E19rocblas_complex_numIdEPKS1_S3_PS1_EviT_T9_T10_S5_lS7_S5_lS6_T11_S5_li.uses_vcc, 1
	.set _ZL29rocblas_internal_gemmt_kernelIlLi16ELi32ELi8ELc67ELc78ELc76ELb1ELb0E19rocblas_complex_numIdEPKS1_S3_PS1_EviT_T9_T10_S5_lS7_S5_lS6_T11_S5_li.uses_flat_scratch, 0
	.set _ZL29rocblas_internal_gemmt_kernelIlLi16ELi32ELi8ELc67ELc78ELc76ELb1ELb0E19rocblas_complex_numIdEPKS1_S3_PS1_EviT_T9_T10_S5_lS7_S5_lS6_T11_S5_li.has_dyn_sized_stack, 0
	.set _ZL29rocblas_internal_gemmt_kernelIlLi16ELi32ELi8ELc67ELc78ELc76ELb1ELb0E19rocblas_complex_numIdEPKS1_S3_PS1_EviT_T9_T10_S5_lS7_S5_lS6_T11_S5_li.has_recursion, 0
	.set _ZL29rocblas_internal_gemmt_kernelIlLi16ELi32ELi8ELc67ELc78ELc76ELb1ELb0E19rocblas_complex_numIdEPKS1_S3_PS1_EviT_T9_T10_S5_lS7_S5_lS6_T11_S5_li.has_indirect_call, 0
	.section	.AMDGPU.csdata,"",@progbits
; Kernel info:
; codeLenInByte = 3564
; TotalNumSgprs: 50
; NumVgprs: 126
; ScratchSize: 0
; MemoryBound: 1
; FloatMode: 240
; IeeeMode: 1
; LDSByteSize: 8192 bytes/workgroup (compile time only)
; SGPRBlocks: 0
; VGPRBlocks: 15
; NumSGPRsForWavesPerEU: 50
; NumVGPRsForWavesPerEU: 126
; Occupancy: 8
; WaveLimiterHint : 0
; COMPUTE_PGM_RSRC2:SCRATCH_EN: 0
; COMPUTE_PGM_RSRC2:USER_SGPR: 6
; COMPUTE_PGM_RSRC2:TRAP_HANDLER: 0
; COMPUTE_PGM_RSRC2:TGID_X_EN: 1
; COMPUTE_PGM_RSRC2:TGID_Y_EN: 1
; COMPUTE_PGM_RSRC2:TGID_Z_EN: 1
; COMPUTE_PGM_RSRC2:TIDIG_COMP_CNT: 1
	.section	.text._ZL29rocblas_internal_gemmt_kernelIlLi16ELi32ELi8ELc67ELc84ELc76ELb1ELb0E19rocblas_complex_numIdEPKS1_S3_PS1_EviT_T9_T10_S5_lS7_S5_lS6_T11_S5_li,"axG",@progbits,_ZL29rocblas_internal_gemmt_kernelIlLi16ELi32ELi8ELc67ELc84ELc76ELb1ELb0E19rocblas_complex_numIdEPKS1_S3_PS1_EviT_T9_T10_S5_lS7_S5_lS6_T11_S5_li,comdat
	.globl	_ZL29rocblas_internal_gemmt_kernelIlLi16ELi32ELi8ELc67ELc84ELc76ELb1ELb0E19rocblas_complex_numIdEPKS1_S3_PS1_EviT_T9_T10_S5_lS7_S5_lS6_T11_S5_li ; -- Begin function _ZL29rocblas_internal_gemmt_kernelIlLi16ELi32ELi8ELc67ELc84ELc76ELb1ELb0E19rocblas_complex_numIdEPKS1_S3_PS1_EviT_T9_T10_S5_lS7_S5_lS6_T11_S5_li
	.p2align	8
	.type	_ZL29rocblas_internal_gemmt_kernelIlLi16ELi32ELi8ELc67ELc84ELc76ELb1ELb0E19rocblas_complex_numIdEPKS1_S3_PS1_EviT_T9_T10_S5_lS7_S5_lS6_T11_S5_li,@function
_ZL29rocblas_internal_gemmt_kernelIlLi16ELi32ELi8ELc67ELc84ELc76ELb1ELb0E19rocblas_complex_numIdEPKS1_S3_PS1_EviT_T9_T10_S5_lS7_S5_lS6_T11_S5_li: ; @_ZL29rocblas_internal_gemmt_kernelIlLi16ELi32ELi8ELc67ELc84ELc76ELb1ELb0E19rocblas_complex_numIdEPKS1_S3_PS1_EviT_T9_T10_S5_lS7_S5_lS6_T11_S5_li
; %bb.0:
	s_load_dwordx8 s[36:43], s[4:5], 0x48
	s_waitcnt lgkmcnt(0)
	s_load_dwordx4 s[28:31], s[36:37], 0x0
	s_load_dwordx16 s[12:27], s[4:5], 0x8
	s_waitcnt lgkmcnt(0)
	v_cmp_eq_f64_e64 s0, s[28:29], 1.0
	v_cmp_eq_f64_e64 s9, s[30:31], 0
	s_load_dwordx4 s[44:47], s[14:15], 0x0
	s_and_b32 s0, s0, s9
	s_andn2_b32 vcc_lo, exec_lo, s0
	s_mov_b32 s0, -1
	s_cbranch_vccnz .LBB268_3
; %bb.1:
	s_cmp_lg_u64 s[12:13], 0
	s_cbranch_scc0 .LBB268_31
; %bb.2:
	s_waitcnt lgkmcnt(0)
	v_cmp_neq_f64_e64 s0, s[44:45], 0
	v_cmp_neq_f64_e64 s1, s[46:47], 0
	s_or_b32 s0, s0, s1
.LBB268_3:
	s_and_b32 vcc_lo, exec_lo, s0
	s_cbranch_vccz .LBB268_32
; %bb.4:
	s_waitcnt lgkmcnt(0)
	v_cmp_eq_f64_e64 s0, s[44:45], 0
	v_cmp_eq_f64_e64 s1, s[46:47], 0
	s_load_dword s4, s[4:5], 0x0
	v_cmp_lt_i64_e64 s2, s[12:13], 1
	v_mov_b32_e32 v20, 0
	v_mov_b32_e32 v22, 0
	;; [unrolled: 1-line block ×16, first 2 shown]
	s_lshl_b32 s5, s6, 5
	s_lshl_b32 s6, s7, 5
	s_and_b32 s0, s0, s1
	s_or_b32 s0, s0, s2
	s_and_b32 vcc_lo, exec_lo, s0
	s_cbranch_vccnz .LBB268_15
; %bb.5:
	v_lshl_add_u32 v5, v1, 4, v0
	s_mul_i32 s1, s27, s8
	s_mul_hi_u32 s2, s26, s8
	s_mul_i32 s0, s26, s8
	s_add_i32 s1, s2, s1
	v_and_b32_e32 v6, 31, v5
	s_lshl_b64 s[0:1], s[0:1], 4
	s_mul_i32 s2, s21, s8
	s_add_u32 s3, s22, s0
	s_addc_u32 s7, s23, s1
	v_or_b32_e32 v7, s5, v6
	s_mul_hi_u32 s1, s20, s8
	s_mul_i32 s0, s20, s8
	s_add_i32 s1, s1, s2
	v_lshrrev_b32_e32 v9, 3, v5
	v_mul_lo_u32 v8, s19, v7
	v_mad_u64_u32 v[2:3], null, s18, v7, 0
	s_lshl_b64 s[0:1], s[0:1], 4
	v_add_nc_u32_e32 v4, s6, v9
	s_add_u32 s2, s16, s0
	s_addc_u32 s1, s17, s1
	s_ashr_i32 s0, s5, 31
	v_and_b32_e32 v24, 7, v0
	s_mul_i32 s0, s18, s0
	v_lshrrev_b32_e32 v25, 5, v5
	v_add3_u32 v3, v3, s0, v8
	v_lshlrev_b32_e32 v6, 4, v6
	v_ashrrev_i32_e32 v5, 31, v4
	v_lshlrev_b32_e32 v8, 4, v24
	s_waitcnt lgkmcnt(0)
	v_cmp_gt_i32_e64 s0, s4, v7
	v_lshlrev_b64 v[2:3], 4, v[2:3]
	v_lshl_or_b32 v26, v25, 9, v6
	v_lshlrev_b64 v[5:6], 4, v[4:5]
	v_lshl_or_b32 v7, v9, 7, v8
	v_mov_b32_e32 v8, 0
	v_mov_b32_e32 v10, 0
	v_add_co_u32 v27, vcc_lo, s2, v2
	v_add_co_ci_u32_e64 v28, null, s1, v3, vcc_lo
	v_cmp_gt_i32_e32 vcc_lo, s4, v4
	v_add_co_u32 v30, s1, s3, v5
	v_mov_b32_e32 v12, 0
	v_mov_b32_e32 v14, 0
	;; [unrolled: 1-line block ×6, first 2 shown]
	v_add_nc_u32_e32 v29, 0x1000, v7
	v_add_co_ci_u32_e64 v31, null, s7, v6, s1
	v_lshlrev_b32_e32 v32, 4, v0
	v_lshl_add_u32 v33, v1, 7, 0x1000
	v_mov_b32_e32 v9, 0
	v_mov_b32_e32 v11, 0
	;; [unrolled: 1-line block ×9, first 2 shown]
	s_mov_b64 s[2:3], 0
	s_xor_b32 s1, vcc_lo, -1
	s_branch .LBB268_7
.LBB268_6:                              ;   in Loop: Header=BB268_7 Depth=1
	s_or_b32 exec_lo, exec_lo, s7
	s_waitcnt lgkmcnt(0)
	s_barrier
	buffer_gl0_inv
	ds_read_b128 v[4:7], v33
	ds_read_b128 v[34:37], v32
	ds_read_b128 v[38:41], v32 offset:256
	ds_read_b128 v[42:45], v33 offset:2048
	;; [unrolled: 1-line block ×12, first 2 shown]
	s_add_u32 s2, s2, 8
	s_addc_u32 s3, s3, 0
	v_cmp_gt_i64_e64 s7, s[12:13], s[2:3]
	s_and_b32 vcc_lo, exec_lo, s7
	s_waitcnt lgkmcnt(12)
	v_mul_f64 v[86:87], v[6:7], v[36:37]
	v_mul_f64 v[88:89], v[4:5], v[36:37]
	s_waitcnt lgkmcnt(11)
	v_mul_f64 v[90:91], v[6:7], v[40:41]
	v_mul_f64 v[92:93], v[4:5], v[40:41]
	;; [unrolled: 3-line block ×3, first 2 shown]
	v_mul_f64 v[96:97], v[44:45], v[40:41]
	v_mul_f64 v[40:41], v[42:43], v[40:41]
	s_waitcnt lgkmcnt(8)
	v_mul_f64 v[98:99], v[48:49], v[52:53]
	v_mul_f64 v[100:101], v[46:47], v[52:53]
	s_waitcnt lgkmcnt(7)
	;; [unrolled: 3-line block ×3, first 2 shown]
	v_mul_f64 v[106:107], v[60:61], v[52:53]
	v_mul_f64 v[52:53], v[58:59], v[52:53]
	;; [unrolled: 1-line block ×4, first 2 shown]
	s_waitcnt lgkmcnt(3)
	v_mul_f64 v[112:113], v[72:73], v[64:65]
	v_mul_f64 v[116:117], v[70:71], v[64:65]
	;; [unrolled: 1-line block ×4, first 2 shown]
	s_waitcnt lgkmcnt(1)
	v_mul_f64 v[122:123], v[80:81], v[64:65]
	v_mul_f64 v[64:65], v[78:79], v[64:65]
	v_fma_f64 v[86:87], v[4:5], v[34:35], -v[86:87]
	v_fma_f64 v[88:89], v[6:7], v[34:35], v[88:89]
	v_fma_f64 v[90:91], v[4:5], v[38:39], -v[90:91]
	v_fma_f64 v[92:93], v[6:7], v[38:39], v[92:93]
	;; [unrolled: 2-line block ×8, first 2 shown]
	ds_read_b128 v[4:7], v32 offset:1536
	ds_read_b128 v[34:37], v32 offset:1792
	;; [unrolled: 1-line block ×6, first 2 shown]
	v_add_f64 v[54:55], v[20:21], v[86:87]
	v_add_f64 v[22:23], v[88:89], v[22:23]
	;; [unrolled: 1-line block ×3, first 2 shown]
	v_mul_f64 v[86:87], v[80:81], v[68:69]
	v_mul_f64 v[68:69], v[78:79], v[68:69]
	v_add_f64 v[88:89], v[92:93], v[18:19]
	v_add_f64 v[92:93], v[14:15], v[94:95]
	;; [unrolled: 1-line block ×5, first 2 shown]
	v_fma_f64 v[90:91], v[70:71], v[62:63], -v[112:113]
	v_fma_f64 v[94:95], v[72:73], v[62:63], v[116:117]
	v_fma_f64 v[70:71], v[70:71], v[66:67], -v[118:119]
	v_fma_f64 v[72:73], v[72:73], v[66:67], v[120:121]
	s_waitcnt lgkmcnt(5)
	v_mul_f64 v[108:109], v[76:77], v[6:7]
	v_mul_f64 v[110:111], v[74:75], v[6:7]
	v_fma_f64 v[112:113], v[78:79], v[62:63], -v[122:123]
	v_fma_f64 v[62:63], v[80:81], v[62:63], v[64:65]
	s_waitcnt lgkmcnt(4)
	v_mul_f64 v[64:65], v[76:77], v[36:37]
	v_mul_f64 v[116:117], v[74:75], v[36:37]
	ds_read_b128 v[14:17], v32 offset:2560
	ds_read_b128 v[18:21], v32 offset:2816
	v_add_f64 v[98:99], v[54:55], v[98:99]
	v_add_f64 v[22:23], v[100:101], v[22:23]
	;; [unrolled: 1-line block ×3, first 2 shown]
	v_mul_f64 v[102:103], v[84:85], v[6:7]
	v_mul_f64 v[6:7], v[82:83], v[6:7]
	v_add_f64 v[88:89], v[104:105], v[88:89]
	v_add_f64 v[92:93], v[92:93], v[106:107]
	v_fma_f64 v[78:79], v[78:79], v[66:67], -v[86:87]
	v_fma_f64 v[66:67], v[80:81], v[66:67], v[68:69]
	v_mul_f64 v[68:69], v[84:85], v[36:37]
	v_mul_f64 v[36:37], v[82:83], v[36:37]
	v_add_f64 v[12:13], v[124:125], v[12:13]
	v_add_f64 v[58:59], v[96:97], v[58:59]
	v_add_f64 v[60:61], v[60:61], v[114:115]
	ds_read_b128 v[8:11], v33 offset:2112
	ds_read_b128 v[54:57], v33 offset:2128
	s_waitcnt lgkmcnt(5)
	v_mul_f64 v[80:81], v[48:49], v[40:41]
	v_mul_f64 v[86:87], v[46:47], v[40:41]
	;; [unrolled: 1-line block ×4, first 2 shown]
	v_fma_f64 v[106:107], v[74:75], v[4:5], -v[108:109]
	v_fma_f64 v[108:109], v[76:77], v[4:5], v[110:111]
	v_fma_f64 v[64:65], v[74:75], v[34:35], -v[64:65]
	v_fma_f64 v[74:75], v[76:77], v[34:35], v[116:117]
	v_add_f64 v[90:91], v[98:99], v[90:91]
	v_add_f64 v[22:23], v[94:95], v[22:23]
	v_add_f64 v[70:71], v[100:101], v[70:71]
	v_fma_f64 v[94:95], v[82:83], v[4:5], -v[102:103]
	v_add_f64 v[72:73], v[72:73], v[88:89]
	v_add_f64 v[88:89], v[92:93], v[112:113]
	v_fma_f64 v[4:5], v[84:85], v[4:5], v[6:7]
	s_waitcnt lgkmcnt(3)
	v_mul_f64 v[98:99], v[52:53], v[16:17]
	v_fma_f64 v[6:7], v[82:83], v[34:35], -v[68:69]
	v_fma_f64 v[68:69], v[84:85], v[34:35], v[36:37]
	s_waitcnt lgkmcnt(1)
	v_mul_f64 v[76:77], v[10:11], v[40:41]
	v_mul_f64 v[40:41], v[8:9], v[40:41]
	;; [unrolled: 1-line block ×4, first 2 shown]
	v_add_f64 v[12:13], v[62:63], v[12:13]
	v_add_f64 v[58:59], v[58:59], v[78:79]
	;; [unrolled: 1-line block ×3, first 2 shown]
	v_mul_f64 v[100:101], v[50:51], v[16:17]
	v_mul_f64 v[62:63], v[52:53], v[20:21]
	v_fma_f64 v[78:79], v[46:47], v[38:39], -v[80:81]
	v_fma_f64 v[80:81], v[48:49], v[38:39], v[86:87]
	v_fma_f64 v[46:47], v[46:47], v[42:43], -v[104:105]
	v_fma_f64 v[48:49], v[48:49], v[42:43], v[96:97]
	v_add_f64 v[66:67], v[90:91], v[106:107]
	v_add_f64 v[82:83], v[108:109], v[22:23]
	;; [unrolled: 1-line block ×5, first 2 shown]
	s_waitcnt lgkmcnt(0)
	v_mul_f64 v[84:85], v[56:57], v[16:17]
	v_mul_f64 v[16:17], v[54:55], v[16:17]
	;; [unrolled: 1-line block ×4, first 2 shown]
	v_fma_f64 v[70:71], v[8:9], v[38:39], -v[76:77]
	v_mul_f64 v[76:77], v[50:51], v[20:21]
	v_fma_f64 v[90:91], v[10:11], v[38:39], v[40:41]
	v_fma_f64 v[8:9], v[8:9], v[42:43], -v[92:93]
	v_add_f64 v[12:13], v[4:5], v[12:13]
	v_add_f64 v[58:59], v[58:59], v[6:7]
	v_fma_f64 v[42:43], v[10:11], v[42:43], v[44:45]
	v_add_f64 v[44:45], v[68:69], v[60:61]
	ds_read_b128 v[4:7], v33 offset:96
	ds_read_b128 v[20:23], v32 offset:3072
	;; [unrolled: 1-line block ×4, first 2 shown]
	v_add_f64 v[60:61], v[66:67], v[78:79]
	v_add_f64 v[66:67], v[80:81], v[82:83]
	;; [unrolled: 1-line block ×3, first 2 shown]
	v_fma_f64 v[64:65], v[50:51], v[14:15], -v[98:99]
	v_add_f64 v[48:49], v[48:49], v[72:73]
	v_fma_f64 v[50:51], v[50:51], v[18:19], -v[62:63]
	v_fma_f64 v[62:63], v[54:55], v[14:15], -v[84:85]
	v_fma_f64 v[72:73], v[56:57], v[14:15], v[16:17]
	v_fma_f64 v[54:55], v[54:55], v[18:19], -v[86:87]
	v_add_f64 v[68:69], v[74:75], v[70:71]
	v_fma_f64 v[70:71], v[52:53], v[14:15], v[100:101]
	v_fma_f64 v[52:53], v[52:53], v[18:19], v[76:77]
	v_fma_f64 v[56:57], v[56:57], v[18:19], v[88:89]
	v_add_f64 v[74:75], v[90:91], v[12:13]
	v_add_f64 v[58:59], v[58:59], v[8:9]
	s_waitcnt lgkmcnt(2)
	v_mul_f64 v[76:77], v[6:7], v[22:23]
	v_mul_f64 v[78:79], v[4:5], v[22:23]
	s_waitcnt lgkmcnt(1)
	v_mul_f64 v[80:81], v[6:7], v[36:37]
	v_mul_f64 v[82:83], v[4:5], v[36:37]
	;; [unrolled: 3-line block ×3, first 2 shown]
	v_mul_f64 v[86:87], v[40:41], v[36:37]
	v_add_f64 v[88:89], v[42:43], v[44:45]
	v_mul_f64 v[36:37], v[38:39], v[36:37]
	ds_read_b128 v[8:11], v33 offset:112
	ds_read_b128 v[12:15], v33 offset:2160
	;; [unrolled: 1-line block ×4, first 2 shown]
	v_add_f64 v[60:61], v[60:61], v[64:65]
	v_add_f64 v[46:47], v[46:47], v[50:51]
	s_waitcnt lgkmcnt(0)
	s_barrier
	v_add_f64 v[50:51], v[68:69], v[62:63]
	v_add_f64 v[64:65], v[70:71], v[66:67]
	v_add_f64 v[48:49], v[52:53], v[48:49]
	buffer_gl0_inv
	v_add_f64 v[52:53], v[72:73], v[74:75]
	v_add_f64 v[54:55], v[58:59], v[54:55]
	v_fma_f64 v[58:59], v[4:5], v[20:21], -v[76:77]
	v_fma_f64 v[62:63], v[6:7], v[20:21], v[78:79]
	v_fma_f64 v[4:5], v[4:5], v[34:35], -v[80:81]
	v_fma_f64 v[6:7], v[6:7], v[34:35], v[82:83]
	;; [unrolled: 2-line block ×3, first 2 shown]
	v_fma_f64 v[22:23], v[38:39], v[34:35], -v[86:87]
	v_add_f64 v[38:39], v[56:57], v[88:89]
	v_fma_f64 v[34:35], v[40:41], v[34:35], v[36:37]
	v_mul_f64 v[36:37], v[10:11], v[18:19]
	v_mul_f64 v[40:41], v[8:9], v[18:19]
	;; [unrolled: 1-line block ×8, first 2 shown]
	v_add_f64 v[58:59], v[60:61], v[58:59]
	v_add_f64 v[60:61], v[62:63], v[64:65]
	;; [unrolled: 1-line block ×8, first 2 shown]
	v_fma_f64 v[20:21], v[8:9], v[16:17], -v[36:37]
	v_fma_f64 v[22:23], v[10:11], v[16:17], v[40:41]
	v_fma_f64 v[8:9], v[8:9], v[42:43], -v[56:57]
	v_fma_f64 v[10:11], v[10:11], v[42:43], v[68:69]
	;; [unrolled: 2-line block ×4, first 2 shown]
	v_add_f64 v[20:21], v[58:59], v[20:21]
	v_add_f64 v[22:23], v[22:23], v[60:61]
	v_add_f64 v[16:17], v[4:5], v[8:9]
	v_add_f64 v[18:19], v[10:11], v[6:7]
	v_add_f64 v[14:15], v[46:47], v[36:37]
	v_add_f64 v[12:13], v[38:39], v[48:49]
	v_add_f64 v[10:11], v[50:51], v[40:41]
	v_add_f64 v[8:9], v[42:43], v[34:35]
	s_cbranch_vccz .LBB268_15
.LBB268_7:                              ; =>This Inner Loop Header: Depth=1
	v_mov_b32_e32 v4, 0
	v_mov_b32_e32 v6, 0
	;; [unrolled: 1-line block ×4, first 2 shown]
	s_and_saveexec_b32 s7, s0
	s_cbranch_execz .LBB268_11
; %bb.8:                                ;   in Loop: Header=BB268_7 Depth=1
	v_mov_b32_e32 v6, 0
	v_mov_b32_e32 v4, 0
	v_add_nc_u32_e32 v2, s2, v25
	v_mov_b32_e32 v7, 0
	v_mov_b32_e32 v5, 0
	s_mov_b32 s10, exec_lo
	v_cmpx_gt_u64_e64 s[12:13], v[2:3]
	s_cbranch_execz .LBB268_10
; %bb.9:                                ;   in Loop: Header=BB268_7 Depth=1
	v_lshlrev_b64 v[4:5], 4, v[2:3]
	v_add_co_u32 v4, vcc_lo, v27, v4
	v_add_co_ci_u32_e64 v5, null, v28, v5, vcc_lo
	global_load_dwordx4 v[4:7], v[4:5], off
	s_waitcnt vmcnt(0)
	v_xor_b32_e32 v7, 0x80000000, v7
.LBB268_10:                             ;   in Loop: Header=BB268_7 Depth=1
	s_or_b32 exec_lo, exec_lo, s10
.LBB268_11:                             ;   in Loop: Header=BB268_7 Depth=1
	s_or_b32 exec_lo, exec_lo, s7
	v_add_nc_u32_e32 v2, s2, v24
	ds_write_b128 v26, v[4:7]
	v_cmp_le_u64_e32 vcc_lo, s[12:13], v[2:3]
	s_or_b32 s7, vcc_lo, s1
	s_and_saveexec_b32 s10, s7
	s_xor_b32 s7, exec_lo, s10
	s_cbranch_execz .LBB268_13
; %bb.12:                               ;   in Loop: Header=BB268_7 Depth=1
	v_mov_b32_e32 v2, v3
	v_mov_b32_e32 v4, v3
	v_mov_b32_e32 v5, v3
	ds_write_b128 v29, v[2:5]
.LBB268_13:                             ;   in Loop: Header=BB268_7 Depth=1
	s_andn2_saveexec_b32 s7, s7
	s_cbranch_execz .LBB268_6
; %bb.14:                               ;   in Loop: Header=BB268_7 Depth=1
	v_mad_u64_u32 v[4:5], null, s24, v2, 0
	v_mad_u64_u32 v[5:6], null, s25, v2, v[5:6]
	v_lshlrev_b64 v[4:5], 4, v[4:5]
	v_add_co_u32 v4, vcc_lo, v30, v4
	v_add_co_ci_u32_e64 v5, null, v31, v5, vcc_lo
	global_load_dwordx4 v[4:7], v[4:5], off
	s_waitcnt vmcnt(0)
	ds_write2_b64 v29, v[4:5], v[6:7] offset1:1
	s_branch .LBB268_6
.LBB268_15:
	v_add_nc_u32_e32 v25, s6, v1
	v_cmp_neq_f64_e64 s2, s[28:29], 0
	s_mul_i32 s1, s43, s8
	s_mul_hi_u32 s3, s42, s8
	s_mul_i32 s0, s42, s8
	v_ashrrev_i32_e32 v3, 31, v25
	v_mul_lo_u32 v5, s41, v25
	v_mad_u64_u32 v[1:2], null, s40, v25, 0
	s_add_i32 s1, s3, s1
	v_mul_lo_u32 v3, s40, v3
	v_add_nc_u32_e32 v4, s5, v0
	s_lshl_b64 s[6:7], s[0:1], 4
	s_add_u32 s3, s38, s6
	s_addc_u32 s5, s39, s7
	s_xor_b32 s6, s9, -1
	v_cmp_le_i32_e32 vcc_lo, v25, v4
	v_add3_u32 v2, v2, v3, v5
	s_waitcnt lgkmcnt(0)
	v_cmp_gt_i32_e64 s0, s4, v4
	v_ashrrev_i32_e32 v5, 31, v4
	s_or_b32 s2, s2, s6
	v_lshlrev_b64 v[0:1], 4, v[1:2]
	v_cndmask_b32_e64 v24, 0, 1, s2
	s_and_b32 s6, vcc_lo, s0
	v_add_co_u32 v26, s1, s3, v0
	v_add_co_ci_u32_e64 v27, null, s5, v1, s1
	s_and_saveexec_b32 s1, s6
	s_cbranch_execz .LBB268_19
; %bb.16:
	v_mul_f64 v[0:1], s[46:47], v[22:23]
	v_mul_f64 v[2:3], s[44:45], v[22:23]
	v_lshlrev_b64 v[6:7], 4, v[4:5]
	v_add_co_u32 v6, vcc_lo, v26, v6
	v_add_co_ci_u32_e64 v7, null, v27, v7, vcc_lo
	s_andn2_b32 vcc_lo, exec_lo, s2
	v_fma_f64 v[0:1], s[44:45], v[20:21], -v[0:1]
	v_fma_f64 v[2:3], s[46:47], v[20:21], v[2:3]
	s_cbranch_vccnz .LBB268_18
; %bb.17:
	global_load_dwordx4 v[20:23], v[6:7], off
	s_waitcnt vmcnt(0)
	v_mul_f64 v[28:29], s[30:31], v[22:23]
	v_mul_f64 v[22:23], s[28:29], v[22:23]
	v_fma_f64 v[28:29], s[28:29], v[20:21], -v[28:29]
	v_fma_f64 v[20:21], s[30:31], v[20:21], v[22:23]
	v_add_f64 v[0:1], v[0:1], v[28:29]
	v_add_f64 v[2:3], v[2:3], v[20:21]
.LBB268_18:
	global_store_dwordx4 v[6:7], v[0:3], off
.LBB268_19:
	s_or_b32 exec_lo, exec_lo, s1
	v_add_nc_u32_e32 v6, 16, v4
	v_cmp_le_i32_e32 vcc_lo, v25, v6
	v_cmp_gt_i32_e64 s1, s4, v6
	v_ashrrev_i32_e32 v7, 31, v6
	s_and_b32 s2, vcc_lo, s1
	s_and_saveexec_b32 s4, s2
	s_cbranch_execz .LBB268_23
; %bb.20:
	v_mul_f64 v[0:1], s[46:47], v[18:19]
	v_mul_f64 v[2:3], s[44:45], v[18:19]
	v_cmp_ne_u32_e32 vcc_lo, 1, v24
	s_and_b32 vcc_lo, exec_lo, vcc_lo
	v_fma_f64 v[0:1], s[44:45], v[16:17], -v[0:1]
	v_fma_f64 v[2:3], s[46:47], v[16:17], v[2:3]
	v_lshlrev_b64 v[16:17], 4, v[6:7]
	v_add_co_u32 v16, s2, v26, v16
	v_add_co_ci_u32_e64 v17, null, v27, v17, s2
	s_cbranch_vccnz .LBB268_22
; %bb.21:
	global_load_dwordx4 v[18:21], v[16:17], off
	s_waitcnt vmcnt(0)
	v_mul_f64 v[22:23], s[30:31], v[20:21]
	v_mul_f64 v[20:21], s[28:29], v[20:21]
	v_fma_f64 v[22:23], s[28:29], v[18:19], -v[22:23]
	v_fma_f64 v[18:19], s[30:31], v[18:19], v[20:21]
	v_add_f64 v[0:1], v[0:1], v[22:23]
	v_add_f64 v[2:3], v[2:3], v[18:19]
.LBB268_22:
	global_store_dwordx4 v[16:17], v[0:3], off
.LBB268_23:
	s_or_b32 exec_lo, exec_lo, s4
	v_add_nc_u32_e32 v18, 16, v25
	v_ashrrev_i32_e32 v2, 31, v18
	v_mul_lo_u32 v3, s41, v18
	v_mad_u64_u32 v[0:1], null, s40, v18, 0
	v_cmp_le_i32_e32 vcc_lo, v18, v4
	v_mul_lo_u32 v2, s40, v2
	s_and_b32 s0, vcc_lo, s0
	v_add3_u32 v1, v1, v2, v3
	v_lshlrev_b64 v[0:1], 4, v[0:1]
	v_add_co_u32 v16, s2, s3, v0
	v_add_co_ci_u32_e64 v17, null, s5, v1, s2
	s_and_saveexec_b32 s2, s0
	s_cbranch_execz .LBB268_27
; %bb.24:
	v_mul_f64 v[0:1], s[46:47], v[12:13]
	v_mul_f64 v[2:3], s[44:45], v[12:13]
	v_lshlrev_b64 v[4:5], 4, v[4:5]
	v_cmp_ne_u32_e32 vcc_lo, 1, v24
	s_and_b32 vcc_lo, exec_lo, vcc_lo
	v_add_co_u32 v4, s0, v16, v4
	v_add_co_ci_u32_e64 v5, null, v17, v5, s0
	v_fma_f64 v[0:1], s[44:45], v[14:15], -v[0:1]
	v_fma_f64 v[2:3], s[46:47], v[14:15], v[2:3]
	s_cbranch_vccnz .LBB268_26
; %bb.25:
	global_load_dwordx4 v[12:15], v[4:5], off
	s_waitcnt vmcnt(0)
	v_mul_f64 v[19:20], s[30:31], v[14:15]
	v_mul_f64 v[14:15], s[28:29], v[14:15]
	v_fma_f64 v[19:20], s[28:29], v[12:13], -v[19:20]
	v_fma_f64 v[12:13], s[30:31], v[12:13], v[14:15]
	v_add_f64 v[0:1], v[0:1], v[19:20]
	v_add_f64 v[2:3], v[2:3], v[12:13]
.LBB268_26:
	global_store_dwordx4 v[4:5], v[0:3], off
.LBB268_27:
	s_or_b32 exec_lo, exec_lo, s2
	v_cmp_le_i32_e32 vcc_lo, v18, v6
	s_and_b32 s0, vcc_lo, s1
	s_and_saveexec_b32 s1, s0
	s_cbranch_execz .LBB268_32
; %bb.28:
	v_mul_f64 v[0:1], s[46:47], v[8:9]
	v_mul_f64 v[2:3], s[44:45], v[8:9]
	v_lshlrev_b64 v[4:5], 4, v[6:7]
	v_cmp_ne_u32_e32 vcc_lo, 1, v24
	s_and_b32 vcc_lo, exec_lo, vcc_lo
	v_add_co_u32 v4, s0, v16, v4
	v_add_co_ci_u32_e64 v5, null, v17, v5, s0
	v_fma_f64 v[0:1], s[44:45], v[10:11], -v[0:1]
	v_fma_f64 v[2:3], s[46:47], v[10:11], v[2:3]
	s_cbranch_vccnz .LBB268_30
; %bb.29:
	global_load_dwordx4 v[6:9], v[4:5], off
	s_waitcnt vmcnt(0)
	v_mul_f64 v[10:11], s[30:31], v[8:9]
	v_mul_f64 v[8:9], s[28:29], v[8:9]
	v_fma_f64 v[10:11], s[28:29], v[6:7], -v[10:11]
	v_fma_f64 v[6:7], s[30:31], v[6:7], v[8:9]
	v_add_f64 v[0:1], v[0:1], v[10:11]
	v_add_f64 v[2:3], v[2:3], v[6:7]
.LBB268_30:
	global_store_dwordx4 v[4:5], v[0:3], off
	s_endpgm
.LBB268_31:
.LBB268_32:
	s_endpgm
	.section	.rodata,"a",@progbits
	.p2align	6, 0x0
	.amdhsa_kernel _ZL29rocblas_internal_gemmt_kernelIlLi16ELi32ELi8ELc67ELc84ELc76ELb1ELb0E19rocblas_complex_numIdEPKS1_S3_PS1_EviT_T9_T10_S5_lS7_S5_lS6_T11_S5_li
		.amdhsa_group_segment_fixed_size 8192
		.amdhsa_private_segment_fixed_size 0
		.amdhsa_kernarg_size 108
		.amdhsa_user_sgpr_count 6
		.amdhsa_user_sgpr_private_segment_buffer 1
		.amdhsa_user_sgpr_dispatch_ptr 0
		.amdhsa_user_sgpr_queue_ptr 0
		.amdhsa_user_sgpr_kernarg_segment_ptr 1
		.amdhsa_user_sgpr_dispatch_id 0
		.amdhsa_user_sgpr_flat_scratch_init 0
		.amdhsa_user_sgpr_private_segment_size 0
		.amdhsa_wavefront_size32 1
		.amdhsa_uses_dynamic_stack 0
		.amdhsa_system_sgpr_private_segment_wavefront_offset 0
		.amdhsa_system_sgpr_workgroup_id_x 1
		.amdhsa_system_sgpr_workgroup_id_y 1
		.amdhsa_system_sgpr_workgroup_id_z 1
		.amdhsa_system_sgpr_workgroup_info 0
		.amdhsa_system_vgpr_workitem_id 1
		.amdhsa_next_free_vgpr 126
		.amdhsa_next_free_sgpr 48
		.amdhsa_reserve_vcc 1
		.amdhsa_reserve_flat_scratch 0
		.amdhsa_float_round_mode_32 0
		.amdhsa_float_round_mode_16_64 0
		.amdhsa_float_denorm_mode_32 3
		.amdhsa_float_denorm_mode_16_64 3
		.amdhsa_dx10_clamp 1
		.amdhsa_ieee_mode 1
		.amdhsa_fp16_overflow 0
		.amdhsa_workgroup_processor_mode 1
		.amdhsa_memory_ordered 1
		.amdhsa_forward_progress 1
		.amdhsa_shared_vgpr_count 0
		.amdhsa_exception_fp_ieee_invalid_op 0
		.amdhsa_exception_fp_denorm_src 0
		.amdhsa_exception_fp_ieee_div_zero 0
		.amdhsa_exception_fp_ieee_overflow 0
		.amdhsa_exception_fp_ieee_underflow 0
		.amdhsa_exception_fp_ieee_inexact 0
		.amdhsa_exception_int_div_zero 0
	.end_amdhsa_kernel
	.section	.text._ZL29rocblas_internal_gemmt_kernelIlLi16ELi32ELi8ELc67ELc84ELc76ELb1ELb0E19rocblas_complex_numIdEPKS1_S3_PS1_EviT_T9_T10_S5_lS7_S5_lS6_T11_S5_li,"axG",@progbits,_ZL29rocblas_internal_gemmt_kernelIlLi16ELi32ELi8ELc67ELc84ELc76ELb1ELb0E19rocblas_complex_numIdEPKS1_S3_PS1_EviT_T9_T10_S5_lS7_S5_lS6_T11_S5_li,comdat
.Lfunc_end268:
	.size	_ZL29rocblas_internal_gemmt_kernelIlLi16ELi32ELi8ELc67ELc84ELc76ELb1ELb0E19rocblas_complex_numIdEPKS1_S3_PS1_EviT_T9_T10_S5_lS7_S5_lS6_T11_S5_li, .Lfunc_end268-_ZL29rocblas_internal_gemmt_kernelIlLi16ELi32ELi8ELc67ELc84ELc76ELb1ELb0E19rocblas_complex_numIdEPKS1_S3_PS1_EviT_T9_T10_S5_lS7_S5_lS6_T11_S5_li
                                        ; -- End function
	.set _ZL29rocblas_internal_gemmt_kernelIlLi16ELi32ELi8ELc67ELc84ELc76ELb1ELb0E19rocblas_complex_numIdEPKS1_S3_PS1_EviT_T9_T10_S5_lS7_S5_lS6_T11_S5_li.num_vgpr, 126
	.set _ZL29rocblas_internal_gemmt_kernelIlLi16ELi32ELi8ELc67ELc84ELc76ELb1ELb0E19rocblas_complex_numIdEPKS1_S3_PS1_EviT_T9_T10_S5_lS7_S5_lS6_T11_S5_li.num_agpr, 0
	.set _ZL29rocblas_internal_gemmt_kernelIlLi16ELi32ELi8ELc67ELc84ELc76ELb1ELb0E19rocblas_complex_numIdEPKS1_S3_PS1_EviT_T9_T10_S5_lS7_S5_lS6_T11_S5_li.numbered_sgpr, 48
	.set _ZL29rocblas_internal_gemmt_kernelIlLi16ELi32ELi8ELc67ELc84ELc76ELb1ELb0E19rocblas_complex_numIdEPKS1_S3_PS1_EviT_T9_T10_S5_lS7_S5_lS6_T11_S5_li.num_named_barrier, 0
	.set _ZL29rocblas_internal_gemmt_kernelIlLi16ELi32ELi8ELc67ELc84ELc76ELb1ELb0E19rocblas_complex_numIdEPKS1_S3_PS1_EviT_T9_T10_S5_lS7_S5_lS6_T11_S5_li.private_seg_size, 0
	.set _ZL29rocblas_internal_gemmt_kernelIlLi16ELi32ELi8ELc67ELc84ELc76ELb1ELb0E19rocblas_complex_numIdEPKS1_S3_PS1_EviT_T9_T10_S5_lS7_S5_lS6_T11_S5_li.uses_vcc, 1
	.set _ZL29rocblas_internal_gemmt_kernelIlLi16ELi32ELi8ELc67ELc84ELc76ELb1ELb0E19rocblas_complex_numIdEPKS1_S3_PS1_EviT_T9_T10_S5_lS7_S5_lS6_T11_S5_li.uses_flat_scratch, 0
	.set _ZL29rocblas_internal_gemmt_kernelIlLi16ELi32ELi8ELc67ELc84ELc76ELb1ELb0E19rocblas_complex_numIdEPKS1_S3_PS1_EviT_T9_T10_S5_lS7_S5_lS6_T11_S5_li.has_dyn_sized_stack, 0
	.set _ZL29rocblas_internal_gemmt_kernelIlLi16ELi32ELi8ELc67ELc84ELc76ELb1ELb0E19rocblas_complex_numIdEPKS1_S3_PS1_EviT_T9_T10_S5_lS7_S5_lS6_T11_S5_li.has_recursion, 0
	.set _ZL29rocblas_internal_gemmt_kernelIlLi16ELi32ELi8ELc67ELc84ELc76ELb1ELb0E19rocblas_complex_numIdEPKS1_S3_PS1_EviT_T9_T10_S5_lS7_S5_lS6_T11_S5_li.has_indirect_call, 0
	.section	.AMDGPU.csdata,"",@progbits
; Kernel info:
; codeLenInByte = 3548
; TotalNumSgprs: 50
; NumVgprs: 126
; ScratchSize: 0
; MemoryBound: 1
; FloatMode: 240
; IeeeMode: 1
; LDSByteSize: 8192 bytes/workgroup (compile time only)
; SGPRBlocks: 0
; VGPRBlocks: 15
; NumSGPRsForWavesPerEU: 50
; NumVGPRsForWavesPerEU: 126
; Occupancy: 8
; WaveLimiterHint : 0
; COMPUTE_PGM_RSRC2:SCRATCH_EN: 0
; COMPUTE_PGM_RSRC2:USER_SGPR: 6
; COMPUTE_PGM_RSRC2:TRAP_HANDLER: 0
; COMPUTE_PGM_RSRC2:TGID_X_EN: 1
; COMPUTE_PGM_RSRC2:TGID_Y_EN: 1
; COMPUTE_PGM_RSRC2:TGID_Z_EN: 1
; COMPUTE_PGM_RSRC2:TIDIG_COMP_CNT: 1
	.section	.text._ZL29rocblas_internal_gemmt_kernelIlLi16ELi32ELi8ELc67ELc67ELc76ELb1ELb1E19rocblas_complex_numIdEPKS1_S3_PS1_EviT_T9_T10_S5_lS7_S5_lS6_T11_S5_li,"axG",@progbits,_ZL29rocblas_internal_gemmt_kernelIlLi16ELi32ELi8ELc67ELc67ELc76ELb1ELb1E19rocblas_complex_numIdEPKS1_S3_PS1_EviT_T9_T10_S5_lS7_S5_lS6_T11_S5_li,comdat
	.globl	_ZL29rocblas_internal_gemmt_kernelIlLi16ELi32ELi8ELc67ELc67ELc76ELb1ELb1E19rocblas_complex_numIdEPKS1_S3_PS1_EviT_T9_T10_S5_lS7_S5_lS6_T11_S5_li ; -- Begin function _ZL29rocblas_internal_gemmt_kernelIlLi16ELi32ELi8ELc67ELc67ELc76ELb1ELb1E19rocblas_complex_numIdEPKS1_S3_PS1_EviT_T9_T10_S5_lS7_S5_lS6_T11_S5_li
	.p2align	8
	.type	_ZL29rocblas_internal_gemmt_kernelIlLi16ELi32ELi8ELc67ELc67ELc76ELb1ELb1E19rocblas_complex_numIdEPKS1_S3_PS1_EviT_T9_T10_S5_lS7_S5_lS6_T11_S5_li,@function
_ZL29rocblas_internal_gemmt_kernelIlLi16ELi32ELi8ELc67ELc67ELc76ELb1ELb1E19rocblas_complex_numIdEPKS1_S3_PS1_EviT_T9_T10_S5_lS7_S5_lS6_T11_S5_li: ; @_ZL29rocblas_internal_gemmt_kernelIlLi16ELi32ELi8ELc67ELc67ELc76ELb1ELb1E19rocblas_complex_numIdEPKS1_S3_PS1_EviT_T9_T10_S5_lS7_S5_lS6_T11_S5_li
; %bb.0:
	s_load_dwordx8 s[36:43], s[4:5], 0x48
	s_waitcnt lgkmcnt(0)
	s_load_dwordx4 s[28:31], s[36:37], 0x0
	s_load_dwordx16 s[12:27], s[4:5], 0x8
	s_waitcnt lgkmcnt(0)
	v_cmp_eq_f64_e64 s0, s[28:29], 1.0
	v_cmp_eq_f64_e64 s9, s[30:31], 0
	s_load_dwordx4 s[44:47], s[14:15], 0x0
	s_and_b32 s0, s0, s9
	s_andn2_b32 vcc_lo, exec_lo, s0
	s_mov_b32 s0, -1
	s_cbranch_vccnz .LBB269_3
; %bb.1:
	s_cmp_lg_u64 s[12:13], 0
	s_cbranch_scc0 .LBB269_29
; %bb.2:
	s_waitcnt lgkmcnt(0)
	v_cmp_neq_f64_e64 s0, s[44:45], 0
	v_cmp_neq_f64_e64 s1, s[46:47], 0
	s_or_b32 s0, s0, s1
.LBB269_3:
	s_and_b32 vcc_lo, exec_lo, s0
	s_cbranch_vccz .LBB269_30
; %bb.4:
	s_waitcnt lgkmcnt(0)
	v_cmp_eq_f64_e64 s0, s[44:45], 0
	v_cmp_eq_f64_e64 s1, s[46:47], 0
	s_load_dword s4, s[4:5], 0x0
	v_cmp_lt_i64_e64 s2, s[12:13], 1
	v_mov_b32_e32 v24, 0
	v_mov_b32_e32 v26, 0
	;; [unrolled: 1-line block ×16, first 2 shown]
	s_lshl_b32 s5, s6, 5
	s_lshl_b32 s6, s7, 5
	s_and_b32 s0, s0, s1
	s_or_b32 s0, s0, s2
	s_and_b32 vcc_lo, exec_lo, s0
	s_cbranch_vccnz .LBB269_13
; %bb.5:
	v_lshl_add_u32 v5, v1, 4, v0
	s_mul_i32 s1, s27, s8
	s_mul_hi_u32 s2, s26, s8
	s_mul_i32 s0, s26, s8
	s_add_i32 s1, s2, s1
	v_and_b32_e32 v6, 31, v5
	s_lshl_b64 s[0:1], s[0:1], 4
	s_mul_i32 s2, s21, s8
	s_add_u32 s3, s22, s0
	s_addc_u32 s7, s23, s1
	v_or_b32_e32 v7, s5, v6
	s_mul_hi_u32 s1, s20, s8
	s_mul_i32 s0, s20, s8
	s_add_i32 s1, s1, s2
	v_lshrrev_b32_e32 v9, 3, v5
	v_mul_lo_u32 v8, s19, v7
	v_mad_u64_u32 v[2:3], null, s18, v7, 0
	s_lshl_b64 s[0:1], s[0:1], 4
	v_add_nc_u32_e32 v4, s6, v9
	s_add_u32 s2, s16, s0
	s_addc_u32 s1, s17, s1
	s_ashr_i32 s0, s5, 31
	v_and_b32_e32 v28, 7, v0
	s_mul_i32 s0, s18, s0
	v_lshrrev_b32_e32 v29, 5, v5
	v_add3_u32 v3, v3, s0, v8
	v_lshlrev_b32_e32 v6, 4, v6
	v_ashrrev_i32_e32 v5, 31, v4
	v_lshlrev_b32_e32 v8, 4, v28
	s_waitcnt lgkmcnt(0)
	v_cmp_gt_i32_e64 s0, s4, v7
	v_lshlrev_b64 v[2:3], 4, v[2:3]
	v_lshl_or_b32 v30, v29, 9, v6
	v_lshlrev_b64 v[5:6], 4, v[4:5]
	v_lshl_or_b32 v7, v9, 7, v8
	v_mov_b32_e32 v12, 0
	v_mov_b32_e32 v14, 0
	v_add_co_u32 v31, vcc_lo, s2, v2
	v_add_co_ci_u32_e64 v32, null, s1, v3, vcc_lo
	v_add_co_u32 v34, vcc_lo, s3, v5
	v_mov_b32_e32 v18, 0
	v_mov_b32_e32 v16, 0
	;; [unrolled: 1-line block ×6, first 2 shown]
	v_cmp_gt_i32_e64 s1, s4, v4
	v_add_nc_u32_e32 v33, 0x1000, v7
	v_add_co_ci_u32_e64 v35, null, s7, v6, vcc_lo
	v_lshlrev_b32_e32 v36, 4, v0
	v_lshl_add_u32 v37, v1, 7, 0x1000
	v_mov_b32_e32 v13, 0
	v_mov_b32_e32 v15, 0
	;; [unrolled: 1-line block ×9, first 2 shown]
	s_mov_b64 s[2:3], 0
	s_branch .LBB269_7
.LBB269_6:                              ;   in Loop: Header=BB269_7 Depth=1
	s_or_b32 exec_lo, exec_lo, s7
	ds_write_b128 v33, v[6:9]
	s_waitcnt lgkmcnt(0)
	s_barrier
	buffer_gl0_inv
	ds_read_b128 v[2:5], v37
	ds_read_b128 v[6:9], v36
	ds_read_b128 v[38:41], v36 offset:256
	ds_read_b128 v[42:45], v37 offset:2048
	;; [unrolled: 1-line block ×11, first 2 shown]
	s_add_u32 s2, s2, 8
	s_addc_u32 s3, s3, 0
	v_cmp_gt_i64_e64 s7, s[12:13], s[2:3]
	s_waitcnt lgkmcnt(11)
	v_mul_f64 v[82:83], v[4:5], v[8:9]
	v_mul_f64 v[84:85], v[2:3], v[8:9]
	s_waitcnt lgkmcnt(10)
	v_mul_f64 v[86:87], v[4:5], v[40:41]
	v_mul_f64 v[88:89], v[2:3], v[40:41]
	;; [unrolled: 3-line block ×3, first 2 shown]
	v_mul_f64 v[92:93], v[44:45], v[40:41]
	v_mul_f64 v[40:41], v[42:43], v[40:41]
	s_waitcnt lgkmcnt(7)
	v_mul_f64 v[94:95], v[48:49], v[52:53]
	v_mul_f64 v[96:97], v[46:47], v[52:53]
	s_waitcnt lgkmcnt(6)
	v_mul_f64 v[98:99], v[48:49], v[56:57]
	s_waitcnt lgkmcnt(5)
	v_mul_f64 v[102:103], v[60:61], v[52:53]
	v_mul_f64 v[52:53], v[58:59], v[52:53]
	;; [unrolled: 1-line block ×5, first 2 shown]
	s_waitcnt lgkmcnt(3)
	v_mul_f64 v[106:107], v[68:69], v[64:65]
	v_mul_f64 v[108:109], v[66:67], v[64:65]
	s_and_b32 vcc_lo, exec_lo, s7
	v_fma_f64 v[82:83], v[2:3], v[6:7], -v[82:83]
	v_fma_f64 v[84:85], v[4:5], v[6:7], v[84:85]
	v_fma_f64 v[86:87], v[2:3], v[38:39], -v[86:87]
	v_fma_f64 v[88:89], v[4:5], v[38:39], v[88:89]
	;; [unrolled: 2-line block ×3, first 2 shown]
	v_fma_f64 v[92:93], v[42:43], v[38:39], -v[92:93]
	ds_read_b128 v[2:5], v36 offset:1536
	s_waitcnt lgkmcnt(3)
	v_mul_f64 v[110:111], v[68:69], v[72:73]
	v_mul_f64 v[112:113], v[66:67], v[72:73]
	v_fma_f64 v[116:117], v[44:45], v[38:39], v[40:41]
	v_fma_f64 v[94:95], v[46:47], v[50:51], -v[94:95]
	v_fma_f64 v[96:97], v[48:49], v[50:51], v[96:97]
	v_fma_f64 v[46:47], v[46:47], v[54:55], -v[98:99]
	s_waitcnt lgkmcnt(2)
	v_mul_f64 v[42:43], v[76:77], v[64:65]
	v_fma_f64 v[98:99], v[58:59], v[50:51], -v[102:103]
	v_fma_f64 v[50:51], v[60:61], v[50:51], v[52:53]
	v_mul_f64 v[44:45], v[74:75], v[64:65]
	v_mul_f64 v[52:53], v[76:77], v[72:73]
	;; [unrolled: 1-line block ×3, first 2 shown]
	v_fma_f64 v[48:49], v[48:49], v[54:55], v[100:101]
	v_fma_f64 v[58:59], v[58:59], v[54:55], -v[104:105]
	v_fma_f64 v[54:55], v[60:61], v[54:55], v[56:57]
	v_fma_f64 v[56:57], v[66:67], v[62:63], -v[106:107]
	v_fma_f64 v[60:61], v[68:69], v[62:63], v[108:109]
	v_add_f64 v[82:83], v[24:25], v[82:83]
	v_add_f64 v[84:85], v[84:85], v[26:27]
	;; [unrolled: 1-line block ×5, first 2 shown]
	v_fma_f64 v[66:67], v[66:67], v[70:71], -v[110:111]
	v_fma_f64 v[68:69], v[68:69], v[70:71], v[112:113]
	v_add_f64 v[104:105], v[114:115], v[18:19]
	ds_read_b128 v[6:9], v36 offset:1792
	ds_read_b128 v[38:41], v37 offset:2096
	s_waitcnt lgkmcnt(2)
	v_mul_f64 v[72:73], v[80:81], v[4:5]
	v_mul_f64 v[100:101], v[78:79], v[4:5]
	v_fma_f64 v[108:109], v[74:75], v[62:63], -v[42:43]
	ds_read_b128 v[16:19], v37 offset:64
	v_fma_f64 v[62:63], v[76:77], v[62:63], v[44:45]
	v_fma_f64 v[74:75], v[74:75], v[70:71], -v[52:53]
	v_fma_f64 v[64:65], v[76:77], v[70:71], v[64:65]
	v_add_f64 v[52:53], v[14:15], v[92:93]
	v_add_f64 v[70:71], v[116:117], v[12:13]
	ds_read_b128 v[20:23], v36 offset:2048
	ds_read_b128 v[24:27], v36 offset:2304
	;; [unrolled: 1-line block ×4, first 2 shown]
	v_add_f64 v[82:83], v[82:83], v[94:95]
	v_add_f64 v[84:85], v[96:97], v[84:85]
	;; [unrolled: 1-line block ×5, first 2 shown]
	s_waitcnt lgkmcnt(6)
	v_mul_f64 v[102:103], v[80:81], v[8:9]
	v_mul_f64 v[106:107], v[78:79], v[8:9]
	s_waitcnt lgkmcnt(5)
	v_mul_f64 v[110:111], v[40:41], v[4:5]
	v_mul_f64 v[4:5], v[38:39], v[4:5]
	v_add_f64 v[50:51], v[50:51], v[104:105]
	v_mul_f64 v[92:93], v[40:41], v[8:9]
	v_mul_f64 v[8:9], v[38:39], v[8:9]
	v_fma_f64 v[72:73], v[78:79], v[2:3], -v[72:73]
	v_fma_f64 v[76:77], v[80:81], v[2:3], v[100:101]
	ds_read_b128 v[46:49], v37 offset:2128
	s_waitcnt lgkmcnt(4)
	v_mul_f64 v[98:99], v[18:19], v[22:23]
	v_mul_f64 v[100:101], v[16:17], v[22:23]
	v_add_f64 v[58:59], v[52:53], v[58:59]
	v_add_f64 v[54:55], v[54:55], v[70:71]
	s_waitcnt lgkmcnt(3)
	v_mul_f64 v[104:105], v[16:17], v[26:27]
	s_waitcnt lgkmcnt(2)
	v_mul_f64 v[70:71], v[44:45], v[22:23]
	v_mul_f64 v[22:23], v[42:43], v[22:23]
	v_add_f64 v[56:57], v[82:83], v[56:57]
	v_add_f64 v[60:61], v[60:61], v[84:85]
	;; [unrolled: 1-line block ×5, first 2 shown]
	v_fma_f64 v[78:79], v[78:79], v[6:7], -v[102:103]
	v_fma_f64 v[80:81], v[80:81], v[6:7], v[106:107]
	v_fma_f64 v[94:95], v[38:39], v[2:3], -v[110:111]
	v_fma_f64 v[96:97], v[40:41], v[2:3], v[4:5]
	v_mul_f64 v[102:103], v[18:19], v[26:27]
	v_add_f64 v[62:63], v[62:63], v[50:51]
	v_mul_f64 v[84:85], v[44:45], v[26:27]
	v_mul_f64 v[26:27], v[42:43], v[26:27]
	v_fma_f64 v[38:39], v[38:39], v[6:7], -v[92:93]
	v_fma_f64 v[40:41], v[40:41], v[6:7], v[8:9]
	ds_read_b128 v[2:5], v37 offset:80
	ds_read_b128 v[50:53], v36 offset:2816
	v_add_f64 v[58:59], v[58:59], v[74:75]
	v_add_f64 v[54:55], v[64:65], v[54:55]
	v_fma_f64 v[88:89], v[16:17], v[20:21], -v[98:99]
	v_fma_f64 v[90:91], v[18:19], v[20:21], v[100:101]
	v_fma_f64 v[98:99], v[18:19], v[24:25], v[104:105]
	v_fma_f64 v[64:65], v[42:43], v[20:21], -v[70:71]
	v_add_f64 v[56:57], v[56:57], v[72:73]
	v_add_f64 v[60:61], v[76:77], v[60:61]
	v_fma_f64 v[70:71], v[44:45], v[20:21], v[22:23]
	v_add_f64 v[66:67], v[66:67], v[78:79]
	v_add_f64 v[68:69], v[80:81], v[68:69]
	;; [unrolled: 1-line block ×3, first 2 shown]
	s_waitcnt lgkmcnt(2)
	v_mul_f64 v[80:81], v[48:49], v[14:15]
	v_fma_f64 v[92:93], v[16:17], v[24:25], -v[102:103]
	v_add_f64 v[62:63], v[96:97], v[62:63]
	v_fma_f64 v[42:43], v[42:43], v[24:25], -v[84:85]
	v_fma_f64 v[44:45], v[44:45], v[24:25], v[26:27]
	s_waitcnt lgkmcnt(1)
	v_mul_f64 v[86:87], v[4:5], v[14:15]
	v_mul_f64 v[74:75], v[2:3], v[14:15]
	s_waitcnt lgkmcnt(0)
	v_mul_f64 v[76:77], v[4:5], v[52:53]
	v_mul_f64 v[78:79], v[2:3], v[52:53]
	;; [unrolled: 1-line block ×5, first 2 shown]
	v_add_f64 v[38:39], v[58:59], v[38:39]
	v_add_f64 v[40:41], v[40:41], v[54:55]
	ds_read_b128 v[6:9], v37 offset:96
	ds_read_b128 v[16:19], v36 offset:3072
	;; [unrolled: 1-line block ×4, first 2 shown]
	v_add_f64 v[54:55], v[56:57], v[88:89]
	v_add_f64 v[56:57], v[90:91], v[60:61]
	;; [unrolled: 1-line block ×3, first 2 shown]
	v_fma_f64 v[80:81], v[46:47], v[12:13], -v[80:81]
	v_add_f64 v[60:61], v[66:67], v[92:93]
	v_add_f64 v[66:67], v[98:99], v[68:69]
	;; [unrolled: 1-line block ×3, first 2 shown]
	v_fma_f64 v[58:59], v[2:3], v[12:13], -v[86:87]
	v_fma_f64 v[68:69], v[4:5], v[12:13], v[74:75]
	v_fma_f64 v[70:71], v[2:3], v[50:51], -v[76:77]
	v_fma_f64 v[72:73], v[4:5], v[50:51], v[78:79]
	ds_read_b128 v[2:5], v37 offset:112
	v_fma_f64 v[86:87], v[48:49], v[12:13], v[14:15]
	s_waitcnt lgkmcnt(3)
	v_mul_f64 v[74:75], v[8:9], v[18:19]
	v_mul_f64 v[76:77], v[6:7], v[18:19]
	s_waitcnt lgkmcnt(2)
	v_mul_f64 v[78:79], v[8:9], v[22:23]
	v_mul_f64 v[84:85], v[6:7], v[22:23]
	v_fma_f64 v[46:47], v[46:47], v[50:51], -v[82:83]
	v_fma_f64 v[48:49], v[48:49], v[50:51], v[52:53]
	v_add_f64 v[50:51], v[38:39], v[42:43]
	v_add_f64 v[52:53], v[44:45], v[40:41]
	s_waitcnt lgkmcnt(1)
	v_mul_f64 v[82:83], v[26:27], v[18:19]
	v_mul_f64 v[18:19], v[24:25], v[18:19]
	;; [unrolled: 1-line block ×4, first 2 shown]
	ds_read_b128 v[12:15], v37 offset:2160
	ds_read_b128 v[38:41], v36 offset:3584
	ds_read_b128 v[42:45], v36 offset:3840
	v_add_f64 v[64:65], v[64:65], v[80:81]
	s_waitcnt lgkmcnt(0)
	v_add_f64 v[54:55], v[54:55], v[58:59]
	v_add_f64 v[56:57], v[68:69], v[56:57]
	;; [unrolled: 1-line block ×4, first 2 shown]
	s_barrier
	v_add_f64 v[62:63], v[86:87], v[62:63]
	v_fma_f64 v[58:59], v[6:7], v[16:17], -v[74:75]
	v_fma_f64 v[68:69], v[8:9], v[16:17], v[76:77]
	v_fma_f64 v[6:7], v[6:7], v[20:21], -v[78:79]
	v_fma_f64 v[8:9], v[8:9], v[20:21], v[84:85]
	buffer_gl0_inv
	v_add_f64 v[46:47], v[50:51], v[46:47]
	v_add_f64 v[48:49], v[48:49], v[52:53]
	v_fma_f64 v[50:51], v[24:25], v[16:17], -v[82:83]
	v_fma_f64 v[16:17], v[26:27], v[16:17], v[18:19]
	v_fma_f64 v[18:19], v[24:25], v[20:21], -v[88:89]
	v_fma_f64 v[20:21], v[26:27], v[20:21], v[22:23]
	v_mul_f64 v[22:23], v[4:5], v[40:41]
	v_mul_f64 v[24:25], v[2:3], v[40:41]
	;; [unrolled: 1-line block ×8, first 2 shown]
	v_add_f64 v[54:55], v[54:55], v[58:59]
	v_add_f64 v[56:57], v[68:69], v[56:57]
	;; [unrolled: 1-line block ×8, first 2 shown]
	v_fma_f64 v[16:17], v[2:3], v[38:39], -v[22:23]
	v_fma_f64 v[18:19], v[4:5], v[38:39], v[24:25]
	v_fma_f64 v[2:3], v[2:3], v[42:43], -v[26:27]
	v_fma_f64 v[4:5], v[4:5], v[42:43], v[52:53]
	;; [unrolled: 2-line block ×4, first 2 shown]
	v_add_f64 v[24:25], v[54:55], v[16:17]
	v_add_f64 v[26:27], v[18:19], v[56:57]
	;; [unrolled: 1-line block ×8, first 2 shown]
	s_cbranch_vccz .LBB269_13
.LBB269_7:                              ; =>This Inner Loop Header: Depth=1
	v_mov_b32_e32 v2, 0
	v_mov_b32_e32 v4, 0
	;; [unrolled: 1-line block ×4, first 2 shown]
	s_and_saveexec_b32 s7, s0
	s_cbranch_execz .LBB269_11
; %bb.8:                                ;   in Loop: Header=BB269_7 Depth=1
	v_mov_b32_e32 v4, 0
	v_mov_b32_e32 v2, 0
	v_add_nc_u32_e32 v10, s2, v29
	v_mov_b32_e32 v5, 0
	v_mov_b32_e32 v3, 0
	s_mov_b32 s10, exec_lo
	v_cmpx_gt_u64_e64 s[12:13], v[10:11]
	s_cbranch_execz .LBB269_10
; %bb.9:                                ;   in Loop: Header=BB269_7 Depth=1
	v_lshlrev_b64 v[2:3], 4, v[10:11]
	v_add_co_u32 v2, vcc_lo, v31, v2
	v_add_co_ci_u32_e64 v3, null, v32, v3, vcc_lo
	global_load_dwordx4 v[2:5], v[2:3], off
	s_waitcnt vmcnt(0)
	v_xor_b32_e32 v5, 0x80000000, v5
.LBB269_10:                             ;   in Loop: Header=BB269_7 Depth=1
	s_or_b32 exec_lo, exec_lo, s10
.LBB269_11:                             ;   in Loop: Header=BB269_7 Depth=1
	s_or_b32 exec_lo, exec_lo, s7
	v_add_nc_u32_e32 v10, s2, v28
	v_mov_b32_e32 v6, 0
	v_mov_b32_e32 v8, 0
	;; [unrolled: 1-line block ×4, first 2 shown]
	v_cmp_gt_u64_e32 vcc_lo, s[12:13], v[10:11]
	ds_write_b128 v30, v[2:5]
	s_and_b32 s10, vcc_lo, s1
	s_and_saveexec_b32 s7, s10
	s_cbranch_execz .LBB269_6
; %bb.12:                               ;   in Loop: Header=BB269_7 Depth=1
	v_mad_u64_u32 v[2:3], null, s24, v10, 0
	v_mad_u64_u32 v[3:4], null, s25, v10, v[3:4]
	v_lshlrev_b64 v[2:3], 4, v[2:3]
	v_add_co_u32 v2, vcc_lo, v34, v2
	v_add_co_ci_u32_e64 v3, null, v35, v3, vcc_lo
	global_load_dwordx4 v[6:9], v[2:3], off
	s_waitcnt vmcnt(0)
	v_xor_b32_e32 v9, 0x80000000, v9
	s_branch .LBB269_6
.LBB269_13:
	v_add_nc_u32_e32 v11, s6, v1
	v_cmp_neq_f64_e64 s2, s[28:29], 0
	s_mul_i32 s1, s43, s8
	s_mul_hi_u32 s3, s42, s8
	s_mul_i32 s0, s42, s8
	v_ashrrev_i32_e32 v3, 31, v11
	v_mul_lo_u32 v5, s41, v11
	v_mad_u64_u32 v[1:2], null, s40, v11, 0
	s_add_i32 s1, s3, s1
	v_mul_lo_u32 v3, s40, v3
	v_add_nc_u32_e32 v4, s5, v0
	s_lshl_b64 s[6:7], s[0:1], 4
	s_add_u32 s3, s38, s6
	s_addc_u32 s5, s39, s7
	s_xor_b32 s6, s9, -1
	v_cmp_le_i32_e32 vcc_lo, v11, v4
	v_add3_u32 v2, v2, v3, v5
	s_waitcnt lgkmcnt(0)
	v_cmp_gt_i32_e64 s0, s4, v4
	v_ashrrev_i32_e32 v5, 31, v4
	s_or_b32 s2, s2, s6
	v_lshlrev_b64 v[0:1], 4, v[1:2]
	v_cndmask_b32_e64 v10, 0, 1, s2
	s_and_b32 s6, vcc_lo, s0
	v_add_co_u32 v8, s1, s3, v0
	v_add_co_ci_u32_e64 v9, null, s5, v1, s1
	s_and_saveexec_b32 s1, s6
	s_cbranch_execz .LBB269_17
; %bb.14:
	v_mul_f64 v[0:1], s[46:47], v[26:27]
	v_mul_f64 v[2:3], s[44:45], v[26:27]
	v_lshlrev_b64 v[6:7], 4, v[4:5]
	v_add_co_u32 v6, vcc_lo, v8, v6
	v_add_co_ci_u32_e64 v7, null, v9, v7, vcc_lo
	s_andn2_b32 vcc_lo, exec_lo, s2
	v_fma_f64 v[0:1], s[44:45], v[24:25], -v[0:1]
	v_fma_f64 v[2:3], s[46:47], v[24:25], v[2:3]
	s_cbranch_vccnz .LBB269_16
; %bb.15:
	global_load_dwordx4 v[24:27], v[6:7], off
	s_waitcnt vmcnt(0)
	v_mul_f64 v[28:29], s[30:31], v[26:27]
	v_mul_f64 v[26:27], s[28:29], v[26:27]
	v_fma_f64 v[28:29], s[28:29], v[24:25], -v[28:29]
	v_fma_f64 v[24:25], s[30:31], v[24:25], v[26:27]
	v_add_f64 v[0:1], v[0:1], v[28:29]
	v_add_f64 v[2:3], v[2:3], v[24:25]
.LBB269_16:
	global_store_dwordx4 v[6:7], v[0:3], off
.LBB269_17:
	s_or_b32 exec_lo, exec_lo, s1
	v_add_nc_u32_e32 v6, 16, v4
	v_cmp_le_i32_e32 vcc_lo, v11, v6
	v_cmp_gt_i32_e64 s1, s4, v6
	v_ashrrev_i32_e32 v7, 31, v6
	s_and_b32 s2, vcc_lo, s1
	s_and_saveexec_b32 s4, s2
	s_cbranch_execz .LBB269_21
; %bb.18:
	v_mul_f64 v[0:1], s[46:47], v[22:23]
	v_mul_f64 v[2:3], s[44:45], v[22:23]
	v_cmp_ne_u32_e32 vcc_lo, 1, v10
	s_and_b32 vcc_lo, exec_lo, vcc_lo
	v_fma_f64 v[0:1], s[44:45], v[20:21], -v[0:1]
	v_fma_f64 v[2:3], s[46:47], v[20:21], v[2:3]
	v_lshlrev_b64 v[20:21], 4, v[6:7]
	v_add_co_u32 v8, s2, v8, v20
	v_add_co_ci_u32_e64 v9, null, v9, v21, s2
	s_cbranch_vccnz .LBB269_20
; %bb.19:
	global_load_dwordx4 v[20:23], v[8:9], off
	s_waitcnt vmcnt(0)
	v_mul_f64 v[24:25], s[30:31], v[22:23]
	v_mul_f64 v[22:23], s[28:29], v[22:23]
	v_fma_f64 v[24:25], s[28:29], v[20:21], -v[24:25]
	v_fma_f64 v[20:21], s[30:31], v[20:21], v[22:23]
	v_add_f64 v[0:1], v[0:1], v[24:25]
	v_add_f64 v[2:3], v[2:3], v[20:21]
.LBB269_20:
	global_store_dwordx4 v[8:9], v[0:3], off
.LBB269_21:
	s_or_b32 exec_lo, exec_lo, s4
	v_add_nc_u32_e32 v11, 16, v11
	v_ashrrev_i32_e32 v2, 31, v11
	v_mul_lo_u32 v3, s41, v11
	v_mad_u64_u32 v[0:1], null, s40, v11, 0
	v_cmp_le_i32_e32 vcc_lo, v11, v4
	v_mul_lo_u32 v2, s40, v2
	s_and_b32 s0, vcc_lo, s0
	v_add3_u32 v1, v1, v2, v3
	v_lshlrev_b64 v[0:1], 4, v[0:1]
	v_add_co_u32 v8, s2, s3, v0
	v_add_co_ci_u32_e64 v9, null, s5, v1, s2
	s_and_saveexec_b32 s2, s0
	s_cbranch_execz .LBB269_25
; %bb.22:
	v_mul_f64 v[0:1], s[46:47], v[18:19]
	v_mul_f64 v[2:3], s[44:45], v[18:19]
	v_lshlrev_b64 v[4:5], 4, v[4:5]
	v_cmp_ne_u32_e32 vcc_lo, 1, v10
	s_and_b32 vcc_lo, exec_lo, vcc_lo
	v_add_co_u32 v4, s0, v8, v4
	v_add_co_ci_u32_e64 v5, null, v9, v5, s0
	v_fma_f64 v[0:1], s[44:45], v[16:17], -v[0:1]
	v_fma_f64 v[2:3], s[46:47], v[16:17], v[2:3]
	s_cbranch_vccnz .LBB269_24
; %bb.23:
	global_load_dwordx4 v[16:19], v[4:5], off
	s_waitcnt vmcnt(0)
	v_mul_f64 v[20:21], s[30:31], v[18:19]
	v_mul_f64 v[18:19], s[28:29], v[18:19]
	v_fma_f64 v[20:21], s[28:29], v[16:17], -v[20:21]
	v_fma_f64 v[16:17], s[30:31], v[16:17], v[18:19]
	v_add_f64 v[0:1], v[0:1], v[20:21]
	v_add_f64 v[2:3], v[2:3], v[16:17]
.LBB269_24:
	global_store_dwordx4 v[4:5], v[0:3], off
.LBB269_25:
	s_or_b32 exec_lo, exec_lo, s2
	v_cmp_le_i32_e32 vcc_lo, v11, v6
	s_and_b32 s0, vcc_lo, s1
	s_and_saveexec_b32 s1, s0
	s_cbranch_execz .LBB269_30
; %bb.26:
	v_mul_f64 v[0:1], s[46:47], v[12:13]
	v_mul_f64 v[2:3], s[44:45], v[12:13]
	v_lshlrev_b64 v[4:5], 4, v[6:7]
	v_cmp_ne_u32_e32 vcc_lo, 1, v10
	s_and_b32 vcc_lo, exec_lo, vcc_lo
	v_add_co_u32 v4, s0, v8, v4
	v_add_co_ci_u32_e64 v5, null, v9, v5, s0
	v_fma_f64 v[0:1], s[44:45], v[14:15], -v[0:1]
	v_fma_f64 v[2:3], s[46:47], v[14:15], v[2:3]
	s_cbranch_vccnz .LBB269_28
; %bb.27:
	global_load_dwordx4 v[6:9], v[4:5], off
	s_waitcnt vmcnt(0)
	v_mul_f64 v[10:11], s[30:31], v[8:9]
	v_mul_f64 v[8:9], s[28:29], v[8:9]
	v_fma_f64 v[10:11], s[28:29], v[6:7], -v[10:11]
	v_fma_f64 v[6:7], s[30:31], v[6:7], v[8:9]
	v_add_f64 v[0:1], v[0:1], v[10:11]
	v_add_f64 v[2:3], v[2:3], v[6:7]
.LBB269_28:
	global_store_dwordx4 v[4:5], v[0:3], off
	s_endpgm
.LBB269_29:
.LBB269_30:
	s_endpgm
	.section	.rodata,"a",@progbits
	.p2align	6, 0x0
	.amdhsa_kernel _ZL29rocblas_internal_gemmt_kernelIlLi16ELi32ELi8ELc67ELc67ELc76ELb1ELb1E19rocblas_complex_numIdEPKS1_S3_PS1_EviT_T9_T10_S5_lS7_S5_lS6_T11_S5_li
		.amdhsa_group_segment_fixed_size 8192
		.amdhsa_private_segment_fixed_size 0
		.amdhsa_kernarg_size 108
		.amdhsa_user_sgpr_count 6
		.amdhsa_user_sgpr_private_segment_buffer 1
		.amdhsa_user_sgpr_dispatch_ptr 0
		.amdhsa_user_sgpr_queue_ptr 0
		.amdhsa_user_sgpr_kernarg_segment_ptr 1
		.amdhsa_user_sgpr_dispatch_id 0
		.amdhsa_user_sgpr_flat_scratch_init 0
		.amdhsa_user_sgpr_private_segment_size 0
		.amdhsa_wavefront_size32 1
		.amdhsa_uses_dynamic_stack 0
		.amdhsa_system_sgpr_private_segment_wavefront_offset 0
		.amdhsa_system_sgpr_workgroup_id_x 1
		.amdhsa_system_sgpr_workgroup_id_y 1
		.amdhsa_system_sgpr_workgroup_id_z 1
		.amdhsa_system_sgpr_workgroup_info 0
		.amdhsa_system_vgpr_workitem_id 1
		.amdhsa_next_free_vgpr 118
		.amdhsa_next_free_sgpr 48
		.amdhsa_reserve_vcc 1
		.amdhsa_reserve_flat_scratch 0
		.amdhsa_float_round_mode_32 0
		.amdhsa_float_round_mode_16_64 0
		.amdhsa_float_denorm_mode_32 3
		.amdhsa_float_denorm_mode_16_64 3
		.amdhsa_dx10_clamp 1
		.amdhsa_ieee_mode 1
		.amdhsa_fp16_overflow 0
		.amdhsa_workgroup_processor_mode 1
		.amdhsa_memory_ordered 1
		.amdhsa_forward_progress 1
		.amdhsa_shared_vgpr_count 0
		.amdhsa_exception_fp_ieee_invalid_op 0
		.amdhsa_exception_fp_denorm_src 0
		.amdhsa_exception_fp_ieee_div_zero 0
		.amdhsa_exception_fp_ieee_overflow 0
		.amdhsa_exception_fp_ieee_underflow 0
		.amdhsa_exception_fp_ieee_inexact 0
		.amdhsa_exception_int_div_zero 0
	.end_amdhsa_kernel
	.section	.text._ZL29rocblas_internal_gemmt_kernelIlLi16ELi32ELi8ELc67ELc67ELc76ELb1ELb1E19rocblas_complex_numIdEPKS1_S3_PS1_EviT_T9_T10_S5_lS7_S5_lS6_T11_S5_li,"axG",@progbits,_ZL29rocblas_internal_gemmt_kernelIlLi16ELi32ELi8ELc67ELc67ELc76ELb1ELb1E19rocblas_complex_numIdEPKS1_S3_PS1_EviT_T9_T10_S5_lS7_S5_lS6_T11_S5_li,comdat
.Lfunc_end269:
	.size	_ZL29rocblas_internal_gemmt_kernelIlLi16ELi32ELi8ELc67ELc67ELc76ELb1ELb1E19rocblas_complex_numIdEPKS1_S3_PS1_EviT_T9_T10_S5_lS7_S5_lS6_T11_S5_li, .Lfunc_end269-_ZL29rocblas_internal_gemmt_kernelIlLi16ELi32ELi8ELc67ELc67ELc76ELb1ELb1E19rocblas_complex_numIdEPKS1_S3_PS1_EviT_T9_T10_S5_lS7_S5_lS6_T11_S5_li
                                        ; -- End function
	.set _ZL29rocblas_internal_gemmt_kernelIlLi16ELi32ELi8ELc67ELc67ELc76ELb1ELb1E19rocblas_complex_numIdEPKS1_S3_PS1_EviT_T9_T10_S5_lS7_S5_lS6_T11_S5_li.num_vgpr, 118
	.set _ZL29rocblas_internal_gemmt_kernelIlLi16ELi32ELi8ELc67ELc67ELc76ELb1ELb1E19rocblas_complex_numIdEPKS1_S3_PS1_EviT_T9_T10_S5_lS7_S5_lS6_T11_S5_li.num_agpr, 0
	.set _ZL29rocblas_internal_gemmt_kernelIlLi16ELi32ELi8ELc67ELc67ELc76ELb1ELb1E19rocblas_complex_numIdEPKS1_S3_PS1_EviT_T9_T10_S5_lS7_S5_lS6_T11_S5_li.numbered_sgpr, 48
	.set _ZL29rocblas_internal_gemmt_kernelIlLi16ELi32ELi8ELc67ELc67ELc76ELb1ELb1E19rocblas_complex_numIdEPKS1_S3_PS1_EviT_T9_T10_S5_lS7_S5_lS6_T11_S5_li.num_named_barrier, 0
	.set _ZL29rocblas_internal_gemmt_kernelIlLi16ELi32ELi8ELc67ELc67ELc76ELb1ELb1E19rocblas_complex_numIdEPKS1_S3_PS1_EviT_T9_T10_S5_lS7_S5_lS6_T11_S5_li.private_seg_size, 0
	.set _ZL29rocblas_internal_gemmt_kernelIlLi16ELi32ELi8ELc67ELc67ELc76ELb1ELb1E19rocblas_complex_numIdEPKS1_S3_PS1_EviT_T9_T10_S5_lS7_S5_lS6_T11_S5_li.uses_vcc, 1
	.set _ZL29rocblas_internal_gemmt_kernelIlLi16ELi32ELi8ELc67ELc67ELc76ELb1ELb1E19rocblas_complex_numIdEPKS1_S3_PS1_EviT_T9_T10_S5_lS7_S5_lS6_T11_S5_li.uses_flat_scratch, 0
	.set _ZL29rocblas_internal_gemmt_kernelIlLi16ELi32ELi8ELc67ELc67ELc76ELb1ELb1E19rocblas_complex_numIdEPKS1_S3_PS1_EviT_T9_T10_S5_lS7_S5_lS6_T11_S5_li.has_dyn_sized_stack, 0
	.set _ZL29rocblas_internal_gemmt_kernelIlLi16ELi32ELi8ELc67ELc67ELc76ELb1ELb1E19rocblas_complex_numIdEPKS1_S3_PS1_EviT_T9_T10_S5_lS7_S5_lS6_T11_S5_li.has_recursion, 0
	.set _ZL29rocblas_internal_gemmt_kernelIlLi16ELi32ELi8ELc67ELc67ELc76ELb1ELb1E19rocblas_complex_numIdEPKS1_S3_PS1_EviT_T9_T10_S5_lS7_S5_lS6_T11_S5_li.has_indirect_call, 0
	.section	.AMDGPU.csdata,"",@progbits
; Kernel info:
; codeLenInByte = 3556
; TotalNumSgprs: 50
; NumVgprs: 118
; ScratchSize: 0
; MemoryBound: 1
; FloatMode: 240
; IeeeMode: 1
; LDSByteSize: 8192 bytes/workgroup (compile time only)
; SGPRBlocks: 0
; VGPRBlocks: 14
; NumSGPRsForWavesPerEU: 50
; NumVGPRsForWavesPerEU: 118
; Occupancy: 8
; WaveLimiterHint : 0
; COMPUTE_PGM_RSRC2:SCRATCH_EN: 0
; COMPUTE_PGM_RSRC2:USER_SGPR: 6
; COMPUTE_PGM_RSRC2:TRAP_HANDLER: 0
; COMPUTE_PGM_RSRC2:TGID_X_EN: 1
; COMPUTE_PGM_RSRC2:TGID_Y_EN: 1
; COMPUTE_PGM_RSRC2:TGID_Z_EN: 1
; COMPUTE_PGM_RSRC2:TIDIG_COMP_CNT: 1
	.section	.text._ZL29rocblas_internal_gemmt_kernelIlLi16ELi32ELi8ELc78ELc78ELc85ELb0ELb0E19rocblas_complex_numIdES1_PKS1_PS1_EviT_T9_T10_S5_lS7_S5_lS6_T11_S5_li,"axG",@progbits,_ZL29rocblas_internal_gemmt_kernelIlLi16ELi32ELi8ELc78ELc78ELc85ELb0ELb0E19rocblas_complex_numIdES1_PKS1_PS1_EviT_T9_T10_S5_lS7_S5_lS6_T11_S5_li,comdat
	.globl	_ZL29rocblas_internal_gemmt_kernelIlLi16ELi32ELi8ELc78ELc78ELc85ELb0ELb0E19rocblas_complex_numIdES1_PKS1_PS1_EviT_T9_T10_S5_lS7_S5_lS6_T11_S5_li ; -- Begin function _ZL29rocblas_internal_gemmt_kernelIlLi16ELi32ELi8ELc78ELc78ELc85ELb0ELb0E19rocblas_complex_numIdES1_PKS1_PS1_EviT_T9_T10_S5_lS7_S5_lS6_T11_S5_li
	.p2align	8
	.type	_ZL29rocblas_internal_gemmt_kernelIlLi16ELi32ELi8ELc78ELc78ELc85ELb0ELb0E19rocblas_complex_numIdES1_PKS1_PS1_EviT_T9_T10_S5_lS7_S5_lS6_T11_S5_li,@function
_ZL29rocblas_internal_gemmt_kernelIlLi16ELi32ELi8ELc78ELc78ELc85ELb0ELb0E19rocblas_complex_numIdES1_PKS1_PS1_EviT_T9_T10_S5_lS7_S5_lS6_T11_S5_li: ; @_ZL29rocblas_internal_gemmt_kernelIlLi16ELi32ELi8ELc78ELc78ELc85ELb0ELb0E19rocblas_complex_numIdES1_PKS1_PS1_EviT_T9_T10_S5_lS7_S5_lS6_T11_S5_li
; %bb.0:
	s_clause 0x1
	s_load_dwordx8 s[36:43], s[4:5], 0x48
	s_load_dwordx16 s[12:27], s[4:5], 0x8
	s_waitcnt lgkmcnt(0)
	v_cmp_eq_f64_e64 s0, s[38:39], 1.0
	v_cmp_eq_f64_e64 s9, s[40:41], 0
	s_and_b32 s0, s0, s9
	s_andn2_b32 vcc_lo, exec_lo, s0
	s_mov_b32 s0, -1
	s_cbranch_vccnz .LBB270_3
; %bb.1:
	s_cmp_lg_u64 s[12:13], 0
	s_cbranch_scc0 .LBB270_33
; %bb.2:
	v_cmp_neq_f64_e64 s0, s[14:15], 0
	v_cmp_neq_f64_e64 s1, s[16:17], 0
	s_or_b32 s0, s0, s1
.LBB270_3:
	s_and_b32 vcc_lo, exec_lo, s0
	s_cbranch_vccz .LBB270_34
; %bb.4:
	v_cmp_eq_f64_e64 s0, s[14:15], 0
	v_cmp_eq_f64_e64 s1, s[16:17], 0
	s_clause 0x1
	s_load_dwordx4 s[28:31], s[4:5], 0x68
	s_load_dword s4, s[4:5], 0x0
	v_cmp_lt_i64_e64 s2, s[12:13], 1
	v_mov_b32_e32 v20, 0
	v_mov_b32_e32 v22, 0
	;; [unrolled: 1-line block ×16, first 2 shown]
	s_lshl_b32 s5, s6, 5
	s_lshl_b32 s6, s7, 5
	s_and_b32 s0, s0, s1
	s_or_b32 s0, s0, s2
	s_and_b32 vcc_lo, exec_lo, s0
	s_cbranch_vccnz .LBB270_17
; %bb.5:
	v_lshl_add_u32 v3, v1, 4, v0
	s_mul_i32 s1, s37, s8
	s_mul_hi_u32 s2, s36, s8
	s_mul_i32 s0, s36, s8
	s_add_i32 s1, s2, s1
	v_lshrrev_b32_e32 v8, 3, v3
	v_and_b32_e32 v6, 31, v3
	v_and_b32_e32 v24, 7, v0
	s_lshl_b64 s[0:1], s[0:1], 4
	v_lshrrev_b32_e32 v25, 5, v3
	v_add_nc_u32_e32 v9, s6, v8
	v_or_b32_e32 v2, s5, v6
	s_mul_i32 s3, s23, s8
	s_mul_hi_u32 s7, s22, s8
	s_add_u32 s10, s24, s0
	v_ashrrev_i32_e32 v4, 31, v9
	v_mul_lo_u32 v7, s27, v9
	v_ashrrev_i32_e32 v3, 31, v2
	s_mul_i32 s2, s22, s8
	s_addc_u32 s11, s25, s1
	v_mul_lo_u32 v10, s26, v4
	v_mad_u64_u32 v[4:5], null, s26, v9, 0
	s_add_i32 s3, s7, s3
	v_lshlrev_b32_e32 v12, 4, v24
	s_lshl_b64 s[0:1], s[2:3], 4
	v_lshlrev_b32_e32 v11, 4, v6
	s_add_u32 s2, s18, s0
	s_waitcnt lgkmcnt(0)
	v_cmp_gt_i32_e64 s0, s4, v2
	v_add3_u32 v5, v5, v10, v7
	v_lshlrev_b64 v[6:7], 4, v[2:3]
	v_cmp_le_i32_e64 s7, s4, v2
	v_lshl_or_b32 v8, v8, 7, v12
	s_addc_u32 s1, s19, s1
	v_lshlrev_b64 v[2:3], 4, v[4:5]
	v_lshl_or_b32 v26, v25, 9, v11
	v_add_co_u32 v27, vcc_lo, s2, v6
	v_add_co_ci_u32_e64 v28, null, s1, v7, vcc_lo
	v_cmp_gt_i32_e32 vcc_lo, s4, v9
	v_add_co_u32 v30, s1, s10, v2
	v_add_nc_u32_e32 v29, 0x1000, v8
	v_mov_b32_e32 v8, 0
	v_mov_b32_e32 v10, 0
	;; [unrolled: 1-line block ×8, first 2 shown]
	v_add_co_ci_u32_e64 v31, null, s11, v3, s1
	v_lshlrev_b32_e32 v32, 4, v0
	v_lshl_add_u32 v33, v1, 7, 0x1000
	v_mov_b32_e32 v9, 0
	v_mov_b32_e32 v11, 0
	;; [unrolled: 1-line block ×9, first 2 shown]
	s_mov_b64 s[2:3], 0
	s_xor_b32 s1, vcc_lo, -1
                                        ; implicit-def: $vgpr6_vgpr7
	s_branch .LBB270_7
.LBB270_6:                              ;   in Loop: Header=BB270_7 Depth=1
	s_or_b32 exec_lo, exec_lo, s10
	s_waitcnt lgkmcnt(0)
	s_barrier
	buffer_gl0_inv
	ds_read_b128 v[34:37], v33
	ds_read_b128 v[38:41], v33 offset:16
	ds_read_b128 v[42:45], v33 offset:32
	;; [unrolled: 1-line block ×3, first 2 shown]
	ds_read_b128 v[50:53], v32
	s_add_u32 s2, s2, 8
	s_addc_u32 s3, s3, 0
	v_cmp_gt_i64_e64 s10, s[12:13], s[2:3]
	s_and_b32 vcc_lo, exec_lo, s10
	s_waitcnt lgkmcnt(0)
	v_mul_f64 v[4:5], v[36:37], v[52:53]
	v_mul_f64 v[54:55], v[34:35], v[52:53]
	v_fma_f64 v[4:5], v[34:35], v[50:51], -v[4:5]
	v_fma_f64 v[54:55], v[36:37], v[50:51], v[54:55]
	v_add_f64 v[4:5], v[20:21], v[4:5]
	v_add_f64 v[54:55], v[54:55], v[22:23]
	ds_read_b128 v[20:23], v32 offset:256
	s_waitcnt lgkmcnt(0)
	v_mul_f64 v[56:57], v[36:37], v[22:23]
	v_fma_f64 v[56:57], v[34:35], v[20:21], -v[56:57]
	v_mul_f64 v[34:35], v[34:35], v[22:23]
	v_fma_f64 v[34:35], v[36:37], v[20:21], v[34:35]
	v_add_f64 v[36:37], v[16:17], v[56:57]
	v_add_f64 v[34:35], v[34:35], v[18:19]
	ds_read_b128 v[16:19], v33 offset:2048
	s_waitcnt lgkmcnt(0)
	v_mul_f64 v[56:57], v[18:19], v[52:53]
	v_mul_f64 v[52:53], v[16:17], v[52:53]
	v_fma_f64 v[56:57], v[16:17], v[50:51], -v[56:57]
	v_fma_f64 v[50:51], v[18:19], v[50:51], v[52:53]
	v_add_f64 v[52:53], v[12:13], v[56:57]
	v_add_f64 v[50:51], v[50:51], v[14:15]
	v_mul_f64 v[12:13], v[18:19], v[22:23]
	v_mul_f64 v[14:15], v[16:17], v[22:23]
	v_fma_f64 v[12:13], v[16:17], v[20:21], -v[12:13]
	v_fma_f64 v[14:15], v[18:19], v[20:21], v[14:15]
	v_add_f64 v[20:21], v[10:11], v[12:13]
	v_add_f64 v[22:23], v[14:15], v[8:9]
	ds_read_b128 v[8:11], v32 offset:512
	s_waitcnt lgkmcnt(0)
	v_mul_f64 v[12:13], v[40:41], v[10:11]
	v_mul_f64 v[14:15], v[38:39], v[10:11]
	v_fma_f64 v[12:13], v[38:39], v[8:9], -v[12:13]
	v_fma_f64 v[14:15], v[40:41], v[8:9], v[14:15]
	v_add_f64 v[4:5], v[4:5], v[12:13]
	v_add_f64 v[54:55], v[14:15], v[54:55]
	ds_read_b128 v[12:15], v32 offset:768
	s_waitcnt lgkmcnt(0)
	;; [unrolled: 8-line block ×3, first 2 shown]
	v_mul_f64 v[38:39], v[18:19], v[10:11]
	v_mul_f64 v[10:11], v[16:17], v[10:11]
	v_fma_f64 v[38:39], v[16:17], v[8:9], -v[38:39]
	v_fma_f64 v[8:9], v[18:19], v[8:9], v[10:11]
	v_mul_f64 v[10:11], v[16:17], v[14:15]
	v_add_f64 v[38:39], v[52:53], v[38:39]
	v_add_f64 v[40:41], v[8:9], v[50:51]
	v_mul_f64 v[8:9], v[18:19], v[14:15]
	v_fma_f64 v[10:11], v[18:19], v[12:13], v[10:11]
	v_fma_f64 v[8:9], v[16:17], v[12:13], -v[8:9]
	v_add_f64 v[22:23], v[10:11], v[22:23]
	v_add_f64 v[20:21], v[20:21], v[8:9]
	ds_read_b128 v[8:11], v32 offset:1024
	s_waitcnt lgkmcnt(0)
	v_mul_f64 v[12:13], v[44:45], v[10:11]
	v_mul_f64 v[14:15], v[42:43], v[10:11]
	v_fma_f64 v[12:13], v[42:43], v[8:9], -v[12:13]
	v_fma_f64 v[14:15], v[44:45], v[8:9], v[14:15]
	v_add_f64 v[4:5], v[4:5], v[12:13]
	v_add_f64 v[50:51], v[14:15], v[54:55]
	ds_read_b128 v[12:15], v32 offset:1280
	s_waitcnt lgkmcnt(0)
	v_mul_f64 v[16:17], v[44:45], v[14:15]
	v_mul_f64 v[18:19], v[42:43], v[14:15]
	v_fma_f64 v[16:17], v[42:43], v[12:13], -v[16:17]
	v_fma_f64 v[18:19], v[44:45], v[12:13], v[18:19]
	;; [unrolled: 8-line block ×3, first 2 shown]
	v_mul_f64 v[10:11], v[16:17], v[14:15]
	v_add_f64 v[38:39], v[38:39], v[42:43]
	v_add_f64 v[40:41], v[8:9], v[40:41]
	v_mul_f64 v[8:9], v[18:19], v[14:15]
	v_fma_f64 v[10:11], v[18:19], v[12:13], v[10:11]
	v_fma_f64 v[8:9], v[16:17], v[12:13], -v[8:9]
	v_add_f64 v[22:23], v[10:11], v[22:23]
	v_add_f64 v[20:21], v[20:21], v[8:9]
	ds_read_b128 v[8:11], v32 offset:1536
	s_waitcnt lgkmcnt(0)
	v_mul_f64 v[12:13], v[48:49], v[10:11]
	v_mul_f64 v[14:15], v[46:47], v[10:11]
	v_fma_f64 v[12:13], v[46:47], v[8:9], -v[12:13]
	v_fma_f64 v[14:15], v[48:49], v[8:9], v[14:15]
	v_add_f64 v[4:5], v[4:5], v[12:13]
	v_add_f64 v[42:43], v[14:15], v[50:51]
	ds_read_b128 v[12:15], v32 offset:1792
	s_waitcnt lgkmcnt(0)
	v_mul_f64 v[16:17], v[48:49], v[14:15]
	v_mul_f64 v[18:19], v[46:47], v[14:15]
	v_fma_f64 v[16:17], v[46:47], v[12:13], -v[16:17]
	v_fma_f64 v[18:19], v[48:49], v[12:13], v[18:19]
	;; [unrolled: 8-line block ×3, first 2 shown]
	v_mul_f64 v[10:11], v[16:17], v[14:15]
	v_add_f64 v[38:39], v[38:39], v[44:45]
	v_add_f64 v[40:41], v[8:9], v[40:41]
	v_mul_f64 v[8:9], v[18:19], v[14:15]
	v_fma_f64 v[10:11], v[18:19], v[12:13], v[10:11]
	v_fma_f64 v[8:9], v[16:17], v[12:13], -v[8:9]
	v_add_f64 v[22:23], v[10:11], v[22:23]
	v_add_f64 v[20:21], v[20:21], v[8:9]
	ds_read_b128 v[8:11], v33 offset:64
	ds_read_b128 v[12:15], v32 offset:2048
	s_waitcnt lgkmcnt(0)
	v_mul_f64 v[16:17], v[10:11], v[14:15]
	v_mul_f64 v[18:19], v[8:9], v[14:15]
	v_fma_f64 v[16:17], v[8:9], v[12:13], -v[16:17]
	v_fma_f64 v[18:19], v[10:11], v[12:13], v[18:19]
	v_add_f64 v[4:5], v[4:5], v[16:17]
	v_add_f64 v[42:43], v[18:19], v[42:43]
	ds_read_b128 v[16:19], v32 offset:2304
	s_waitcnt lgkmcnt(0)
	v_mul_f64 v[44:45], v[10:11], v[18:19]
	v_fma_f64 v[44:45], v[8:9], v[16:17], -v[44:45]
	v_mul_f64 v[8:9], v[8:9], v[18:19]
	v_add_f64 v[36:37], v[36:37], v[44:45]
	v_fma_f64 v[8:9], v[10:11], v[16:17], v[8:9]
	v_add_f64 v[34:35], v[8:9], v[34:35]
	ds_read_b128 v[8:11], v33 offset:2112
	s_waitcnt lgkmcnt(0)
	v_mul_f64 v[44:45], v[10:11], v[14:15]
	v_mul_f64 v[14:15], v[8:9], v[14:15]
	v_fma_f64 v[44:45], v[8:9], v[12:13], -v[44:45]
	v_fma_f64 v[12:13], v[10:11], v[12:13], v[14:15]
	v_add_f64 v[38:39], v[38:39], v[44:45]
	v_add_f64 v[40:41], v[12:13], v[40:41]
	v_mul_f64 v[12:13], v[10:11], v[18:19]
	v_fma_f64 v[12:13], v[8:9], v[16:17], -v[12:13]
	v_mul_f64 v[8:9], v[8:9], v[18:19]
	v_add_f64 v[20:21], v[20:21], v[12:13]
	v_fma_f64 v[8:9], v[10:11], v[16:17], v[8:9]
	v_add_f64 v[22:23], v[8:9], v[22:23]
	ds_read_b128 v[8:11], v33 offset:80
	ds_read_b128 v[12:15], v32 offset:2560
	s_waitcnt lgkmcnt(0)
	v_mul_f64 v[16:17], v[10:11], v[14:15]
	v_mul_f64 v[18:19], v[8:9], v[14:15]
	v_fma_f64 v[16:17], v[8:9], v[12:13], -v[16:17]
	v_fma_f64 v[18:19], v[10:11], v[12:13], v[18:19]
	v_add_f64 v[4:5], v[4:5], v[16:17]
	v_add_f64 v[42:43], v[18:19], v[42:43]
	ds_read_b128 v[16:19], v32 offset:2816
	s_waitcnt lgkmcnt(0)
	v_mul_f64 v[44:45], v[10:11], v[18:19]
	v_fma_f64 v[44:45], v[8:9], v[16:17], -v[44:45]
	v_mul_f64 v[8:9], v[8:9], v[18:19]
	v_add_f64 v[36:37], v[36:37], v[44:45]
	v_fma_f64 v[8:9], v[10:11], v[16:17], v[8:9]
	v_add_f64 v[34:35], v[8:9], v[34:35]
	ds_read_b128 v[8:11], v33 offset:2128
	s_waitcnt lgkmcnt(0)
	v_mul_f64 v[44:45], v[10:11], v[14:15]
	v_mul_f64 v[14:15], v[8:9], v[14:15]
	v_fma_f64 v[44:45], v[8:9], v[12:13], -v[44:45]
	v_fma_f64 v[12:13], v[10:11], v[12:13], v[14:15]
	v_add_f64 v[38:39], v[38:39], v[44:45]
	v_add_f64 v[40:41], v[12:13], v[40:41]
	v_mul_f64 v[12:13], v[10:11], v[18:19]
	v_fma_f64 v[12:13], v[8:9], v[16:17], -v[12:13]
	v_mul_f64 v[8:9], v[8:9], v[18:19]
	v_add_f64 v[20:21], v[20:21], v[12:13]
	v_fma_f64 v[8:9], v[10:11], v[16:17], v[8:9]
	;; [unrolled: 31-line block ×3, first 2 shown]
	v_add_f64 v[50:51], v[8:9], v[22:23]
	ds_read_b128 v[8:11], v33 offset:112
	ds_read_b128 v[12:15], v32 offset:3584
	;; [unrolled: 1-line block ×3, first 2 shown]
	s_waitcnt lgkmcnt(1)
	v_mul_f64 v[16:17], v[10:11], v[14:15]
	v_mul_f64 v[18:19], v[8:9], v[14:15]
	v_fma_f64 v[16:17], v[8:9], v[12:13], -v[16:17]
	v_fma_f64 v[18:19], v[10:11], v[12:13], v[18:19]
	v_add_f64 v[20:21], v[4:5], v[16:17]
	s_waitcnt lgkmcnt(0)
	v_mul_f64 v[4:5], v[10:11], v[36:37]
	v_add_f64 v[22:23], v[18:19], v[42:43]
	v_fma_f64 v[4:5], v[8:9], v[34:35], -v[4:5]
	v_mul_f64 v[8:9], v[8:9], v[36:37]
	v_add_f64 v[16:17], v[44:45], v[4:5]
	v_fma_f64 v[8:9], v[10:11], v[34:35], v[8:9]
	v_add_f64 v[18:19], v[8:9], v[46:47]
	ds_read_b128 v[8:11], v33 offset:2160
	s_waitcnt lgkmcnt(0)
	s_barrier
	buffer_gl0_inv
	v_mul_f64 v[4:5], v[10:11], v[14:15]
	v_mul_f64 v[14:15], v[8:9], v[14:15]
	v_fma_f64 v[4:5], v[8:9], v[12:13], -v[4:5]
	v_fma_f64 v[14:15], v[10:11], v[12:13], v[14:15]
	v_add_f64 v[12:13], v[38:39], v[4:5]
	v_mul_f64 v[4:5], v[10:11], v[36:37]
	v_add_f64 v[14:15], v[14:15], v[40:41]
	v_fma_f64 v[4:5], v[8:9], v[34:35], -v[4:5]
	v_mul_f64 v[8:9], v[8:9], v[36:37]
	v_fma_f64 v[8:9], v[10:11], v[34:35], v[8:9]
	v_add_f64 v[10:11], v[48:49], v[4:5]
	v_add_f64 v[8:9], v[8:9], v[50:51]
	s_cbranch_vccz .LBB270_17
.LBB270_7:                              ; =>This Inner Loop Header: Depth=1
	s_mov_b32 s18, s7
	s_mov_b32 s10, 0
	s_and_saveexec_b32 s11, s0
	s_cbranch_execnz .LBB270_15
; %bb.8:                                ;   in Loop: Header=BB270_7 Depth=1
	s_or_b32 exec_lo, exec_lo, s11
	s_and_saveexec_b32 s11, s18
	s_xor_b32 s11, exec_lo, s11
	s_cbranch_execnz .LBB270_16
.LBB270_9:                              ;   in Loop: Header=BB270_7 Depth=1
	s_or_b32 exec_lo, exec_lo, s11
	s_and_saveexec_b32 s11, s10
	s_cbranch_execz .LBB270_11
.LBB270_10:                             ;   in Loop: Header=BB270_7 Depth=1
	v_mul_lo_u32 v2, s21, v6
	v_mul_lo_u32 v34, s20, v7
	v_mad_u64_u32 v[4:5], null, s20, v6, 0
	v_add3_u32 v5, v5, v34, v2
	v_lshlrev_b64 v[4:5], 4, v[4:5]
	v_add_co_u32 v4, vcc_lo, v27, v4
	v_add_co_ci_u32_e64 v5, null, v28, v5, vcc_lo
	global_load_dwordx4 v[34:37], v[4:5], off
	s_waitcnt vmcnt(0)
	ds_write2_b64 v26, v[34:35], v[36:37] offset1:1
.LBB270_11:                             ;   in Loop: Header=BB270_7 Depth=1
	s_or_b32 exec_lo, exec_lo, s11
	v_add_nc_u32_e32 v2, s2, v24
	v_cmp_le_u64_e32 vcc_lo, s[12:13], v[2:3]
	s_or_b32 s10, vcc_lo, s1
	s_and_saveexec_b32 s11, s10
	s_xor_b32 s10, exec_lo, s11
	s_cbranch_execz .LBB270_13
; %bb.12:                               ;   in Loop: Header=BB270_7 Depth=1
	v_mov_b32_e32 v2, v3
	v_mov_b32_e32 v4, v3
	;; [unrolled: 1-line block ×3, first 2 shown]
	ds_write_b128 v29, v[2:5]
.LBB270_13:                             ;   in Loop: Header=BB270_7 Depth=1
	s_andn2_saveexec_b32 s10, s10
	s_cbranch_execz .LBB270_6
; %bb.14:                               ;   in Loop: Header=BB270_7 Depth=1
	v_lshlrev_b64 v[4:5], 4, v[2:3]
	v_add_co_u32 v4, vcc_lo, v30, v4
	v_add_co_ci_u32_e64 v5, null, v31, v5, vcc_lo
	global_load_dwordx4 v[34:37], v[4:5], off
	s_waitcnt vmcnt(0)
	ds_write2_b64 v29, v[34:35], v[36:37] offset1:1
	s_branch .LBB270_6
.LBB270_15:                             ;   in Loop: Header=BB270_7 Depth=1
	v_add_nc_u32_e32 v2, s2, v25
	v_mov_b32_e32 v7, v3
	s_andn2_b32 s18, s7, exec_lo
	s_mov_b32 s10, exec_lo
	v_cmp_le_u64_e32 vcc_lo, s[12:13], v[2:3]
	v_mov_b32_e32 v6, v2
	s_and_b32 s19, vcc_lo, exec_lo
	s_or_b32 s18, s18, s19
	s_or_b32 exec_lo, exec_lo, s11
	s_and_saveexec_b32 s11, s18
	s_xor_b32 s11, exec_lo, s11
	s_cbranch_execz .LBB270_9
.LBB270_16:                             ;   in Loop: Header=BB270_7 Depth=1
	v_mov_b32_e32 v2, v3
	v_mov_b32_e32 v4, v3
	;; [unrolled: 1-line block ×3, first 2 shown]
	s_andn2_b32 s10, s10, exec_lo
	ds_write_b128 v26, v[2:5]
	s_or_b32 exec_lo, exec_lo, s11
	s_and_saveexec_b32 s11, s10
	s_cbranch_execnz .LBB270_10
	s_branch .LBB270_11
.LBB270_17:
	v_add_nc_u32_e32 v25, s6, v1
	v_cmp_neq_f64_e64 s6, s[38:39], 0
	s_waitcnt lgkmcnt(0)
	s_mul_i32 s1, s31, s8
	s_mul_hi_u32 s2, s30, s8
	s_mul_i32 s0, s30, s8
	v_ashrrev_i32_e32 v3, 31, v25
	v_mul_lo_u32 v5, s29, v25
	v_mad_u64_u32 v[1:2], null, s28, v25, 0
	s_add_i32 s1, s2, s1
	v_mul_lo_u32 v3, s28, v3
	v_add_nc_u32_e32 v4, s5, v0
	s_lshl_b64 s[2:3], s[0:1], 4
	v_cmp_gt_i32_e64 s0, s4, v25
	s_add_u32 s2, s42, s2
	s_addc_u32 s3, s43, s3
	s_xor_b32 s5, s9, -1
	v_cmp_le_i32_e32 vcc_lo, v4, v25
	v_add3_u32 v2, v2, v3, v5
	v_ashrrev_i32_e32 v5, 31, v4
	s_or_b32 s5, s6, s5
	v_lshlrev_b64 v[0:1], 4, v[1:2]
	v_cndmask_b32_e64 v24, 0, 1, s5
	s_and_b32 s6, s0, vcc_lo
	v_add_co_u32 v26, s1, s2, v0
	v_add_co_ci_u32_e64 v27, null, s3, v1, s1
	s_and_saveexec_b32 s1, s6
	s_cbranch_execz .LBB270_21
; %bb.18:
	v_mul_f64 v[0:1], s[16:17], v[22:23]
	v_mul_f64 v[2:3], s[14:15], v[22:23]
	v_lshlrev_b64 v[6:7], 4, v[4:5]
	v_add_co_u32 v6, vcc_lo, v26, v6
	v_add_co_ci_u32_e64 v7, null, v27, v7, vcc_lo
	s_andn2_b32 vcc_lo, exec_lo, s5
	v_fma_f64 v[0:1], s[14:15], v[20:21], -v[0:1]
	v_fma_f64 v[2:3], s[16:17], v[20:21], v[2:3]
	s_cbranch_vccnz .LBB270_20
; %bb.19:
	global_load_dwordx4 v[20:23], v[6:7], off
	s_waitcnt vmcnt(0)
	v_mul_f64 v[28:29], s[40:41], v[22:23]
	v_mul_f64 v[22:23], s[38:39], v[22:23]
	v_fma_f64 v[28:29], s[38:39], v[20:21], -v[28:29]
	v_fma_f64 v[20:21], s[40:41], v[20:21], v[22:23]
	v_add_f64 v[0:1], v[0:1], v[28:29]
	v_add_f64 v[2:3], v[2:3], v[20:21]
.LBB270_20:
	global_store_dwordx4 v[6:7], v[0:3], off
.LBB270_21:
	s_or_b32 exec_lo, exec_lo, s1
	v_add_nc_u32_e32 v6, 16, v4
	v_cmp_le_i32_e32 vcc_lo, v6, v25
	v_ashrrev_i32_e32 v7, 31, v6
	s_and_b32 s0, s0, vcc_lo
	s_and_saveexec_b32 s1, s0
	s_cbranch_execz .LBB270_25
; %bb.22:
	v_mul_f64 v[0:1], s[16:17], v[18:19]
	v_mul_f64 v[2:3], s[14:15], v[18:19]
	v_cmp_ne_u32_e32 vcc_lo, 1, v24
	s_and_b32 vcc_lo, exec_lo, vcc_lo
	v_fma_f64 v[0:1], s[14:15], v[16:17], -v[0:1]
	v_fma_f64 v[2:3], s[16:17], v[16:17], v[2:3]
	v_lshlrev_b64 v[16:17], 4, v[6:7]
	v_add_co_u32 v16, s0, v26, v16
	v_add_co_ci_u32_e64 v17, null, v27, v17, s0
	s_cbranch_vccnz .LBB270_24
; %bb.23:
	global_load_dwordx4 v[18:21], v[16:17], off
	s_waitcnt vmcnt(0)
	v_mul_f64 v[22:23], s[40:41], v[20:21]
	v_mul_f64 v[20:21], s[38:39], v[20:21]
	v_fma_f64 v[22:23], s[38:39], v[18:19], -v[22:23]
	v_fma_f64 v[18:19], s[40:41], v[18:19], v[20:21]
	v_add_f64 v[0:1], v[0:1], v[22:23]
	v_add_f64 v[2:3], v[2:3], v[18:19]
.LBB270_24:
	global_store_dwordx4 v[16:17], v[0:3], off
.LBB270_25:
	s_or_b32 exec_lo, exec_lo, s1
	v_add_nc_u32_e32 v18, 16, v25
	v_ashrrev_i32_e32 v2, 31, v18
	v_mul_lo_u32 v3, s29, v18
	v_mad_u64_u32 v[0:1], null, s28, v18, 0
	v_cmp_gt_i32_e64 s0, s4, v18
	v_mul_lo_u32 v2, s28, v2
	v_cmp_le_i32_e32 vcc_lo, v4, v18
	v_add3_u32 v1, v1, v2, v3
	v_lshlrev_b64 v[0:1], 4, v[0:1]
	v_add_co_u32 v16, s1, s2, v0
	v_add_co_ci_u32_e64 v17, null, s3, v1, s1
	s_and_b32 s1, s0, vcc_lo
	s_and_saveexec_b32 s2, s1
	s_cbranch_execz .LBB270_29
; %bb.26:
	v_mul_f64 v[0:1], s[16:17], v[14:15]
	v_mul_f64 v[2:3], s[14:15], v[14:15]
	v_lshlrev_b64 v[4:5], 4, v[4:5]
	v_cmp_ne_u32_e32 vcc_lo, 1, v24
	s_and_b32 vcc_lo, exec_lo, vcc_lo
	v_add_co_u32 v4, s1, v16, v4
	v_add_co_ci_u32_e64 v5, null, v17, v5, s1
	v_fma_f64 v[0:1], s[14:15], v[12:13], -v[0:1]
	v_fma_f64 v[2:3], s[16:17], v[12:13], v[2:3]
	s_cbranch_vccnz .LBB270_28
; %bb.27:
	global_load_dwordx4 v[12:15], v[4:5], off
	s_waitcnt vmcnt(0)
	v_mul_f64 v[19:20], s[40:41], v[14:15]
	v_mul_f64 v[14:15], s[38:39], v[14:15]
	v_fma_f64 v[19:20], s[38:39], v[12:13], -v[19:20]
	v_fma_f64 v[12:13], s[40:41], v[12:13], v[14:15]
	v_add_f64 v[0:1], v[0:1], v[19:20]
	v_add_f64 v[2:3], v[2:3], v[12:13]
.LBB270_28:
	global_store_dwordx4 v[4:5], v[0:3], off
.LBB270_29:
	s_or_b32 exec_lo, exec_lo, s2
	v_cmp_le_i32_e32 vcc_lo, v6, v18
	s_and_b32 s0, s0, vcc_lo
	s_and_saveexec_b32 s1, s0
	s_cbranch_execz .LBB270_34
; %bb.30:
	v_mul_f64 v[0:1], s[16:17], v[8:9]
	v_mul_f64 v[2:3], s[14:15], v[8:9]
	v_lshlrev_b64 v[4:5], 4, v[6:7]
	v_cmp_ne_u32_e32 vcc_lo, 1, v24
	s_and_b32 vcc_lo, exec_lo, vcc_lo
	v_add_co_u32 v4, s0, v16, v4
	v_add_co_ci_u32_e64 v5, null, v17, v5, s0
	v_fma_f64 v[0:1], s[14:15], v[10:11], -v[0:1]
	v_fma_f64 v[2:3], s[16:17], v[10:11], v[2:3]
	s_cbranch_vccnz .LBB270_32
; %bb.31:
	global_load_dwordx4 v[6:9], v[4:5], off
	s_waitcnt vmcnt(0)
	v_mul_f64 v[10:11], s[40:41], v[8:9]
	v_mul_f64 v[8:9], s[38:39], v[8:9]
	v_fma_f64 v[10:11], s[38:39], v[6:7], -v[10:11]
	v_fma_f64 v[6:7], s[40:41], v[6:7], v[8:9]
	v_add_f64 v[0:1], v[0:1], v[10:11]
	v_add_f64 v[2:3], v[2:3], v[6:7]
.LBB270_32:
	global_store_dwordx4 v[4:5], v[0:3], off
	s_endpgm
.LBB270_33:
.LBB270_34:
	s_endpgm
	.section	.rodata,"a",@progbits
	.p2align	6, 0x0
	.amdhsa_kernel _ZL29rocblas_internal_gemmt_kernelIlLi16ELi32ELi8ELc78ELc78ELc85ELb0ELb0E19rocblas_complex_numIdES1_PKS1_PS1_EviT_T9_T10_S5_lS7_S5_lS6_T11_S5_li
		.amdhsa_group_segment_fixed_size 8192
		.amdhsa_private_segment_fixed_size 0
		.amdhsa_kernarg_size 124
		.amdhsa_user_sgpr_count 6
		.amdhsa_user_sgpr_private_segment_buffer 1
		.amdhsa_user_sgpr_dispatch_ptr 0
		.amdhsa_user_sgpr_queue_ptr 0
		.amdhsa_user_sgpr_kernarg_segment_ptr 1
		.amdhsa_user_sgpr_dispatch_id 0
		.amdhsa_user_sgpr_flat_scratch_init 0
		.amdhsa_user_sgpr_private_segment_size 0
		.amdhsa_wavefront_size32 1
		.amdhsa_uses_dynamic_stack 0
		.amdhsa_system_sgpr_private_segment_wavefront_offset 0
		.amdhsa_system_sgpr_workgroup_id_x 1
		.amdhsa_system_sgpr_workgroup_id_y 1
		.amdhsa_system_sgpr_workgroup_id_z 1
		.amdhsa_system_sgpr_workgroup_info 0
		.amdhsa_system_vgpr_workitem_id 1
		.amdhsa_next_free_vgpr 58
		.amdhsa_next_free_sgpr 44
		.amdhsa_reserve_vcc 1
		.amdhsa_reserve_flat_scratch 0
		.amdhsa_float_round_mode_32 0
		.amdhsa_float_round_mode_16_64 0
		.amdhsa_float_denorm_mode_32 3
		.amdhsa_float_denorm_mode_16_64 3
		.amdhsa_dx10_clamp 1
		.amdhsa_ieee_mode 1
		.amdhsa_fp16_overflow 0
		.amdhsa_workgroup_processor_mode 1
		.amdhsa_memory_ordered 1
		.amdhsa_forward_progress 1
		.amdhsa_shared_vgpr_count 0
		.amdhsa_exception_fp_ieee_invalid_op 0
		.amdhsa_exception_fp_denorm_src 0
		.amdhsa_exception_fp_ieee_div_zero 0
		.amdhsa_exception_fp_ieee_overflow 0
		.amdhsa_exception_fp_ieee_underflow 0
		.amdhsa_exception_fp_ieee_inexact 0
		.amdhsa_exception_int_div_zero 0
	.end_amdhsa_kernel
	.section	.text._ZL29rocblas_internal_gemmt_kernelIlLi16ELi32ELi8ELc78ELc78ELc85ELb0ELb0E19rocblas_complex_numIdES1_PKS1_PS1_EviT_T9_T10_S5_lS7_S5_lS6_T11_S5_li,"axG",@progbits,_ZL29rocblas_internal_gemmt_kernelIlLi16ELi32ELi8ELc78ELc78ELc85ELb0ELb0E19rocblas_complex_numIdES1_PKS1_PS1_EviT_T9_T10_S5_lS7_S5_lS6_T11_S5_li,comdat
.Lfunc_end270:
	.size	_ZL29rocblas_internal_gemmt_kernelIlLi16ELi32ELi8ELc78ELc78ELc85ELb0ELb0E19rocblas_complex_numIdES1_PKS1_PS1_EviT_T9_T10_S5_lS7_S5_lS6_T11_S5_li, .Lfunc_end270-_ZL29rocblas_internal_gemmt_kernelIlLi16ELi32ELi8ELc78ELc78ELc85ELb0ELb0E19rocblas_complex_numIdES1_PKS1_PS1_EviT_T9_T10_S5_lS7_S5_lS6_T11_S5_li
                                        ; -- End function
	.set _ZL29rocblas_internal_gemmt_kernelIlLi16ELi32ELi8ELc78ELc78ELc85ELb0ELb0E19rocblas_complex_numIdES1_PKS1_PS1_EviT_T9_T10_S5_lS7_S5_lS6_T11_S5_li.num_vgpr, 58
	.set _ZL29rocblas_internal_gemmt_kernelIlLi16ELi32ELi8ELc78ELc78ELc85ELb0ELb0E19rocblas_complex_numIdES1_PKS1_PS1_EviT_T9_T10_S5_lS7_S5_lS6_T11_S5_li.num_agpr, 0
	.set _ZL29rocblas_internal_gemmt_kernelIlLi16ELi32ELi8ELc78ELc78ELc85ELb0ELb0E19rocblas_complex_numIdES1_PKS1_PS1_EviT_T9_T10_S5_lS7_S5_lS6_T11_S5_li.numbered_sgpr, 44
	.set _ZL29rocblas_internal_gemmt_kernelIlLi16ELi32ELi8ELc78ELc78ELc85ELb0ELb0E19rocblas_complex_numIdES1_PKS1_PS1_EviT_T9_T10_S5_lS7_S5_lS6_T11_S5_li.num_named_barrier, 0
	.set _ZL29rocblas_internal_gemmt_kernelIlLi16ELi32ELi8ELc78ELc78ELc85ELb0ELb0E19rocblas_complex_numIdES1_PKS1_PS1_EviT_T9_T10_S5_lS7_S5_lS6_T11_S5_li.private_seg_size, 0
	.set _ZL29rocblas_internal_gemmt_kernelIlLi16ELi32ELi8ELc78ELc78ELc85ELb0ELb0E19rocblas_complex_numIdES1_PKS1_PS1_EviT_T9_T10_S5_lS7_S5_lS6_T11_S5_li.uses_vcc, 1
	.set _ZL29rocblas_internal_gemmt_kernelIlLi16ELi32ELi8ELc78ELc78ELc85ELb0ELb0E19rocblas_complex_numIdES1_PKS1_PS1_EviT_T9_T10_S5_lS7_S5_lS6_T11_S5_li.uses_flat_scratch, 0
	.set _ZL29rocblas_internal_gemmt_kernelIlLi16ELi32ELi8ELc78ELc78ELc85ELb0ELb0E19rocblas_complex_numIdES1_PKS1_PS1_EviT_T9_T10_S5_lS7_S5_lS6_T11_S5_li.has_dyn_sized_stack, 0
	.set _ZL29rocblas_internal_gemmt_kernelIlLi16ELi32ELi8ELc78ELc78ELc85ELb0ELb0E19rocblas_complex_numIdES1_PKS1_PS1_EviT_T9_T10_S5_lS7_S5_lS6_T11_S5_li.has_recursion, 0
	.set _ZL29rocblas_internal_gemmt_kernelIlLi16ELi32ELi8ELc78ELc78ELc85ELb0ELb0E19rocblas_complex_numIdES1_PKS1_PS1_EviT_T9_T10_S5_lS7_S5_lS6_T11_S5_li.has_indirect_call, 0
	.section	.AMDGPU.csdata,"",@progbits
; Kernel info:
; codeLenInByte = 3648
; TotalNumSgprs: 46
; NumVgprs: 58
; ScratchSize: 0
; MemoryBound: 0
; FloatMode: 240
; IeeeMode: 1
; LDSByteSize: 8192 bytes/workgroup (compile time only)
; SGPRBlocks: 0
; VGPRBlocks: 7
; NumSGPRsForWavesPerEU: 46
; NumVGPRsForWavesPerEU: 58
; Occupancy: 16
; WaveLimiterHint : 0
; COMPUTE_PGM_RSRC2:SCRATCH_EN: 0
; COMPUTE_PGM_RSRC2:USER_SGPR: 6
; COMPUTE_PGM_RSRC2:TRAP_HANDLER: 0
; COMPUTE_PGM_RSRC2:TGID_X_EN: 1
; COMPUTE_PGM_RSRC2:TGID_Y_EN: 1
; COMPUTE_PGM_RSRC2:TGID_Z_EN: 1
; COMPUTE_PGM_RSRC2:TIDIG_COMP_CNT: 1
	.section	.text._ZL29rocblas_internal_gemmt_kernelIlLi16ELi32ELi8ELc78ELc84ELc85ELb0ELb0E19rocblas_complex_numIdES1_PKS1_PS1_EviT_T9_T10_S5_lS7_S5_lS6_T11_S5_li,"axG",@progbits,_ZL29rocblas_internal_gemmt_kernelIlLi16ELi32ELi8ELc78ELc84ELc85ELb0ELb0E19rocblas_complex_numIdES1_PKS1_PS1_EviT_T9_T10_S5_lS7_S5_lS6_T11_S5_li,comdat
	.globl	_ZL29rocblas_internal_gemmt_kernelIlLi16ELi32ELi8ELc78ELc84ELc85ELb0ELb0E19rocblas_complex_numIdES1_PKS1_PS1_EviT_T9_T10_S5_lS7_S5_lS6_T11_S5_li ; -- Begin function _ZL29rocblas_internal_gemmt_kernelIlLi16ELi32ELi8ELc78ELc84ELc85ELb0ELb0E19rocblas_complex_numIdES1_PKS1_PS1_EviT_T9_T10_S5_lS7_S5_lS6_T11_S5_li
	.p2align	8
	.type	_ZL29rocblas_internal_gemmt_kernelIlLi16ELi32ELi8ELc78ELc84ELc85ELb0ELb0E19rocblas_complex_numIdES1_PKS1_PS1_EviT_T9_T10_S5_lS7_S5_lS6_T11_S5_li,@function
_ZL29rocblas_internal_gemmt_kernelIlLi16ELi32ELi8ELc78ELc84ELc85ELb0ELb0E19rocblas_complex_numIdES1_PKS1_PS1_EviT_T9_T10_S5_lS7_S5_lS6_T11_S5_li: ; @_ZL29rocblas_internal_gemmt_kernelIlLi16ELi32ELi8ELc78ELc84ELc85ELb0ELb0E19rocblas_complex_numIdES1_PKS1_PS1_EviT_T9_T10_S5_lS7_S5_lS6_T11_S5_li
; %bb.0:
	s_clause 0x1
	s_load_dwordx8 s[36:43], s[4:5], 0x48
	s_load_dwordx16 s[12:27], s[4:5], 0x8
	s_waitcnt lgkmcnt(0)
	v_cmp_eq_f64_e64 s0, s[38:39], 1.0
	v_cmp_eq_f64_e64 s9, s[40:41], 0
	s_and_b32 s0, s0, s9
	s_andn2_b32 vcc_lo, exec_lo, s0
	s_mov_b32 s0, -1
	s_cbranch_vccnz .LBB271_3
; %bb.1:
	s_cmp_lg_u64 s[12:13], 0
	s_cbranch_scc0 .LBB271_33
; %bb.2:
	v_cmp_neq_f64_e64 s0, s[14:15], 0
	v_cmp_neq_f64_e64 s1, s[16:17], 0
	s_or_b32 s0, s0, s1
.LBB271_3:
	s_and_b32 vcc_lo, exec_lo, s0
	s_cbranch_vccz .LBB271_34
; %bb.4:
	v_cmp_eq_f64_e64 s0, s[14:15], 0
	v_cmp_eq_f64_e64 s1, s[16:17], 0
	s_clause 0x1
	s_load_dwordx4 s[28:31], s[4:5], 0x68
	s_load_dword s4, s[4:5], 0x0
	v_cmp_lt_i64_e64 s2, s[12:13], 1
	v_mov_b32_e32 v20, 0
	v_mov_b32_e32 v22, 0
	;; [unrolled: 1-line block ×16, first 2 shown]
	s_lshl_b32 s5, s6, 5
	s_lshl_b32 s6, s7, 5
	s_and_b32 s0, s0, s1
	s_or_b32 s0, s0, s2
	s_and_b32 vcc_lo, exec_lo, s0
	s_cbranch_vccnz .LBB271_17
; %bb.5:
	v_lshl_add_u32 v2, v1, 4, v0
	s_mul_i32 s0, s37, s8
	s_mul_hi_u32 s1, s36, s8
	v_and_b32_e32 v24, 7, v0
	s_add_i32 s1, s1, s0
	v_and_b32_e32 v5, 31, v2
	v_lshrrev_b32_e32 v8, 3, v2
	v_lshrrev_b32_e32 v25, 5, v2
	s_mul_i32 s0, s36, s8
	s_mul_hi_u32 s3, s22, s8
	v_or_b32_e32 v2, s5, v5
	v_add_nc_u32_e32 v4, s6, v8
	s_lshl_b64 s[0:1], s[0:1], 4
	v_lshlrev_b32_e32 v9, 4, v5
	s_add_u32 s2, s24, s0
	v_ashrrev_i32_e32 v3, 31, v2
	s_mul_i32 s0, s23, s8
	v_ashrrev_i32_e32 v5, 31, v4
	s_addc_u32 s10, s25, s1
	s_add_i32 s1, s3, s0
	s_mul_i32 s0, s22, s8
	v_lshlrev_b32_e32 v10, 4, v24
	s_lshl_b64 s[0:1], s[0:1], 4
	v_lshlrev_b64 v[6:7], 4, v[2:3]
	s_add_u32 s3, s18, s0
	s_waitcnt lgkmcnt(0)
	v_cmp_gt_i32_e64 s0, s4, v2
	v_cmp_le_i32_e64 s7, s4, v2
	v_lshlrev_b64 v[2:3], 4, v[4:5]
	v_lshl_or_b32 v8, v8, 7, v10
	s_addc_u32 s1, s19, s1
	v_add_co_u32 v27, vcc_lo, s3, v6
	v_add_co_ci_u32_e64 v28, null, s1, v7, vcc_lo
	v_cmp_gt_i32_e32 vcc_lo, s4, v4
	v_add_co_u32 v30, s1, s2, v2
	v_lshl_or_b32 v26, v25, 9, v9
	v_add_nc_u32_e32 v29, 0x1000, v8
	v_mov_b32_e32 v8, 0
	v_mov_b32_e32 v10, 0
	;; [unrolled: 1-line block ×8, first 2 shown]
	v_add_co_ci_u32_e64 v31, null, s10, v3, s1
	v_lshlrev_b32_e32 v32, 4, v0
	v_lshl_add_u32 v33, v1, 7, 0x1000
	v_mov_b32_e32 v9, 0
	v_mov_b32_e32 v11, 0
	;; [unrolled: 1-line block ×9, first 2 shown]
	s_mov_b64 s[2:3], 0
	s_xor_b32 s1, vcc_lo, -1
                                        ; implicit-def: $vgpr6_vgpr7
	s_branch .LBB271_7
.LBB271_6:                              ;   in Loop: Header=BB271_7 Depth=1
	s_or_b32 exec_lo, exec_lo, s10
	s_waitcnt lgkmcnt(0)
	s_barrier
	buffer_gl0_inv
	ds_read_b128 v[34:37], v33
	ds_read_b128 v[38:41], v33 offset:16
	ds_read_b128 v[42:45], v33 offset:32
	;; [unrolled: 1-line block ×3, first 2 shown]
	ds_read_b128 v[50:53], v32
	s_add_u32 s2, s2, 8
	s_addc_u32 s3, s3, 0
	v_cmp_gt_i64_e64 s10, s[12:13], s[2:3]
	s_and_b32 vcc_lo, exec_lo, s10
	s_waitcnt lgkmcnt(0)
	v_mul_f64 v[4:5], v[36:37], v[52:53]
	v_mul_f64 v[54:55], v[34:35], v[52:53]
	v_fma_f64 v[4:5], v[34:35], v[50:51], -v[4:5]
	v_fma_f64 v[54:55], v[36:37], v[50:51], v[54:55]
	v_add_f64 v[4:5], v[20:21], v[4:5]
	v_add_f64 v[54:55], v[54:55], v[22:23]
	ds_read_b128 v[20:23], v32 offset:256
	s_waitcnt lgkmcnt(0)
	v_mul_f64 v[56:57], v[36:37], v[22:23]
	v_fma_f64 v[56:57], v[34:35], v[20:21], -v[56:57]
	v_mul_f64 v[34:35], v[34:35], v[22:23]
	v_fma_f64 v[34:35], v[36:37], v[20:21], v[34:35]
	v_add_f64 v[36:37], v[16:17], v[56:57]
	v_add_f64 v[34:35], v[34:35], v[18:19]
	ds_read_b128 v[16:19], v33 offset:2048
	s_waitcnt lgkmcnt(0)
	v_mul_f64 v[56:57], v[18:19], v[52:53]
	v_mul_f64 v[52:53], v[16:17], v[52:53]
	v_fma_f64 v[56:57], v[16:17], v[50:51], -v[56:57]
	v_fma_f64 v[50:51], v[18:19], v[50:51], v[52:53]
	v_add_f64 v[52:53], v[12:13], v[56:57]
	v_add_f64 v[50:51], v[50:51], v[14:15]
	v_mul_f64 v[12:13], v[18:19], v[22:23]
	v_mul_f64 v[14:15], v[16:17], v[22:23]
	v_fma_f64 v[12:13], v[16:17], v[20:21], -v[12:13]
	v_fma_f64 v[14:15], v[18:19], v[20:21], v[14:15]
	v_add_f64 v[20:21], v[10:11], v[12:13]
	v_add_f64 v[22:23], v[14:15], v[8:9]
	ds_read_b128 v[8:11], v32 offset:512
	s_waitcnt lgkmcnt(0)
	v_mul_f64 v[12:13], v[40:41], v[10:11]
	v_mul_f64 v[14:15], v[38:39], v[10:11]
	v_fma_f64 v[12:13], v[38:39], v[8:9], -v[12:13]
	v_fma_f64 v[14:15], v[40:41], v[8:9], v[14:15]
	v_add_f64 v[4:5], v[4:5], v[12:13]
	v_add_f64 v[54:55], v[14:15], v[54:55]
	ds_read_b128 v[12:15], v32 offset:768
	s_waitcnt lgkmcnt(0)
	;; [unrolled: 8-line block ×3, first 2 shown]
	v_mul_f64 v[38:39], v[18:19], v[10:11]
	v_mul_f64 v[10:11], v[16:17], v[10:11]
	v_fma_f64 v[38:39], v[16:17], v[8:9], -v[38:39]
	v_fma_f64 v[8:9], v[18:19], v[8:9], v[10:11]
	v_mul_f64 v[10:11], v[16:17], v[14:15]
	v_add_f64 v[38:39], v[52:53], v[38:39]
	v_add_f64 v[40:41], v[8:9], v[50:51]
	v_mul_f64 v[8:9], v[18:19], v[14:15]
	v_fma_f64 v[10:11], v[18:19], v[12:13], v[10:11]
	v_fma_f64 v[8:9], v[16:17], v[12:13], -v[8:9]
	v_add_f64 v[22:23], v[10:11], v[22:23]
	v_add_f64 v[20:21], v[20:21], v[8:9]
	ds_read_b128 v[8:11], v32 offset:1024
	s_waitcnt lgkmcnt(0)
	v_mul_f64 v[12:13], v[44:45], v[10:11]
	v_mul_f64 v[14:15], v[42:43], v[10:11]
	v_fma_f64 v[12:13], v[42:43], v[8:9], -v[12:13]
	v_fma_f64 v[14:15], v[44:45], v[8:9], v[14:15]
	v_add_f64 v[4:5], v[4:5], v[12:13]
	v_add_f64 v[50:51], v[14:15], v[54:55]
	ds_read_b128 v[12:15], v32 offset:1280
	s_waitcnt lgkmcnt(0)
	v_mul_f64 v[16:17], v[44:45], v[14:15]
	v_mul_f64 v[18:19], v[42:43], v[14:15]
	v_fma_f64 v[16:17], v[42:43], v[12:13], -v[16:17]
	v_fma_f64 v[18:19], v[44:45], v[12:13], v[18:19]
	;; [unrolled: 8-line block ×3, first 2 shown]
	v_mul_f64 v[10:11], v[16:17], v[14:15]
	v_add_f64 v[38:39], v[38:39], v[42:43]
	v_add_f64 v[40:41], v[8:9], v[40:41]
	v_mul_f64 v[8:9], v[18:19], v[14:15]
	v_fma_f64 v[10:11], v[18:19], v[12:13], v[10:11]
	v_fma_f64 v[8:9], v[16:17], v[12:13], -v[8:9]
	v_add_f64 v[22:23], v[10:11], v[22:23]
	v_add_f64 v[20:21], v[20:21], v[8:9]
	ds_read_b128 v[8:11], v32 offset:1536
	s_waitcnt lgkmcnt(0)
	v_mul_f64 v[12:13], v[48:49], v[10:11]
	v_mul_f64 v[14:15], v[46:47], v[10:11]
	v_fma_f64 v[12:13], v[46:47], v[8:9], -v[12:13]
	v_fma_f64 v[14:15], v[48:49], v[8:9], v[14:15]
	v_add_f64 v[4:5], v[4:5], v[12:13]
	v_add_f64 v[42:43], v[14:15], v[50:51]
	ds_read_b128 v[12:15], v32 offset:1792
	s_waitcnt lgkmcnt(0)
	v_mul_f64 v[16:17], v[48:49], v[14:15]
	v_mul_f64 v[18:19], v[46:47], v[14:15]
	v_fma_f64 v[16:17], v[46:47], v[12:13], -v[16:17]
	v_fma_f64 v[18:19], v[48:49], v[12:13], v[18:19]
	v_add_f64 v[36:37], v[36:37], v[16:17]
	v_add_f64 v[34:35], v[18:19], v[34:35]
	ds_read_b128 v[16:19], v33 offset:2096
	s_waitcnt lgkmcnt(0)
	v_mul_f64 v[44:45], v[18:19], v[10:11]
	v_mul_f64 v[10:11], v[16:17], v[10:11]
	v_fma_f64 v[44:45], v[16:17], v[8:9], -v[44:45]
	v_fma_f64 v[8:9], v[18:19], v[8:9], v[10:11]
	v_mul_f64 v[10:11], v[16:17], v[14:15]
	v_add_f64 v[38:39], v[38:39], v[44:45]
	v_add_f64 v[40:41], v[8:9], v[40:41]
	v_mul_f64 v[8:9], v[18:19], v[14:15]
	v_fma_f64 v[10:11], v[18:19], v[12:13], v[10:11]
	v_fma_f64 v[8:9], v[16:17], v[12:13], -v[8:9]
	v_add_f64 v[22:23], v[10:11], v[22:23]
	v_add_f64 v[20:21], v[20:21], v[8:9]
	ds_read_b128 v[8:11], v33 offset:64
	ds_read_b128 v[12:15], v32 offset:2048
	s_waitcnt lgkmcnt(0)
	v_mul_f64 v[16:17], v[10:11], v[14:15]
	v_mul_f64 v[18:19], v[8:9], v[14:15]
	v_fma_f64 v[16:17], v[8:9], v[12:13], -v[16:17]
	v_fma_f64 v[18:19], v[10:11], v[12:13], v[18:19]
	v_add_f64 v[4:5], v[4:5], v[16:17]
	v_add_f64 v[42:43], v[18:19], v[42:43]
	ds_read_b128 v[16:19], v32 offset:2304
	s_waitcnt lgkmcnt(0)
	v_mul_f64 v[44:45], v[10:11], v[18:19]
	v_fma_f64 v[44:45], v[8:9], v[16:17], -v[44:45]
	v_mul_f64 v[8:9], v[8:9], v[18:19]
	v_add_f64 v[36:37], v[36:37], v[44:45]
	v_fma_f64 v[8:9], v[10:11], v[16:17], v[8:9]
	v_add_f64 v[34:35], v[8:9], v[34:35]
	ds_read_b128 v[8:11], v33 offset:2112
	s_waitcnt lgkmcnt(0)
	v_mul_f64 v[44:45], v[10:11], v[14:15]
	v_mul_f64 v[14:15], v[8:9], v[14:15]
	v_fma_f64 v[44:45], v[8:9], v[12:13], -v[44:45]
	v_fma_f64 v[12:13], v[10:11], v[12:13], v[14:15]
	v_add_f64 v[38:39], v[38:39], v[44:45]
	v_add_f64 v[40:41], v[12:13], v[40:41]
	v_mul_f64 v[12:13], v[10:11], v[18:19]
	v_fma_f64 v[12:13], v[8:9], v[16:17], -v[12:13]
	v_mul_f64 v[8:9], v[8:9], v[18:19]
	v_add_f64 v[20:21], v[20:21], v[12:13]
	v_fma_f64 v[8:9], v[10:11], v[16:17], v[8:9]
	v_add_f64 v[22:23], v[8:9], v[22:23]
	ds_read_b128 v[8:11], v33 offset:80
	ds_read_b128 v[12:15], v32 offset:2560
	s_waitcnt lgkmcnt(0)
	v_mul_f64 v[16:17], v[10:11], v[14:15]
	v_mul_f64 v[18:19], v[8:9], v[14:15]
	v_fma_f64 v[16:17], v[8:9], v[12:13], -v[16:17]
	v_fma_f64 v[18:19], v[10:11], v[12:13], v[18:19]
	v_add_f64 v[4:5], v[4:5], v[16:17]
	v_add_f64 v[42:43], v[18:19], v[42:43]
	ds_read_b128 v[16:19], v32 offset:2816
	s_waitcnt lgkmcnt(0)
	v_mul_f64 v[44:45], v[10:11], v[18:19]
	v_fma_f64 v[44:45], v[8:9], v[16:17], -v[44:45]
	v_mul_f64 v[8:9], v[8:9], v[18:19]
	v_add_f64 v[36:37], v[36:37], v[44:45]
	v_fma_f64 v[8:9], v[10:11], v[16:17], v[8:9]
	v_add_f64 v[34:35], v[8:9], v[34:35]
	ds_read_b128 v[8:11], v33 offset:2128
	s_waitcnt lgkmcnt(0)
	v_mul_f64 v[44:45], v[10:11], v[14:15]
	v_mul_f64 v[14:15], v[8:9], v[14:15]
	v_fma_f64 v[44:45], v[8:9], v[12:13], -v[44:45]
	v_fma_f64 v[12:13], v[10:11], v[12:13], v[14:15]
	v_add_f64 v[38:39], v[38:39], v[44:45]
	v_add_f64 v[40:41], v[12:13], v[40:41]
	v_mul_f64 v[12:13], v[10:11], v[18:19]
	v_fma_f64 v[12:13], v[8:9], v[16:17], -v[12:13]
	v_mul_f64 v[8:9], v[8:9], v[18:19]
	v_add_f64 v[20:21], v[20:21], v[12:13]
	v_fma_f64 v[8:9], v[10:11], v[16:17], v[8:9]
	;; [unrolled: 31-line block ×3, first 2 shown]
	v_add_f64 v[50:51], v[8:9], v[22:23]
	ds_read_b128 v[8:11], v33 offset:112
	ds_read_b128 v[12:15], v32 offset:3584
	;; [unrolled: 1-line block ×3, first 2 shown]
	s_waitcnt lgkmcnt(1)
	v_mul_f64 v[16:17], v[10:11], v[14:15]
	v_mul_f64 v[18:19], v[8:9], v[14:15]
	v_fma_f64 v[16:17], v[8:9], v[12:13], -v[16:17]
	v_fma_f64 v[18:19], v[10:11], v[12:13], v[18:19]
	v_add_f64 v[20:21], v[4:5], v[16:17]
	s_waitcnt lgkmcnt(0)
	v_mul_f64 v[4:5], v[10:11], v[36:37]
	v_add_f64 v[22:23], v[18:19], v[42:43]
	v_fma_f64 v[4:5], v[8:9], v[34:35], -v[4:5]
	v_mul_f64 v[8:9], v[8:9], v[36:37]
	v_add_f64 v[16:17], v[44:45], v[4:5]
	v_fma_f64 v[8:9], v[10:11], v[34:35], v[8:9]
	v_add_f64 v[18:19], v[8:9], v[46:47]
	ds_read_b128 v[8:11], v33 offset:2160
	s_waitcnt lgkmcnt(0)
	s_barrier
	buffer_gl0_inv
	v_mul_f64 v[4:5], v[10:11], v[14:15]
	v_mul_f64 v[14:15], v[8:9], v[14:15]
	v_fma_f64 v[4:5], v[8:9], v[12:13], -v[4:5]
	v_fma_f64 v[14:15], v[10:11], v[12:13], v[14:15]
	v_add_f64 v[12:13], v[38:39], v[4:5]
	v_mul_f64 v[4:5], v[10:11], v[36:37]
	v_add_f64 v[14:15], v[14:15], v[40:41]
	v_fma_f64 v[4:5], v[8:9], v[34:35], -v[4:5]
	v_mul_f64 v[8:9], v[8:9], v[36:37]
	v_fma_f64 v[8:9], v[10:11], v[34:35], v[8:9]
	v_add_f64 v[10:11], v[48:49], v[4:5]
	v_add_f64 v[8:9], v[8:9], v[50:51]
	s_cbranch_vccz .LBB271_17
.LBB271_7:                              ; =>This Inner Loop Header: Depth=1
	s_mov_b32 s18, s7
	s_mov_b32 s10, 0
	s_and_saveexec_b32 s11, s0
	s_cbranch_execnz .LBB271_15
; %bb.8:                                ;   in Loop: Header=BB271_7 Depth=1
	s_or_b32 exec_lo, exec_lo, s11
	s_and_saveexec_b32 s11, s18
	s_xor_b32 s11, exec_lo, s11
	s_cbranch_execnz .LBB271_16
.LBB271_9:                              ;   in Loop: Header=BB271_7 Depth=1
	s_or_b32 exec_lo, exec_lo, s11
	s_and_saveexec_b32 s11, s10
	s_cbranch_execz .LBB271_11
.LBB271_10:                             ;   in Loop: Header=BB271_7 Depth=1
	v_mul_lo_u32 v2, s21, v6
	v_mul_lo_u32 v34, s20, v7
	v_mad_u64_u32 v[4:5], null, s20, v6, 0
	v_add3_u32 v5, v5, v34, v2
	v_lshlrev_b64 v[4:5], 4, v[4:5]
	v_add_co_u32 v4, vcc_lo, v27, v4
	v_add_co_ci_u32_e64 v5, null, v28, v5, vcc_lo
	global_load_dwordx4 v[34:37], v[4:5], off
	s_waitcnt vmcnt(0)
	ds_write2_b64 v26, v[34:35], v[36:37] offset1:1
.LBB271_11:                             ;   in Loop: Header=BB271_7 Depth=1
	s_or_b32 exec_lo, exec_lo, s11
	v_add_nc_u32_e32 v2, s2, v24
	v_cmp_le_u64_e32 vcc_lo, s[12:13], v[2:3]
	s_or_b32 s10, vcc_lo, s1
	s_and_saveexec_b32 s11, s10
	s_xor_b32 s10, exec_lo, s11
	s_cbranch_execz .LBB271_13
; %bb.12:                               ;   in Loop: Header=BB271_7 Depth=1
	v_mov_b32_e32 v2, v3
	v_mov_b32_e32 v4, v3
	v_mov_b32_e32 v5, v3
	ds_write_b128 v29, v[2:5]
.LBB271_13:                             ;   in Loop: Header=BB271_7 Depth=1
	s_andn2_saveexec_b32 s10, s10
	s_cbranch_execz .LBB271_6
; %bb.14:                               ;   in Loop: Header=BB271_7 Depth=1
	v_mad_u64_u32 v[4:5], null, s26, v2, 0
	v_mad_u64_u32 v[34:35], null, s27, v2, v[5:6]
	v_mov_b32_e32 v5, v34
	v_lshlrev_b64 v[4:5], 4, v[4:5]
	v_add_co_u32 v4, vcc_lo, v30, v4
	v_add_co_ci_u32_e64 v5, null, v31, v5, vcc_lo
	global_load_dwordx4 v[34:37], v[4:5], off
	s_waitcnt vmcnt(0)
	ds_write2_b64 v29, v[34:35], v[36:37] offset1:1
	s_branch .LBB271_6
.LBB271_15:                             ;   in Loop: Header=BB271_7 Depth=1
	v_add_nc_u32_e32 v2, s2, v25
	v_mov_b32_e32 v7, v3
	s_andn2_b32 s18, s7, exec_lo
	s_mov_b32 s10, exec_lo
	v_cmp_le_u64_e32 vcc_lo, s[12:13], v[2:3]
	v_mov_b32_e32 v6, v2
	s_and_b32 s19, vcc_lo, exec_lo
	s_or_b32 s18, s18, s19
	s_or_b32 exec_lo, exec_lo, s11
	s_and_saveexec_b32 s11, s18
	s_xor_b32 s11, exec_lo, s11
	s_cbranch_execz .LBB271_9
.LBB271_16:                             ;   in Loop: Header=BB271_7 Depth=1
	v_mov_b32_e32 v2, v3
	v_mov_b32_e32 v4, v3
	;; [unrolled: 1-line block ×3, first 2 shown]
	s_andn2_b32 s10, s10, exec_lo
	ds_write_b128 v26, v[2:5]
	s_or_b32 exec_lo, exec_lo, s11
	s_and_saveexec_b32 s11, s10
	s_cbranch_execnz .LBB271_10
	s_branch .LBB271_11
.LBB271_17:
	v_add_nc_u32_e32 v25, s6, v1
	v_cmp_neq_f64_e64 s6, s[38:39], 0
	s_waitcnt lgkmcnt(0)
	s_mul_i32 s1, s31, s8
	s_mul_hi_u32 s2, s30, s8
	s_mul_i32 s0, s30, s8
	v_ashrrev_i32_e32 v3, 31, v25
	v_mul_lo_u32 v5, s29, v25
	v_mad_u64_u32 v[1:2], null, s28, v25, 0
	s_add_i32 s1, s2, s1
	v_mul_lo_u32 v3, s28, v3
	v_add_nc_u32_e32 v4, s5, v0
	s_lshl_b64 s[2:3], s[0:1], 4
	v_cmp_gt_i32_e64 s0, s4, v25
	s_add_u32 s2, s42, s2
	s_addc_u32 s3, s43, s3
	s_xor_b32 s5, s9, -1
	v_cmp_le_i32_e32 vcc_lo, v4, v25
	v_add3_u32 v2, v2, v3, v5
	v_ashrrev_i32_e32 v5, 31, v4
	s_or_b32 s5, s6, s5
	v_lshlrev_b64 v[0:1], 4, v[1:2]
	v_cndmask_b32_e64 v24, 0, 1, s5
	s_and_b32 s6, s0, vcc_lo
	v_add_co_u32 v26, s1, s2, v0
	v_add_co_ci_u32_e64 v27, null, s3, v1, s1
	s_and_saveexec_b32 s1, s6
	s_cbranch_execz .LBB271_21
; %bb.18:
	v_mul_f64 v[0:1], s[16:17], v[22:23]
	v_mul_f64 v[2:3], s[14:15], v[22:23]
	v_lshlrev_b64 v[6:7], 4, v[4:5]
	v_add_co_u32 v6, vcc_lo, v26, v6
	v_add_co_ci_u32_e64 v7, null, v27, v7, vcc_lo
	s_andn2_b32 vcc_lo, exec_lo, s5
	v_fma_f64 v[0:1], s[14:15], v[20:21], -v[0:1]
	v_fma_f64 v[2:3], s[16:17], v[20:21], v[2:3]
	s_cbranch_vccnz .LBB271_20
; %bb.19:
	global_load_dwordx4 v[20:23], v[6:7], off
	s_waitcnt vmcnt(0)
	v_mul_f64 v[28:29], s[40:41], v[22:23]
	v_mul_f64 v[22:23], s[38:39], v[22:23]
	v_fma_f64 v[28:29], s[38:39], v[20:21], -v[28:29]
	v_fma_f64 v[20:21], s[40:41], v[20:21], v[22:23]
	v_add_f64 v[0:1], v[0:1], v[28:29]
	v_add_f64 v[2:3], v[2:3], v[20:21]
.LBB271_20:
	global_store_dwordx4 v[6:7], v[0:3], off
.LBB271_21:
	s_or_b32 exec_lo, exec_lo, s1
	v_add_nc_u32_e32 v6, 16, v4
	v_cmp_le_i32_e32 vcc_lo, v6, v25
	v_ashrrev_i32_e32 v7, 31, v6
	s_and_b32 s0, s0, vcc_lo
	s_and_saveexec_b32 s1, s0
	s_cbranch_execz .LBB271_25
; %bb.22:
	v_mul_f64 v[0:1], s[16:17], v[18:19]
	v_mul_f64 v[2:3], s[14:15], v[18:19]
	v_cmp_ne_u32_e32 vcc_lo, 1, v24
	s_and_b32 vcc_lo, exec_lo, vcc_lo
	v_fma_f64 v[0:1], s[14:15], v[16:17], -v[0:1]
	v_fma_f64 v[2:3], s[16:17], v[16:17], v[2:3]
	v_lshlrev_b64 v[16:17], 4, v[6:7]
	v_add_co_u32 v16, s0, v26, v16
	v_add_co_ci_u32_e64 v17, null, v27, v17, s0
	s_cbranch_vccnz .LBB271_24
; %bb.23:
	global_load_dwordx4 v[18:21], v[16:17], off
	s_waitcnt vmcnt(0)
	v_mul_f64 v[22:23], s[40:41], v[20:21]
	v_mul_f64 v[20:21], s[38:39], v[20:21]
	v_fma_f64 v[22:23], s[38:39], v[18:19], -v[22:23]
	v_fma_f64 v[18:19], s[40:41], v[18:19], v[20:21]
	v_add_f64 v[0:1], v[0:1], v[22:23]
	v_add_f64 v[2:3], v[2:3], v[18:19]
.LBB271_24:
	global_store_dwordx4 v[16:17], v[0:3], off
.LBB271_25:
	s_or_b32 exec_lo, exec_lo, s1
	v_add_nc_u32_e32 v18, 16, v25
	v_ashrrev_i32_e32 v2, 31, v18
	v_mul_lo_u32 v3, s29, v18
	v_mad_u64_u32 v[0:1], null, s28, v18, 0
	v_cmp_gt_i32_e64 s0, s4, v18
	v_mul_lo_u32 v2, s28, v2
	v_cmp_le_i32_e32 vcc_lo, v4, v18
	v_add3_u32 v1, v1, v2, v3
	v_lshlrev_b64 v[0:1], 4, v[0:1]
	v_add_co_u32 v16, s1, s2, v0
	v_add_co_ci_u32_e64 v17, null, s3, v1, s1
	s_and_b32 s1, s0, vcc_lo
	s_and_saveexec_b32 s2, s1
	s_cbranch_execz .LBB271_29
; %bb.26:
	v_mul_f64 v[0:1], s[16:17], v[14:15]
	v_mul_f64 v[2:3], s[14:15], v[14:15]
	v_lshlrev_b64 v[4:5], 4, v[4:5]
	v_cmp_ne_u32_e32 vcc_lo, 1, v24
	s_and_b32 vcc_lo, exec_lo, vcc_lo
	v_add_co_u32 v4, s1, v16, v4
	v_add_co_ci_u32_e64 v5, null, v17, v5, s1
	v_fma_f64 v[0:1], s[14:15], v[12:13], -v[0:1]
	v_fma_f64 v[2:3], s[16:17], v[12:13], v[2:3]
	s_cbranch_vccnz .LBB271_28
; %bb.27:
	global_load_dwordx4 v[12:15], v[4:5], off
	s_waitcnt vmcnt(0)
	v_mul_f64 v[19:20], s[40:41], v[14:15]
	v_mul_f64 v[14:15], s[38:39], v[14:15]
	v_fma_f64 v[19:20], s[38:39], v[12:13], -v[19:20]
	v_fma_f64 v[12:13], s[40:41], v[12:13], v[14:15]
	v_add_f64 v[0:1], v[0:1], v[19:20]
	v_add_f64 v[2:3], v[2:3], v[12:13]
.LBB271_28:
	global_store_dwordx4 v[4:5], v[0:3], off
.LBB271_29:
	s_or_b32 exec_lo, exec_lo, s2
	v_cmp_le_i32_e32 vcc_lo, v6, v18
	s_and_b32 s0, s0, vcc_lo
	s_and_saveexec_b32 s1, s0
	s_cbranch_execz .LBB271_34
; %bb.30:
	v_mul_f64 v[0:1], s[16:17], v[8:9]
	v_mul_f64 v[2:3], s[14:15], v[8:9]
	v_lshlrev_b64 v[4:5], 4, v[6:7]
	v_cmp_ne_u32_e32 vcc_lo, 1, v24
	s_and_b32 vcc_lo, exec_lo, vcc_lo
	v_add_co_u32 v4, s0, v16, v4
	v_add_co_ci_u32_e64 v5, null, v17, v5, s0
	v_fma_f64 v[0:1], s[14:15], v[10:11], -v[0:1]
	v_fma_f64 v[2:3], s[16:17], v[10:11], v[2:3]
	s_cbranch_vccnz .LBB271_32
; %bb.31:
	global_load_dwordx4 v[6:9], v[4:5], off
	s_waitcnt vmcnt(0)
	v_mul_f64 v[10:11], s[40:41], v[8:9]
	v_mul_f64 v[8:9], s[38:39], v[8:9]
	v_fma_f64 v[10:11], s[38:39], v[6:7], -v[10:11]
	v_fma_f64 v[6:7], s[40:41], v[6:7], v[8:9]
	v_add_f64 v[0:1], v[0:1], v[10:11]
	v_add_f64 v[2:3], v[2:3], v[6:7]
.LBB271_32:
	global_store_dwordx4 v[4:5], v[0:3], off
	s_endpgm
.LBB271_33:
.LBB271_34:
	s_endpgm
	.section	.rodata,"a",@progbits
	.p2align	6, 0x0
	.amdhsa_kernel _ZL29rocblas_internal_gemmt_kernelIlLi16ELi32ELi8ELc78ELc84ELc85ELb0ELb0E19rocblas_complex_numIdES1_PKS1_PS1_EviT_T9_T10_S5_lS7_S5_lS6_T11_S5_li
		.amdhsa_group_segment_fixed_size 8192
		.amdhsa_private_segment_fixed_size 0
		.amdhsa_kernarg_size 124
		.amdhsa_user_sgpr_count 6
		.amdhsa_user_sgpr_private_segment_buffer 1
		.amdhsa_user_sgpr_dispatch_ptr 0
		.amdhsa_user_sgpr_queue_ptr 0
		.amdhsa_user_sgpr_kernarg_segment_ptr 1
		.amdhsa_user_sgpr_dispatch_id 0
		.amdhsa_user_sgpr_flat_scratch_init 0
		.amdhsa_user_sgpr_private_segment_size 0
		.amdhsa_wavefront_size32 1
		.amdhsa_uses_dynamic_stack 0
		.amdhsa_system_sgpr_private_segment_wavefront_offset 0
		.amdhsa_system_sgpr_workgroup_id_x 1
		.amdhsa_system_sgpr_workgroup_id_y 1
		.amdhsa_system_sgpr_workgroup_id_z 1
		.amdhsa_system_sgpr_workgroup_info 0
		.amdhsa_system_vgpr_workitem_id 1
		.amdhsa_next_free_vgpr 58
		.amdhsa_next_free_sgpr 44
		.amdhsa_reserve_vcc 1
		.amdhsa_reserve_flat_scratch 0
		.amdhsa_float_round_mode_32 0
		.amdhsa_float_round_mode_16_64 0
		.amdhsa_float_denorm_mode_32 3
		.amdhsa_float_denorm_mode_16_64 3
		.amdhsa_dx10_clamp 1
		.amdhsa_ieee_mode 1
		.amdhsa_fp16_overflow 0
		.amdhsa_workgroup_processor_mode 1
		.amdhsa_memory_ordered 1
		.amdhsa_forward_progress 1
		.amdhsa_shared_vgpr_count 0
		.amdhsa_exception_fp_ieee_invalid_op 0
		.amdhsa_exception_fp_denorm_src 0
		.amdhsa_exception_fp_ieee_div_zero 0
		.amdhsa_exception_fp_ieee_overflow 0
		.amdhsa_exception_fp_ieee_underflow 0
		.amdhsa_exception_fp_ieee_inexact 0
		.amdhsa_exception_int_div_zero 0
	.end_amdhsa_kernel
	.section	.text._ZL29rocblas_internal_gemmt_kernelIlLi16ELi32ELi8ELc78ELc84ELc85ELb0ELb0E19rocblas_complex_numIdES1_PKS1_PS1_EviT_T9_T10_S5_lS7_S5_lS6_T11_S5_li,"axG",@progbits,_ZL29rocblas_internal_gemmt_kernelIlLi16ELi32ELi8ELc78ELc84ELc85ELb0ELb0E19rocblas_complex_numIdES1_PKS1_PS1_EviT_T9_T10_S5_lS7_S5_lS6_T11_S5_li,comdat
.Lfunc_end271:
	.size	_ZL29rocblas_internal_gemmt_kernelIlLi16ELi32ELi8ELc78ELc84ELc85ELb0ELb0E19rocblas_complex_numIdES1_PKS1_PS1_EviT_T9_T10_S5_lS7_S5_lS6_T11_S5_li, .Lfunc_end271-_ZL29rocblas_internal_gemmt_kernelIlLi16ELi32ELi8ELc78ELc84ELc85ELb0ELb0E19rocblas_complex_numIdES1_PKS1_PS1_EviT_T9_T10_S5_lS7_S5_lS6_T11_S5_li
                                        ; -- End function
	.set _ZL29rocblas_internal_gemmt_kernelIlLi16ELi32ELi8ELc78ELc84ELc85ELb0ELb0E19rocblas_complex_numIdES1_PKS1_PS1_EviT_T9_T10_S5_lS7_S5_lS6_T11_S5_li.num_vgpr, 58
	.set _ZL29rocblas_internal_gemmt_kernelIlLi16ELi32ELi8ELc78ELc84ELc85ELb0ELb0E19rocblas_complex_numIdES1_PKS1_PS1_EviT_T9_T10_S5_lS7_S5_lS6_T11_S5_li.num_agpr, 0
	.set _ZL29rocblas_internal_gemmt_kernelIlLi16ELi32ELi8ELc78ELc84ELc85ELb0ELb0E19rocblas_complex_numIdES1_PKS1_PS1_EviT_T9_T10_S5_lS7_S5_lS6_T11_S5_li.numbered_sgpr, 44
	.set _ZL29rocblas_internal_gemmt_kernelIlLi16ELi32ELi8ELc78ELc84ELc85ELb0ELb0E19rocblas_complex_numIdES1_PKS1_PS1_EviT_T9_T10_S5_lS7_S5_lS6_T11_S5_li.num_named_barrier, 0
	.set _ZL29rocblas_internal_gemmt_kernelIlLi16ELi32ELi8ELc78ELc84ELc85ELb0ELb0E19rocblas_complex_numIdES1_PKS1_PS1_EviT_T9_T10_S5_lS7_S5_lS6_T11_S5_li.private_seg_size, 0
	.set _ZL29rocblas_internal_gemmt_kernelIlLi16ELi32ELi8ELc78ELc84ELc85ELb0ELb0E19rocblas_complex_numIdES1_PKS1_PS1_EviT_T9_T10_S5_lS7_S5_lS6_T11_S5_li.uses_vcc, 1
	.set _ZL29rocblas_internal_gemmt_kernelIlLi16ELi32ELi8ELc78ELc84ELc85ELb0ELb0E19rocblas_complex_numIdES1_PKS1_PS1_EviT_T9_T10_S5_lS7_S5_lS6_T11_S5_li.uses_flat_scratch, 0
	.set _ZL29rocblas_internal_gemmt_kernelIlLi16ELi32ELi8ELc78ELc84ELc85ELb0ELb0E19rocblas_complex_numIdES1_PKS1_PS1_EviT_T9_T10_S5_lS7_S5_lS6_T11_S5_li.has_dyn_sized_stack, 0
	.set _ZL29rocblas_internal_gemmt_kernelIlLi16ELi32ELi8ELc78ELc84ELc85ELb0ELb0E19rocblas_complex_numIdES1_PKS1_PS1_EviT_T9_T10_S5_lS7_S5_lS6_T11_S5_li.has_recursion, 0
	.set _ZL29rocblas_internal_gemmt_kernelIlLi16ELi32ELi8ELc78ELc84ELc85ELb0ELb0E19rocblas_complex_numIdES1_PKS1_PS1_EviT_T9_T10_S5_lS7_S5_lS6_T11_S5_li.has_indirect_call, 0
	.section	.AMDGPU.csdata,"",@progbits
; Kernel info:
; codeLenInByte = 3636
; TotalNumSgprs: 46
; NumVgprs: 58
; ScratchSize: 0
; MemoryBound: 0
; FloatMode: 240
; IeeeMode: 1
; LDSByteSize: 8192 bytes/workgroup (compile time only)
; SGPRBlocks: 0
; VGPRBlocks: 7
; NumSGPRsForWavesPerEU: 46
; NumVGPRsForWavesPerEU: 58
; Occupancy: 16
; WaveLimiterHint : 0
; COMPUTE_PGM_RSRC2:SCRATCH_EN: 0
; COMPUTE_PGM_RSRC2:USER_SGPR: 6
; COMPUTE_PGM_RSRC2:TRAP_HANDLER: 0
; COMPUTE_PGM_RSRC2:TGID_X_EN: 1
; COMPUTE_PGM_RSRC2:TGID_Y_EN: 1
; COMPUTE_PGM_RSRC2:TGID_Z_EN: 1
; COMPUTE_PGM_RSRC2:TIDIG_COMP_CNT: 1
	.section	.text._ZL29rocblas_internal_gemmt_kernelIlLi16ELi32ELi8ELc78ELc67ELc85ELb0ELb1E19rocblas_complex_numIdES1_PKS1_PS1_EviT_T9_T10_S5_lS7_S5_lS6_T11_S5_li,"axG",@progbits,_ZL29rocblas_internal_gemmt_kernelIlLi16ELi32ELi8ELc78ELc67ELc85ELb0ELb1E19rocblas_complex_numIdES1_PKS1_PS1_EviT_T9_T10_S5_lS7_S5_lS6_T11_S5_li,comdat
	.globl	_ZL29rocblas_internal_gemmt_kernelIlLi16ELi32ELi8ELc78ELc67ELc85ELb0ELb1E19rocblas_complex_numIdES1_PKS1_PS1_EviT_T9_T10_S5_lS7_S5_lS6_T11_S5_li ; -- Begin function _ZL29rocblas_internal_gemmt_kernelIlLi16ELi32ELi8ELc78ELc67ELc85ELb0ELb1E19rocblas_complex_numIdES1_PKS1_PS1_EviT_T9_T10_S5_lS7_S5_lS6_T11_S5_li
	.p2align	8
	.type	_ZL29rocblas_internal_gemmt_kernelIlLi16ELi32ELi8ELc78ELc67ELc85ELb0ELb1E19rocblas_complex_numIdES1_PKS1_PS1_EviT_T9_T10_S5_lS7_S5_lS6_T11_S5_li,@function
_ZL29rocblas_internal_gemmt_kernelIlLi16ELi32ELi8ELc78ELc67ELc85ELb0ELb1E19rocblas_complex_numIdES1_PKS1_PS1_EviT_T9_T10_S5_lS7_S5_lS6_T11_S5_li: ; @_ZL29rocblas_internal_gemmt_kernelIlLi16ELi32ELi8ELc78ELc67ELc85ELb0ELb1E19rocblas_complex_numIdES1_PKS1_PS1_EviT_T9_T10_S5_lS7_S5_lS6_T11_S5_li
; %bb.0:
	s_clause 0x1
	s_load_dwordx8 s[36:43], s[4:5], 0x48
	s_load_dwordx16 s[12:27], s[4:5], 0x8
	s_waitcnt lgkmcnt(0)
	v_cmp_eq_f64_e64 s0, s[38:39], 1.0
	v_cmp_eq_f64_e64 s9, s[40:41], 0
	s_and_b32 s0, s0, s9
	s_andn2_b32 vcc_lo, exec_lo, s0
	s_mov_b32 s0, -1
	s_cbranch_vccnz .LBB272_3
; %bb.1:
	s_cmp_lg_u64 s[12:13], 0
	s_cbranch_scc0 .LBB272_31
; %bb.2:
	v_cmp_neq_f64_e64 s0, s[14:15], 0
	v_cmp_neq_f64_e64 s1, s[16:17], 0
	s_or_b32 s0, s0, s1
.LBB272_3:
	s_and_b32 vcc_lo, exec_lo, s0
	s_cbranch_vccz .LBB272_32
; %bb.4:
	v_cmp_eq_f64_e64 s0, s[14:15], 0
	v_cmp_eq_f64_e64 s1, s[16:17], 0
	s_clause 0x1
	s_load_dwordx4 s[28:31], s[4:5], 0x68
	s_load_dword s4, s[4:5], 0x0
	v_cmp_lt_i64_e64 s2, s[12:13], 1
	v_mov_b32_e32 v22, 0
	v_mov_b32_e32 v24, 0
	v_mov_b32_e32 v18, 0
	v_mov_b32_e32 v20, 0
	v_mov_b32_e32 v14, 0
	v_mov_b32_e32 v16, 0
	v_mov_b32_e32 v12, 0
	v_mov_b32_e32 v10, 0
	v_mov_b32_e32 v23, 0
	v_mov_b32_e32 v25, 0
	v_mov_b32_e32 v19, 0
	v_mov_b32_e32 v21, 0
	v_mov_b32_e32 v15, 0
	v_mov_b32_e32 v17, 0
	v_mov_b32_e32 v13, 0
	v_mov_b32_e32 v11, 0
	s_lshl_b32 s5, s6, 5
	s_lshl_b32 s6, s7, 5
	s_and_b32 s0, s0, s1
	s_or_b32 s0, s0, s2
	s_and_b32 vcc_lo, exec_lo, s0
	s_cbranch_vccnz .LBB272_15
; %bb.5:
	v_lshl_add_u32 v2, v1, 4, v0
	s_mul_i32 s0, s37, s8
	s_mul_hi_u32 s1, s36, s8
	v_and_b32_e32 v26, 7, v0
	s_add_i32 s1, s1, s0
	v_and_b32_e32 v5, 31, v2
	v_lshrrev_b32_e32 v8, 3, v2
	v_lshrrev_b32_e32 v27, 5, v2
	s_mul_i32 s0, s36, s8
	s_mul_hi_u32 s3, s22, s8
	v_or_b32_e32 v2, s5, v5
	v_add_nc_u32_e32 v4, s6, v8
	s_lshl_b64 s[0:1], s[0:1], 4
	v_lshlrev_b32_e32 v9, 4, v5
	s_add_u32 s2, s24, s0
	v_ashrrev_i32_e32 v3, 31, v2
	s_mul_i32 s0, s23, s8
	v_ashrrev_i32_e32 v5, 31, v4
	s_addc_u32 s10, s25, s1
	s_add_i32 s1, s3, s0
	s_mul_i32 s0, s22, s8
	v_lshlrev_b32_e32 v10, 4, v26
	s_lshl_b64 s[0:1], s[0:1], 4
	v_lshlrev_b64 v[6:7], 4, v[2:3]
	s_add_u32 s3, s18, s0
	s_waitcnt lgkmcnt(0)
	v_cmp_gt_i32_e64 s0, s4, v2
	v_cmp_le_i32_e64 s7, s4, v2
	v_lshlrev_b64 v[2:3], 4, v[4:5]
	v_lshl_or_b32 v8, v8, 7, v10
	s_addc_u32 s1, s19, s1
	v_add_co_u32 v29, vcc_lo, s3, v6
	v_add_co_ci_u32_e64 v30, null, s1, v7, vcc_lo
	v_add_co_u32 v32, vcc_lo, s2, v2
	v_mov_b32_e32 v10, 0
	v_mov_b32_e32 v12, 0
	;; [unrolled: 1-line block ×8, first 2 shown]
	v_lshl_or_b32 v28, v27, 9, v9
	v_cmp_gt_i32_e64 s1, s4, v4
	v_add_nc_u32_e32 v31, 0x1000, v8
	v_add_co_ci_u32_e64 v33, null, s10, v3, vcc_lo
	v_lshlrev_b32_e32 v34, 4, v0
	v_lshl_add_u32 v35, v1, 7, 0x1000
	v_mov_b32_e32 v11, 0
	v_mov_b32_e32 v13, 0
	;; [unrolled: 1-line block ×9, first 2 shown]
	s_mov_b64 s[2:3], 0
                                        ; implicit-def: $vgpr8_vgpr9
	s_branch .LBB272_7
.LBB272_6:                              ;   in Loop: Header=BB272_7 Depth=1
	s_or_b32 exec_lo, exec_lo, s10
	ds_write_b128 v31, v[4:7]
	s_waitcnt lgkmcnt(0)
	s_barrier
	buffer_gl0_inv
	ds_read_b128 v[4:7], v35
	ds_read_b128 v[36:39], v34
	ds_read_b128 v[40:43], v34 offset:256
	ds_read_b128 v[44:47], v35 offset:2048
	;; [unrolled: 1-line block ×11, first 2 shown]
	s_add_u32 s2, s2, 8
	s_addc_u32 s3, s3, 0
	v_cmp_gt_i64_e64 s10, s[12:13], s[2:3]
	s_waitcnt lgkmcnt(11)
	v_mul_f64 v[84:85], v[6:7], v[38:39]
	v_mul_f64 v[86:87], v[4:5], v[38:39]
	s_waitcnt lgkmcnt(10)
	v_mul_f64 v[88:89], v[6:7], v[42:43]
	v_mul_f64 v[90:91], v[4:5], v[42:43]
	;; [unrolled: 3-line block ×3, first 2 shown]
	v_mul_f64 v[94:95], v[46:47], v[42:43]
	v_mul_f64 v[42:43], v[44:45], v[42:43]
	s_waitcnt lgkmcnt(7)
	v_mul_f64 v[96:97], v[50:51], v[54:55]
	v_mul_f64 v[98:99], v[48:49], v[54:55]
	s_waitcnt lgkmcnt(6)
	v_mul_f64 v[100:101], v[50:51], v[58:59]
	s_waitcnt lgkmcnt(5)
	v_mul_f64 v[104:105], v[62:63], v[54:55]
	v_mul_f64 v[54:55], v[60:61], v[54:55]
	;; [unrolled: 1-line block ×5, first 2 shown]
	s_waitcnt lgkmcnt(3)
	v_mul_f64 v[108:109], v[70:71], v[66:67]
	v_mul_f64 v[110:111], v[68:69], v[66:67]
	s_and_b32 vcc_lo, exec_lo, s10
	v_fma_f64 v[84:85], v[4:5], v[36:37], -v[84:85]
	v_fma_f64 v[86:87], v[6:7], v[36:37], v[86:87]
	v_fma_f64 v[88:89], v[4:5], v[40:41], -v[88:89]
	v_fma_f64 v[90:91], v[6:7], v[40:41], v[90:91]
	;; [unrolled: 2-line block ×3, first 2 shown]
	v_fma_f64 v[94:95], v[44:45], v[40:41], -v[94:95]
	ds_read_b128 v[4:7], v34 offset:1536
	s_waitcnt lgkmcnt(3)
	v_mul_f64 v[112:113], v[70:71], v[74:75]
	v_mul_f64 v[114:115], v[68:69], v[74:75]
	v_fma_f64 v[118:119], v[46:47], v[40:41], v[42:43]
	v_fma_f64 v[96:97], v[48:49], v[52:53], -v[96:97]
	v_fma_f64 v[98:99], v[50:51], v[52:53], v[98:99]
	v_fma_f64 v[48:49], v[48:49], v[56:57], -v[100:101]
	s_waitcnt lgkmcnt(2)
	v_mul_f64 v[44:45], v[78:79], v[66:67]
	v_fma_f64 v[100:101], v[60:61], v[52:53], -v[104:105]
	v_fma_f64 v[52:53], v[62:63], v[52:53], v[54:55]
	v_mul_f64 v[46:47], v[76:77], v[66:67]
	v_mul_f64 v[54:55], v[78:79], v[74:75]
	v_mul_f64 v[66:67], v[76:77], v[74:75]
	v_fma_f64 v[50:51], v[50:51], v[56:57], v[102:103]
	v_fma_f64 v[60:61], v[60:61], v[56:57], -v[106:107]
	v_fma_f64 v[56:57], v[62:63], v[56:57], v[58:59]
	v_fma_f64 v[58:59], v[68:69], v[64:65], -v[108:109]
	v_fma_f64 v[62:63], v[70:71], v[64:65], v[110:111]
	v_add_f64 v[84:85], v[22:23], v[84:85]
	v_add_f64 v[86:87], v[86:87], v[24:25]
	;; [unrolled: 1-line block ×5, first 2 shown]
	v_fma_f64 v[68:69], v[68:69], v[72:73], -v[112:113]
	v_fma_f64 v[70:71], v[70:71], v[72:73], v[114:115]
	v_add_f64 v[106:107], v[116:117], v[16:17]
	ds_read_b128 v[36:39], v34 offset:1792
	ds_read_b128 v[40:43], v35 offset:2096
	s_waitcnt lgkmcnt(2)
	v_mul_f64 v[74:75], v[82:83], v[6:7]
	v_mul_f64 v[102:103], v[80:81], v[6:7]
	v_fma_f64 v[110:111], v[76:77], v[64:65], -v[44:45]
	ds_read_b128 v[14:17], v35 offset:64
	v_fma_f64 v[64:65], v[78:79], v[64:65], v[46:47]
	v_fma_f64 v[76:77], v[76:77], v[72:73], -v[54:55]
	v_fma_f64 v[66:67], v[78:79], v[72:73], v[66:67]
	v_add_f64 v[54:55], v[12:13], v[94:95]
	v_add_f64 v[72:73], v[118:119], v[10:11]
	ds_read_b128 v[18:21], v34 offset:2048
	ds_read_b128 v[22:25], v34 offset:2304
	ds_read_b128 v[44:47], v35 offset:2112
	ds_read_b128 v[10:13], v34 offset:2560
	v_add_f64 v[84:85], v[84:85], v[96:97]
	v_add_f64 v[86:87], v[98:99], v[86:87]
	;; [unrolled: 1-line block ×5, first 2 shown]
	s_waitcnt lgkmcnt(6)
	v_mul_f64 v[104:105], v[82:83], v[38:39]
	v_mul_f64 v[108:109], v[80:81], v[38:39]
	s_waitcnt lgkmcnt(5)
	v_mul_f64 v[112:113], v[42:43], v[6:7]
	v_mul_f64 v[6:7], v[40:41], v[6:7]
	v_add_f64 v[52:53], v[52:53], v[106:107]
	v_mul_f64 v[94:95], v[42:43], v[38:39]
	v_mul_f64 v[38:39], v[40:41], v[38:39]
	v_fma_f64 v[74:75], v[80:81], v[4:5], -v[74:75]
	v_fma_f64 v[78:79], v[82:83], v[4:5], v[102:103]
	ds_read_b128 v[48:51], v35 offset:2128
	s_waitcnt lgkmcnt(4)
	v_mul_f64 v[100:101], v[16:17], v[20:21]
	v_mul_f64 v[102:103], v[14:15], v[20:21]
	v_add_f64 v[60:61], v[54:55], v[60:61]
	v_add_f64 v[56:57], v[56:57], v[72:73]
	s_waitcnt lgkmcnt(3)
	v_mul_f64 v[106:107], v[14:15], v[24:25]
	s_waitcnt lgkmcnt(2)
	v_mul_f64 v[72:73], v[46:47], v[20:21]
	v_mul_f64 v[20:21], v[44:45], v[20:21]
	v_add_f64 v[58:59], v[84:85], v[58:59]
	v_add_f64 v[62:63], v[62:63], v[86:87]
	;; [unrolled: 1-line block ×5, first 2 shown]
	v_fma_f64 v[80:81], v[80:81], v[36:37], -v[104:105]
	v_fma_f64 v[82:83], v[82:83], v[36:37], v[108:109]
	v_fma_f64 v[96:97], v[40:41], v[4:5], -v[112:113]
	v_fma_f64 v[98:99], v[42:43], v[4:5], v[6:7]
	v_mul_f64 v[104:105], v[16:17], v[24:25]
	v_add_f64 v[64:65], v[64:65], v[52:53]
	v_mul_f64 v[86:87], v[46:47], v[24:25]
	v_mul_f64 v[24:25], v[44:45], v[24:25]
	v_fma_f64 v[40:41], v[40:41], v[36:37], -v[94:95]
	v_fma_f64 v[42:43], v[42:43], v[36:37], v[38:39]
	ds_read_b128 v[4:7], v35 offset:80
	ds_read_b128 v[52:55], v34 offset:2816
	v_add_f64 v[60:61], v[60:61], v[76:77]
	v_add_f64 v[56:57], v[66:67], v[56:57]
	v_fma_f64 v[90:91], v[14:15], v[18:19], -v[100:101]
	v_fma_f64 v[92:93], v[16:17], v[18:19], v[102:103]
	v_fma_f64 v[100:101], v[16:17], v[22:23], v[106:107]
	v_fma_f64 v[66:67], v[44:45], v[18:19], -v[72:73]
	v_add_f64 v[58:59], v[58:59], v[74:75]
	v_add_f64 v[62:63], v[78:79], v[62:63]
	v_fma_f64 v[72:73], v[46:47], v[18:19], v[20:21]
	v_add_f64 v[68:69], v[68:69], v[80:81]
	v_add_f64 v[70:71], v[82:83], v[70:71]
	;; [unrolled: 1-line block ×3, first 2 shown]
	s_waitcnt lgkmcnt(2)
	v_mul_f64 v[82:83], v[50:51], v[12:13]
	v_fma_f64 v[94:95], v[14:15], v[22:23], -v[104:105]
	v_add_f64 v[64:65], v[98:99], v[64:65]
	v_fma_f64 v[44:45], v[44:45], v[22:23], -v[86:87]
	v_fma_f64 v[46:47], v[46:47], v[22:23], v[24:25]
	s_waitcnt lgkmcnt(1)
	v_mul_f64 v[88:89], v[6:7], v[12:13]
	v_mul_f64 v[76:77], v[4:5], v[12:13]
	s_waitcnt lgkmcnt(0)
	v_mul_f64 v[78:79], v[6:7], v[54:55]
	v_mul_f64 v[80:81], v[4:5], v[54:55]
	;; [unrolled: 1-line block ×5, first 2 shown]
	v_add_f64 v[40:41], v[60:61], v[40:41]
	v_add_f64 v[42:43], v[42:43], v[56:57]
	ds_read_b128 v[14:17], v35 offset:96
	ds_read_b128 v[18:21], v34 offset:3072
	;; [unrolled: 1-line block ×4, first 2 shown]
	v_add_f64 v[56:57], v[58:59], v[90:91]
	v_add_f64 v[58:59], v[92:93], v[62:63]
	;; [unrolled: 1-line block ×3, first 2 shown]
	v_fma_f64 v[82:83], v[48:49], v[10:11], -v[82:83]
	v_add_f64 v[62:63], v[68:69], v[94:95]
	v_add_f64 v[68:69], v[100:101], v[70:71]
	;; [unrolled: 1-line block ×3, first 2 shown]
	v_fma_f64 v[60:61], v[4:5], v[10:11], -v[88:89]
	v_fma_f64 v[70:71], v[6:7], v[10:11], v[76:77]
	v_fma_f64 v[72:73], v[4:5], v[52:53], -v[78:79]
	v_fma_f64 v[74:75], v[6:7], v[52:53], v[80:81]
	ds_read_b128 v[4:7], v35 offset:112
	v_fma_f64 v[88:89], v[50:51], v[10:11], v[12:13]
	s_waitcnt lgkmcnt(3)
	v_mul_f64 v[76:77], v[16:17], v[20:21]
	v_mul_f64 v[78:79], v[14:15], v[20:21]
	s_waitcnt lgkmcnt(2)
	v_mul_f64 v[80:81], v[16:17], v[38:39]
	v_mul_f64 v[86:87], v[14:15], v[38:39]
	v_fma_f64 v[48:49], v[48:49], v[52:53], -v[84:85]
	v_fma_f64 v[50:51], v[50:51], v[52:53], v[54:55]
	v_add_f64 v[52:53], v[40:41], v[44:45]
	v_add_f64 v[46:47], v[46:47], v[42:43]
	s_waitcnt lgkmcnt(1)
	v_mul_f64 v[54:55], v[24:25], v[20:21]
	v_mul_f64 v[20:21], v[22:23], v[20:21]
	;; [unrolled: 1-line block ×4, first 2 shown]
	ds_read_b128 v[10:13], v35 offset:2160
	ds_read_b128 v[38:41], v34 offset:3584
	;; [unrolled: 1-line block ×3, first 2 shown]
	v_add_f64 v[66:67], v[66:67], v[82:83]
	s_waitcnt lgkmcnt(0)
	v_add_f64 v[56:57], v[56:57], v[60:61]
	v_add_f64 v[58:59], v[70:71], v[58:59]
	;; [unrolled: 1-line block ×4, first 2 shown]
	s_barrier
	v_add_f64 v[64:65], v[88:89], v[64:65]
	v_fma_f64 v[60:61], v[14:15], v[18:19], -v[76:77]
	v_fma_f64 v[70:71], v[16:17], v[18:19], v[78:79]
	v_fma_f64 v[14:15], v[14:15], v[36:37], -v[80:81]
	v_fma_f64 v[16:17], v[16:17], v[36:37], v[86:87]
	buffer_gl0_inv
	v_add_f64 v[48:49], v[52:53], v[48:49]
	v_add_f64 v[46:47], v[50:51], v[46:47]
	v_fma_f64 v[50:51], v[22:23], v[18:19], -v[54:55]
	v_fma_f64 v[18:19], v[24:25], v[18:19], v[20:21]
	v_fma_f64 v[20:21], v[22:23], v[36:37], -v[84:85]
	v_fma_f64 v[22:23], v[24:25], v[36:37], v[90:91]
	v_mul_f64 v[24:25], v[6:7], v[40:41]
	v_mul_f64 v[36:37], v[4:5], v[40:41]
	;; [unrolled: 1-line block ×8, first 2 shown]
	v_add_f64 v[56:57], v[56:57], v[60:61]
	v_add_f64 v[58:59], v[70:71], v[58:59]
	;; [unrolled: 1-line block ×8, first 2 shown]
	v_fma_f64 v[18:19], v[4:5], v[38:39], -v[24:25]
	v_fma_f64 v[20:21], v[6:7], v[38:39], v[36:37]
	v_fma_f64 v[4:5], v[4:5], v[42:43], -v[52:53]
	v_fma_f64 v[6:7], v[6:7], v[42:43], v[54:55]
	;; [unrolled: 2-line block ×4, first 2 shown]
	v_add_f64 v[22:23], v[56:57], v[18:19]
	v_add_f64 v[24:25], v[20:21], v[58:59]
	;; [unrolled: 1-line block ×8, first 2 shown]
	s_cbranch_vccz .LBB272_15
.LBB272_7:                              ; =>This Inner Loop Header: Depth=1
	s_mov_b32 s18, s7
	s_mov_b32 s10, 0
	s_and_saveexec_b32 s11, s0
	s_cbranch_execnz .LBB272_13
; %bb.8:                                ;   in Loop: Header=BB272_7 Depth=1
	s_or_b32 exec_lo, exec_lo, s11
	s_and_saveexec_b32 s11, s18
	s_xor_b32 s11, exec_lo, s11
	s_cbranch_execnz .LBB272_14
.LBB272_9:                              ;   in Loop: Header=BB272_7 Depth=1
	s_or_b32 exec_lo, exec_lo, s11
	s_and_saveexec_b32 s11, s10
	s_cbranch_execz .LBB272_11
.LBB272_10:                             ;   in Loop: Header=BB272_7 Depth=1
	v_mul_lo_u32 v2, s21, v8
	v_mul_lo_u32 v6, s20, v9
	v_mad_u64_u32 v[4:5], null, s20, v8, 0
	v_add3_u32 v5, v5, v6, v2
	v_lshlrev_b64 v[4:5], 4, v[4:5]
	v_add_co_u32 v4, vcc_lo, v29, v4
	v_add_co_ci_u32_e64 v5, null, v30, v5, vcc_lo
	global_load_dwordx4 v[4:7], v[4:5], off
	s_waitcnt vmcnt(0)
	ds_write2_b64 v28, v[4:5], v[6:7] offset1:1
.LBB272_11:                             ;   in Loop: Header=BB272_7 Depth=1
	s_or_b32 exec_lo, exec_lo, s11
	v_add_nc_u32_e32 v2, s2, v26
	v_mov_b32_e32 v4, 0
	v_mov_b32_e32 v6, 0
	;; [unrolled: 1-line block ×4, first 2 shown]
	v_cmp_gt_u64_e32 vcc_lo, s[12:13], v[2:3]
	s_and_b32 s11, vcc_lo, s1
	s_and_saveexec_b32 s10, s11
	s_cbranch_execz .LBB272_6
; %bb.12:                               ;   in Loop: Header=BB272_7 Depth=1
	v_mad_u64_u32 v[4:5], null, s26, v2, 0
	v_mad_u64_u32 v[5:6], null, s27, v2, v[5:6]
	v_lshlrev_b64 v[4:5], 4, v[4:5]
	v_add_co_u32 v4, vcc_lo, v32, v4
	v_add_co_ci_u32_e64 v5, null, v33, v5, vcc_lo
	global_load_dwordx4 v[4:7], v[4:5], off
	s_waitcnt vmcnt(0)
	v_xor_b32_e32 v7, 0x80000000, v7
	s_branch .LBB272_6
.LBB272_13:                             ;   in Loop: Header=BB272_7 Depth=1
	v_add_nc_u32_e32 v2, s2, v27
	v_mov_b32_e32 v9, v3
	s_andn2_b32 s18, s7, exec_lo
	s_mov_b32 s10, exec_lo
	v_cmp_le_u64_e32 vcc_lo, s[12:13], v[2:3]
	v_mov_b32_e32 v8, v2
	s_and_b32 s19, vcc_lo, exec_lo
	s_or_b32 s18, s18, s19
	s_or_b32 exec_lo, exec_lo, s11
	s_and_saveexec_b32 s11, s18
	s_xor_b32 s11, exec_lo, s11
	s_cbranch_execz .LBB272_9
.LBB272_14:                             ;   in Loop: Header=BB272_7 Depth=1
	v_mov_b32_e32 v2, v3
	v_mov_b32_e32 v4, v3
	;; [unrolled: 1-line block ×3, first 2 shown]
	s_andn2_b32 s10, s10, exec_lo
	ds_write_b128 v28, v[2:5]
	s_or_b32 exec_lo, exec_lo, s11
	s_and_saveexec_b32 s11, s10
	s_cbranch_execnz .LBB272_10
	s_branch .LBB272_11
.LBB272_15:
	v_add_nc_u32_e32 v27, s6, v1
	v_cmp_neq_f64_e64 s6, s[38:39], 0
	s_waitcnt lgkmcnt(0)
	s_mul_i32 s1, s31, s8
	s_mul_hi_u32 s2, s30, s8
	s_mul_i32 s0, s30, s8
	v_ashrrev_i32_e32 v3, 31, v27
	v_mul_lo_u32 v5, s29, v27
	v_mad_u64_u32 v[1:2], null, s28, v27, 0
	s_add_i32 s1, s2, s1
	v_mul_lo_u32 v3, s28, v3
	v_add_nc_u32_e32 v4, s5, v0
	s_lshl_b64 s[2:3], s[0:1], 4
	v_cmp_gt_i32_e64 s0, s4, v27
	s_add_u32 s2, s42, s2
	s_addc_u32 s3, s43, s3
	s_xor_b32 s5, s9, -1
	v_cmp_le_i32_e32 vcc_lo, v4, v27
	v_add3_u32 v2, v2, v3, v5
	v_ashrrev_i32_e32 v5, 31, v4
	s_or_b32 s5, s6, s5
	v_lshlrev_b64 v[0:1], 4, v[1:2]
	v_cndmask_b32_e64 v26, 0, 1, s5
	s_and_b32 s6, s0, vcc_lo
	v_add_co_u32 v8, s1, s2, v0
	v_add_co_ci_u32_e64 v9, null, s3, v1, s1
	s_and_saveexec_b32 s1, s6
	s_cbranch_execz .LBB272_19
; %bb.16:
	v_mul_f64 v[0:1], s[16:17], v[24:25]
	v_mul_f64 v[2:3], s[14:15], v[24:25]
	v_lshlrev_b64 v[6:7], 4, v[4:5]
	v_add_co_u32 v6, vcc_lo, v8, v6
	v_add_co_ci_u32_e64 v7, null, v9, v7, vcc_lo
	s_andn2_b32 vcc_lo, exec_lo, s5
	v_fma_f64 v[0:1], s[14:15], v[22:23], -v[0:1]
	v_fma_f64 v[2:3], s[16:17], v[22:23], v[2:3]
	s_cbranch_vccnz .LBB272_18
; %bb.17:
	global_load_dwordx4 v[22:25], v[6:7], off
	s_waitcnt vmcnt(0)
	v_mul_f64 v[28:29], s[40:41], v[24:25]
	v_mul_f64 v[24:25], s[38:39], v[24:25]
	v_fma_f64 v[28:29], s[38:39], v[22:23], -v[28:29]
	v_fma_f64 v[22:23], s[40:41], v[22:23], v[24:25]
	v_add_f64 v[0:1], v[0:1], v[28:29]
	v_add_f64 v[2:3], v[2:3], v[22:23]
.LBB272_18:
	global_store_dwordx4 v[6:7], v[0:3], off
.LBB272_19:
	s_or_b32 exec_lo, exec_lo, s1
	v_add_nc_u32_e32 v6, 16, v4
	v_cmp_le_i32_e32 vcc_lo, v6, v27
	v_ashrrev_i32_e32 v7, 31, v6
	s_and_b32 s0, s0, vcc_lo
	s_and_saveexec_b32 s1, s0
	s_cbranch_execz .LBB272_23
; %bb.20:
	v_mul_f64 v[0:1], s[16:17], v[20:21]
	v_mul_f64 v[2:3], s[14:15], v[20:21]
	v_cmp_ne_u32_e32 vcc_lo, 1, v26
	s_and_b32 vcc_lo, exec_lo, vcc_lo
	v_fma_f64 v[0:1], s[14:15], v[18:19], -v[0:1]
	v_fma_f64 v[2:3], s[16:17], v[18:19], v[2:3]
	v_lshlrev_b64 v[18:19], 4, v[6:7]
	v_add_co_u32 v8, s0, v8, v18
	v_add_co_ci_u32_e64 v9, null, v9, v19, s0
	s_cbranch_vccnz .LBB272_22
; %bb.21:
	global_load_dwordx4 v[18:21], v[8:9], off
	s_waitcnt vmcnt(0)
	v_mul_f64 v[22:23], s[40:41], v[20:21]
	v_mul_f64 v[20:21], s[38:39], v[20:21]
	v_fma_f64 v[22:23], s[38:39], v[18:19], -v[22:23]
	v_fma_f64 v[18:19], s[40:41], v[18:19], v[20:21]
	v_add_f64 v[0:1], v[0:1], v[22:23]
	v_add_f64 v[2:3], v[2:3], v[18:19]
.LBB272_22:
	global_store_dwordx4 v[8:9], v[0:3], off
.LBB272_23:
	s_or_b32 exec_lo, exec_lo, s1
	v_add_nc_u32_e32 v18, 16, v27
	v_ashrrev_i32_e32 v2, 31, v18
	v_mul_lo_u32 v3, s29, v18
	v_mad_u64_u32 v[0:1], null, s28, v18, 0
	v_cmp_gt_i32_e64 s0, s4, v18
	v_mul_lo_u32 v2, s28, v2
	v_cmp_le_i32_e32 vcc_lo, v4, v18
	v_add3_u32 v1, v1, v2, v3
	v_lshlrev_b64 v[0:1], 4, v[0:1]
	v_add_co_u32 v8, s1, s2, v0
	v_add_co_ci_u32_e64 v9, null, s3, v1, s1
	s_and_b32 s1, s0, vcc_lo
	s_and_saveexec_b32 s2, s1
	s_cbranch_execz .LBB272_27
; %bb.24:
	v_mul_f64 v[0:1], s[16:17], v[16:17]
	v_mul_f64 v[2:3], s[14:15], v[16:17]
	v_lshlrev_b64 v[4:5], 4, v[4:5]
	v_cmp_ne_u32_e32 vcc_lo, 1, v26
	s_and_b32 vcc_lo, exec_lo, vcc_lo
	v_add_co_u32 v4, s1, v8, v4
	v_add_co_ci_u32_e64 v5, null, v9, v5, s1
	v_fma_f64 v[0:1], s[14:15], v[14:15], -v[0:1]
	v_fma_f64 v[2:3], s[16:17], v[14:15], v[2:3]
	s_cbranch_vccnz .LBB272_26
; %bb.25:
	global_load_dwordx4 v[14:17], v[4:5], off
	s_waitcnt vmcnt(0)
	v_mul_f64 v[19:20], s[40:41], v[16:17]
	v_mul_f64 v[16:17], s[38:39], v[16:17]
	v_fma_f64 v[19:20], s[38:39], v[14:15], -v[19:20]
	v_fma_f64 v[14:15], s[40:41], v[14:15], v[16:17]
	v_add_f64 v[0:1], v[0:1], v[19:20]
	v_add_f64 v[2:3], v[2:3], v[14:15]
.LBB272_26:
	global_store_dwordx4 v[4:5], v[0:3], off
.LBB272_27:
	s_or_b32 exec_lo, exec_lo, s2
	v_cmp_le_i32_e32 vcc_lo, v6, v18
	s_and_b32 s0, s0, vcc_lo
	s_and_saveexec_b32 s1, s0
	s_cbranch_execz .LBB272_32
; %bb.28:
	v_mul_f64 v[0:1], s[16:17], v[10:11]
	v_mul_f64 v[2:3], s[14:15], v[10:11]
	v_lshlrev_b64 v[4:5], 4, v[6:7]
	v_cmp_ne_u32_e32 vcc_lo, 1, v26
	s_and_b32 vcc_lo, exec_lo, vcc_lo
	v_add_co_u32 v4, s0, v8, v4
	v_add_co_ci_u32_e64 v5, null, v9, v5, s0
	v_fma_f64 v[0:1], s[14:15], v[12:13], -v[0:1]
	v_fma_f64 v[2:3], s[16:17], v[12:13], v[2:3]
	s_cbranch_vccnz .LBB272_30
; %bb.29:
	global_load_dwordx4 v[6:9], v[4:5], off
	s_waitcnt vmcnt(0)
	v_mul_f64 v[10:11], s[40:41], v[8:9]
	v_mul_f64 v[8:9], s[38:39], v[8:9]
	v_fma_f64 v[10:11], s[38:39], v[6:7], -v[10:11]
	v_fma_f64 v[6:7], s[40:41], v[6:7], v[8:9]
	v_add_f64 v[0:1], v[0:1], v[10:11]
	v_add_f64 v[2:3], v[2:3], v[6:7]
.LBB272_30:
	global_store_dwordx4 v[4:5], v[0:3], off
	s_endpgm
.LBB272_31:
.LBB272_32:
	s_endpgm
	.section	.rodata,"a",@progbits
	.p2align	6, 0x0
	.amdhsa_kernel _ZL29rocblas_internal_gemmt_kernelIlLi16ELi32ELi8ELc78ELc67ELc85ELb0ELb1E19rocblas_complex_numIdES1_PKS1_PS1_EviT_T9_T10_S5_lS7_S5_lS6_T11_S5_li
		.amdhsa_group_segment_fixed_size 8192
		.amdhsa_private_segment_fixed_size 0
		.amdhsa_kernarg_size 124
		.amdhsa_user_sgpr_count 6
		.amdhsa_user_sgpr_private_segment_buffer 1
		.amdhsa_user_sgpr_dispatch_ptr 0
		.amdhsa_user_sgpr_queue_ptr 0
		.amdhsa_user_sgpr_kernarg_segment_ptr 1
		.amdhsa_user_sgpr_dispatch_id 0
		.amdhsa_user_sgpr_flat_scratch_init 0
		.amdhsa_user_sgpr_private_segment_size 0
		.amdhsa_wavefront_size32 1
		.amdhsa_uses_dynamic_stack 0
		.amdhsa_system_sgpr_private_segment_wavefront_offset 0
		.amdhsa_system_sgpr_workgroup_id_x 1
		.amdhsa_system_sgpr_workgroup_id_y 1
		.amdhsa_system_sgpr_workgroup_id_z 1
		.amdhsa_system_sgpr_workgroup_info 0
		.amdhsa_system_vgpr_workitem_id 1
		.amdhsa_next_free_vgpr 120
		.amdhsa_next_free_sgpr 44
		.amdhsa_reserve_vcc 1
		.amdhsa_reserve_flat_scratch 0
		.amdhsa_float_round_mode_32 0
		.amdhsa_float_round_mode_16_64 0
		.amdhsa_float_denorm_mode_32 3
		.amdhsa_float_denorm_mode_16_64 3
		.amdhsa_dx10_clamp 1
		.amdhsa_ieee_mode 1
		.amdhsa_fp16_overflow 0
		.amdhsa_workgroup_processor_mode 1
		.amdhsa_memory_ordered 1
		.amdhsa_forward_progress 1
		.amdhsa_shared_vgpr_count 0
		.amdhsa_exception_fp_ieee_invalid_op 0
		.amdhsa_exception_fp_denorm_src 0
		.amdhsa_exception_fp_ieee_div_zero 0
		.amdhsa_exception_fp_ieee_overflow 0
		.amdhsa_exception_fp_ieee_underflow 0
		.amdhsa_exception_fp_ieee_inexact 0
		.amdhsa_exception_int_div_zero 0
	.end_amdhsa_kernel
	.section	.text._ZL29rocblas_internal_gemmt_kernelIlLi16ELi32ELi8ELc78ELc67ELc85ELb0ELb1E19rocblas_complex_numIdES1_PKS1_PS1_EviT_T9_T10_S5_lS7_S5_lS6_T11_S5_li,"axG",@progbits,_ZL29rocblas_internal_gemmt_kernelIlLi16ELi32ELi8ELc78ELc67ELc85ELb0ELb1E19rocblas_complex_numIdES1_PKS1_PS1_EviT_T9_T10_S5_lS7_S5_lS6_T11_S5_li,comdat
.Lfunc_end272:
	.size	_ZL29rocblas_internal_gemmt_kernelIlLi16ELi32ELi8ELc78ELc67ELc85ELb0ELb1E19rocblas_complex_numIdES1_PKS1_PS1_EviT_T9_T10_S5_lS7_S5_lS6_T11_S5_li, .Lfunc_end272-_ZL29rocblas_internal_gemmt_kernelIlLi16ELi32ELi8ELc78ELc67ELc85ELb0ELb1E19rocblas_complex_numIdES1_PKS1_PS1_EviT_T9_T10_S5_lS7_S5_lS6_T11_S5_li
                                        ; -- End function
	.set _ZL29rocblas_internal_gemmt_kernelIlLi16ELi32ELi8ELc78ELc67ELc85ELb0ELb1E19rocblas_complex_numIdES1_PKS1_PS1_EviT_T9_T10_S5_lS7_S5_lS6_T11_S5_li.num_vgpr, 120
	.set _ZL29rocblas_internal_gemmt_kernelIlLi16ELi32ELi8ELc78ELc67ELc85ELb0ELb1E19rocblas_complex_numIdES1_PKS1_PS1_EviT_T9_T10_S5_lS7_S5_lS6_T11_S5_li.num_agpr, 0
	.set _ZL29rocblas_internal_gemmt_kernelIlLi16ELi32ELi8ELc78ELc67ELc85ELb0ELb1E19rocblas_complex_numIdES1_PKS1_PS1_EviT_T9_T10_S5_lS7_S5_lS6_T11_S5_li.numbered_sgpr, 44
	.set _ZL29rocblas_internal_gemmt_kernelIlLi16ELi32ELi8ELc78ELc67ELc85ELb0ELb1E19rocblas_complex_numIdES1_PKS1_PS1_EviT_T9_T10_S5_lS7_S5_lS6_T11_S5_li.num_named_barrier, 0
	.set _ZL29rocblas_internal_gemmt_kernelIlLi16ELi32ELi8ELc78ELc67ELc85ELb0ELb1E19rocblas_complex_numIdES1_PKS1_PS1_EviT_T9_T10_S5_lS7_S5_lS6_T11_S5_li.private_seg_size, 0
	.set _ZL29rocblas_internal_gemmt_kernelIlLi16ELi32ELi8ELc78ELc67ELc85ELb0ELb1E19rocblas_complex_numIdES1_PKS1_PS1_EviT_T9_T10_S5_lS7_S5_lS6_T11_S5_li.uses_vcc, 1
	.set _ZL29rocblas_internal_gemmt_kernelIlLi16ELi32ELi8ELc78ELc67ELc85ELb0ELb1E19rocblas_complex_numIdES1_PKS1_PS1_EviT_T9_T10_S5_lS7_S5_lS6_T11_S5_li.uses_flat_scratch, 0
	.set _ZL29rocblas_internal_gemmt_kernelIlLi16ELi32ELi8ELc78ELc67ELc85ELb0ELb1E19rocblas_complex_numIdES1_PKS1_PS1_EviT_T9_T10_S5_lS7_S5_lS6_T11_S5_li.has_dyn_sized_stack, 0
	.set _ZL29rocblas_internal_gemmt_kernelIlLi16ELi32ELi8ELc78ELc67ELc85ELb0ELb1E19rocblas_complex_numIdES1_PKS1_PS1_EviT_T9_T10_S5_lS7_S5_lS6_T11_S5_li.has_recursion, 0
	.set _ZL29rocblas_internal_gemmt_kernelIlLi16ELi32ELi8ELc78ELc67ELc85ELb0ELb1E19rocblas_complex_numIdES1_PKS1_PS1_EviT_T9_T10_S5_lS7_S5_lS6_T11_S5_li.has_indirect_call, 0
	.section	.AMDGPU.csdata,"",@progbits
; Kernel info:
; codeLenInByte = 3616
; TotalNumSgprs: 46
; NumVgprs: 120
; ScratchSize: 0
; MemoryBound: 1
; FloatMode: 240
; IeeeMode: 1
; LDSByteSize: 8192 bytes/workgroup (compile time only)
; SGPRBlocks: 0
; VGPRBlocks: 14
; NumSGPRsForWavesPerEU: 46
; NumVGPRsForWavesPerEU: 120
; Occupancy: 8
; WaveLimiterHint : 0
; COMPUTE_PGM_RSRC2:SCRATCH_EN: 0
; COMPUTE_PGM_RSRC2:USER_SGPR: 6
; COMPUTE_PGM_RSRC2:TRAP_HANDLER: 0
; COMPUTE_PGM_RSRC2:TGID_X_EN: 1
; COMPUTE_PGM_RSRC2:TGID_Y_EN: 1
; COMPUTE_PGM_RSRC2:TGID_Z_EN: 1
; COMPUTE_PGM_RSRC2:TIDIG_COMP_CNT: 1
	.section	.text._ZL29rocblas_internal_gemmt_kernelIlLi16ELi32ELi8ELc84ELc78ELc85ELb0ELb0E19rocblas_complex_numIdES1_PKS1_PS1_EviT_T9_T10_S5_lS7_S5_lS6_T11_S5_li,"axG",@progbits,_ZL29rocblas_internal_gemmt_kernelIlLi16ELi32ELi8ELc84ELc78ELc85ELb0ELb0E19rocblas_complex_numIdES1_PKS1_PS1_EviT_T9_T10_S5_lS7_S5_lS6_T11_S5_li,comdat
	.globl	_ZL29rocblas_internal_gemmt_kernelIlLi16ELi32ELi8ELc84ELc78ELc85ELb0ELb0E19rocblas_complex_numIdES1_PKS1_PS1_EviT_T9_T10_S5_lS7_S5_lS6_T11_S5_li ; -- Begin function _ZL29rocblas_internal_gemmt_kernelIlLi16ELi32ELi8ELc84ELc78ELc85ELb0ELb0E19rocblas_complex_numIdES1_PKS1_PS1_EviT_T9_T10_S5_lS7_S5_lS6_T11_S5_li
	.p2align	8
	.type	_ZL29rocblas_internal_gemmt_kernelIlLi16ELi32ELi8ELc84ELc78ELc85ELb0ELb0E19rocblas_complex_numIdES1_PKS1_PS1_EviT_T9_T10_S5_lS7_S5_lS6_T11_S5_li,@function
_ZL29rocblas_internal_gemmt_kernelIlLi16ELi32ELi8ELc84ELc78ELc85ELb0ELb0E19rocblas_complex_numIdES1_PKS1_PS1_EviT_T9_T10_S5_lS7_S5_lS6_T11_S5_li: ; @_ZL29rocblas_internal_gemmt_kernelIlLi16ELi32ELi8ELc84ELc78ELc85ELb0ELb0E19rocblas_complex_numIdES1_PKS1_PS1_EviT_T9_T10_S5_lS7_S5_lS6_T11_S5_li
; %bb.0:
	s_clause 0x1
	s_load_dwordx8 s[36:43], s[4:5], 0x48
	s_load_dwordx16 s[12:27], s[4:5], 0x8
	s_waitcnt lgkmcnt(0)
	v_cmp_eq_f64_e64 s0, s[38:39], 1.0
	v_cmp_eq_f64_e64 s9, s[40:41], 0
	s_and_b32 s0, s0, s9
	s_andn2_b32 vcc_lo, exec_lo, s0
	s_mov_b32 s0, -1
	s_cbranch_vccnz .LBB273_3
; %bb.1:
	s_cmp_lg_u64 s[12:13], 0
	s_cbranch_scc0 .LBB273_33
; %bb.2:
	v_cmp_neq_f64_e64 s0, s[14:15], 0
	v_cmp_neq_f64_e64 s1, s[16:17], 0
	s_or_b32 s0, s0, s1
.LBB273_3:
	s_and_b32 vcc_lo, exec_lo, s0
	s_cbranch_vccz .LBB273_34
; %bb.4:
	v_cmp_eq_f64_e64 s0, s[14:15], 0
	v_cmp_eq_f64_e64 s1, s[16:17], 0
	s_clause 0x1
	s_load_dwordx4 s[28:31], s[4:5], 0x68
	s_load_dword s4, s[4:5], 0x0
	v_cmp_lt_i64_e64 s2, s[12:13], 1
	v_mov_b32_e32 v20, 0
	v_mov_b32_e32 v22, 0
	;; [unrolled: 1-line block ×16, first 2 shown]
	s_lshl_b32 s5, s6, 5
	s_lshl_b32 s6, s7, 5
	s_and_b32 s0, s0, s1
	s_or_b32 s0, s0, s2
	s_and_b32 vcc_lo, exec_lo, s0
	s_cbranch_vccnz .LBB273_17
; %bb.5:
	v_lshl_add_u32 v6, v1, 4, v0
	s_mul_i32 s1, s37, s8
	s_mul_hi_u32 s2, s36, s8
	s_mul_i32 s0, s36, s8
	s_add_i32 s1, s2, s1
	v_lshrrev_b32_e32 v7, 3, v6
	v_and_b32_e32 v8, 31, v6
	s_lshl_b64 s[0:1], s[0:1], 4
	s_mul_hi_u32 s3, s22, s8
	s_add_u32 s2, s24, s0
	v_add_nc_u32_e32 v9, s6, v7
	v_or_b32_e32 v10, s5, v8
	s_mul_i32 s0, s23, s8
	s_addc_u32 s10, s25, s1
	s_add_i32 s1, s3, s0
	v_ashrrev_i32_e32 v4, 31, v9
	s_mul_i32 s0, s22, s8
	v_mul_lo_u32 v11, s21, v10
	v_mad_u64_u32 v[2:3], null, s20, v10, 0
	s_lshl_b64 s[0:1], s[0:1], 4
	v_mul_lo_u32 v12, s26, v4
	v_mul_lo_u32 v13, s27, v9
	v_mad_u64_u32 v[4:5], null, s26, v9, 0
	s_add_u32 s3, s18, s0
	s_addc_u32 s1, s19, s1
	s_ashr_i32 s0, s5, 31
	v_and_b32_e32 v24, 7, v0
	s_mul_i32 s0, s20, s0
	v_lshrrev_b32_e32 v25, 5, v6
	v_add3_u32 v3, v3, s0, v11
	v_add3_u32 v5, v5, v12, v13
	v_lshlrev_b32_e32 v6, 4, v8
	v_lshlrev_b32_e32 v8, 4, v24
	s_waitcnt lgkmcnt(0)
	v_cmp_gt_i32_e64 s0, s4, v10
	v_lshlrev_b64 v[2:3], 4, v[2:3]
	v_lshlrev_b64 v[4:5], 4, v[4:5]
	v_lshl_or_b32 v26, v25, 9, v6
	v_lshl_or_b32 v6, v7, 7, v8
	v_cmp_le_i32_e64 s7, s4, v10
	v_mov_b32_e32 v10, 0
	v_add_co_u32 v27, vcc_lo, s3, v2
	v_add_co_ci_u32_e64 v28, null, s1, v3, vcc_lo
	v_cmp_gt_i32_e32 vcc_lo, s4, v9
	v_add_co_u32 v30, s1, s2, v4
	v_mov_b32_e32 v8, 0
	v_mov_b32_e32 v14, 0
	;; [unrolled: 1-line block ×7, first 2 shown]
	v_add_nc_u32_e32 v29, 0x1000, v6
	v_add_co_ci_u32_e64 v31, null, s10, v5, s1
	v_lshlrev_b32_e32 v32, 4, v0
	v_lshl_add_u32 v33, v1, 7, 0x1000
	v_mov_b32_e32 v9, 0
	v_mov_b32_e32 v11, 0
	;; [unrolled: 1-line block ×9, first 2 shown]
	s_mov_b64 s[2:3], 0
	s_xor_b32 s1, vcc_lo, -1
                                        ; implicit-def: $vgpr6_vgpr7
	s_branch .LBB273_7
.LBB273_6:                              ;   in Loop: Header=BB273_7 Depth=1
	s_or_b32 exec_lo, exec_lo, s10
	s_waitcnt lgkmcnt(0)
	s_barrier
	buffer_gl0_inv
	ds_read_b128 v[34:37], v33
	ds_read_b128 v[38:41], v33 offset:16
	ds_read_b128 v[42:45], v33 offset:32
	;; [unrolled: 1-line block ×3, first 2 shown]
	ds_read_b128 v[50:53], v32
	s_add_u32 s2, s2, 8
	s_addc_u32 s3, s3, 0
	v_cmp_gt_i64_e64 s10, s[12:13], s[2:3]
	s_and_b32 vcc_lo, exec_lo, s10
	s_waitcnt lgkmcnt(0)
	v_mul_f64 v[4:5], v[36:37], v[52:53]
	v_mul_f64 v[54:55], v[34:35], v[52:53]
	v_fma_f64 v[4:5], v[34:35], v[50:51], -v[4:5]
	v_fma_f64 v[54:55], v[36:37], v[50:51], v[54:55]
	v_add_f64 v[4:5], v[20:21], v[4:5]
	v_add_f64 v[54:55], v[54:55], v[22:23]
	ds_read_b128 v[20:23], v32 offset:256
	s_waitcnt lgkmcnt(0)
	v_mul_f64 v[56:57], v[36:37], v[22:23]
	v_fma_f64 v[56:57], v[34:35], v[20:21], -v[56:57]
	v_mul_f64 v[34:35], v[34:35], v[22:23]
	v_fma_f64 v[34:35], v[36:37], v[20:21], v[34:35]
	v_add_f64 v[36:37], v[16:17], v[56:57]
	v_add_f64 v[34:35], v[34:35], v[18:19]
	ds_read_b128 v[16:19], v33 offset:2048
	s_waitcnt lgkmcnt(0)
	v_mul_f64 v[56:57], v[18:19], v[52:53]
	v_mul_f64 v[52:53], v[16:17], v[52:53]
	v_fma_f64 v[56:57], v[16:17], v[50:51], -v[56:57]
	v_fma_f64 v[50:51], v[18:19], v[50:51], v[52:53]
	v_add_f64 v[52:53], v[12:13], v[56:57]
	v_add_f64 v[50:51], v[50:51], v[14:15]
	v_mul_f64 v[12:13], v[18:19], v[22:23]
	v_mul_f64 v[14:15], v[16:17], v[22:23]
	v_fma_f64 v[12:13], v[16:17], v[20:21], -v[12:13]
	v_fma_f64 v[14:15], v[18:19], v[20:21], v[14:15]
	v_add_f64 v[20:21], v[10:11], v[12:13]
	v_add_f64 v[22:23], v[14:15], v[8:9]
	ds_read_b128 v[8:11], v32 offset:512
	s_waitcnt lgkmcnt(0)
	v_mul_f64 v[12:13], v[40:41], v[10:11]
	v_mul_f64 v[14:15], v[38:39], v[10:11]
	v_fma_f64 v[12:13], v[38:39], v[8:9], -v[12:13]
	v_fma_f64 v[14:15], v[40:41], v[8:9], v[14:15]
	v_add_f64 v[4:5], v[4:5], v[12:13]
	v_add_f64 v[54:55], v[14:15], v[54:55]
	ds_read_b128 v[12:15], v32 offset:768
	s_waitcnt lgkmcnt(0)
	;; [unrolled: 8-line block ×3, first 2 shown]
	v_mul_f64 v[38:39], v[18:19], v[10:11]
	v_mul_f64 v[10:11], v[16:17], v[10:11]
	v_fma_f64 v[38:39], v[16:17], v[8:9], -v[38:39]
	v_fma_f64 v[8:9], v[18:19], v[8:9], v[10:11]
	v_mul_f64 v[10:11], v[16:17], v[14:15]
	v_add_f64 v[38:39], v[52:53], v[38:39]
	v_add_f64 v[40:41], v[8:9], v[50:51]
	v_mul_f64 v[8:9], v[18:19], v[14:15]
	v_fma_f64 v[10:11], v[18:19], v[12:13], v[10:11]
	v_fma_f64 v[8:9], v[16:17], v[12:13], -v[8:9]
	v_add_f64 v[22:23], v[10:11], v[22:23]
	v_add_f64 v[20:21], v[20:21], v[8:9]
	ds_read_b128 v[8:11], v32 offset:1024
	s_waitcnt lgkmcnt(0)
	v_mul_f64 v[12:13], v[44:45], v[10:11]
	v_mul_f64 v[14:15], v[42:43], v[10:11]
	v_fma_f64 v[12:13], v[42:43], v[8:9], -v[12:13]
	v_fma_f64 v[14:15], v[44:45], v[8:9], v[14:15]
	v_add_f64 v[4:5], v[4:5], v[12:13]
	v_add_f64 v[50:51], v[14:15], v[54:55]
	ds_read_b128 v[12:15], v32 offset:1280
	s_waitcnt lgkmcnt(0)
	v_mul_f64 v[16:17], v[44:45], v[14:15]
	v_mul_f64 v[18:19], v[42:43], v[14:15]
	v_fma_f64 v[16:17], v[42:43], v[12:13], -v[16:17]
	v_fma_f64 v[18:19], v[44:45], v[12:13], v[18:19]
	;; [unrolled: 8-line block ×3, first 2 shown]
	v_mul_f64 v[10:11], v[16:17], v[14:15]
	v_add_f64 v[38:39], v[38:39], v[42:43]
	v_add_f64 v[40:41], v[8:9], v[40:41]
	v_mul_f64 v[8:9], v[18:19], v[14:15]
	v_fma_f64 v[10:11], v[18:19], v[12:13], v[10:11]
	v_fma_f64 v[8:9], v[16:17], v[12:13], -v[8:9]
	v_add_f64 v[22:23], v[10:11], v[22:23]
	v_add_f64 v[20:21], v[20:21], v[8:9]
	ds_read_b128 v[8:11], v32 offset:1536
	s_waitcnt lgkmcnt(0)
	v_mul_f64 v[12:13], v[48:49], v[10:11]
	v_mul_f64 v[14:15], v[46:47], v[10:11]
	v_fma_f64 v[12:13], v[46:47], v[8:9], -v[12:13]
	v_fma_f64 v[14:15], v[48:49], v[8:9], v[14:15]
	v_add_f64 v[4:5], v[4:5], v[12:13]
	v_add_f64 v[42:43], v[14:15], v[50:51]
	ds_read_b128 v[12:15], v32 offset:1792
	s_waitcnt lgkmcnt(0)
	v_mul_f64 v[16:17], v[48:49], v[14:15]
	v_mul_f64 v[18:19], v[46:47], v[14:15]
	v_fma_f64 v[16:17], v[46:47], v[12:13], -v[16:17]
	v_fma_f64 v[18:19], v[48:49], v[12:13], v[18:19]
	;; [unrolled: 8-line block ×3, first 2 shown]
	v_mul_f64 v[10:11], v[16:17], v[14:15]
	v_add_f64 v[38:39], v[38:39], v[44:45]
	v_add_f64 v[40:41], v[8:9], v[40:41]
	v_mul_f64 v[8:9], v[18:19], v[14:15]
	v_fma_f64 v[10:11], v[18:19], v[12:13], v[10:11]
	v_fma_f64 v[8:9], v[16:17], v[12:13], -v[8:9]
	v_add_f64 v[22:23], v[10:11], v[22:23]
	v_add_f64 v[20:21], v[20:21], v[8:9]
	ds_read_b128 v[8:11], v33 offset:64
	ds_read_b128 v[12:15], v32 offset:2048
	s_waitcnt lgkmcnt(0)
	v_mul_f64 v[16:17], v[10:11], v[14:15]
	v_mul_f64 v[18:19], v[8:9], v[14:15]
	v_fma_f64 v[16:17], v[8:9], v[12:13], -v[16:17]
	v_fma_f64 v[18:19], v[10:11], v[12:13], v[18:19]
	v_add_f64 v[4:5], v[4:5], v[16:17]
	v_add_f64 v[42:43], v[18:19], v[42:43]
	ds_read_b128 v[16:19], v32 offset:2304
	s_waitcnt lgkmcnt(0)
	v_mul_f64 v[44:45], v[10:11], v[18:19]
	v_fma_f64 v[44:45], v[8:9], v[16:17], -v[44:45]
	v_mul_f64 v[8:9], v[8:9], v[18:19]
	v_add_f64 v[36:37], v[36:37], v[44:45]
	v_fma_f64 v[8:9], v[10:11], v[16:17], v[8:9]
	v_add_f64 v[34:35], v[8:9], v[34:35]
	ds_read_b128 v[8:11], v33 offset:2112
	s_waitcnt lgkmcnt(0)
	v_mul_f64 v[44:45], v[10:11], v[14:15]
	v_mul_f64 v[14:15], v[8:9], v[14:15]
	v_fma_f64 v[44:45], v[8:9], v[12:13], -v[44:45]
	v_fma_f64 v[12:13], v[10:11], v[12:13], v[14:15]
	v_add_f64 v[38:39], v[38:39], v[44:45]
	v_add_f64 v[40:41], v[12:13], v[40:41]
	v_mul_f64 v[12:13], v[10:11], v[18:19]
	v_fma_f64 v[12:13], v[8:9], v[16:17], -v[12:13]
	v_mul_f64 v[8:9], v[8:9], v[18:19]
	v_add_f64 v[20:21], v[20:21], v[12:13]
	v_fma_f64 v[8:9], v[10:11], v[16:17], v[8:9]
	v_add_f64 v[22:23], v[8:9], v[22:23]
	ds_read_b128 v[8:11], v33 offset:80
	ds_read_b128 v[12:15], v32 offset:2560
	s_waitcnt lgkmcnt(0)
	v_mul_f64 v[16:17], v[10:11], v[14:15]
	v_mul_f64 v[18:19], v[8:9], v[14:15]
	v_fma_f64 v[16:17], v[8:9], v[12:13], -v[16:17]
	v_fma_f64 v[18:19], v[10:11], v[12:13], v[18:19]
	v_add_f64 v[4:5], v[4:5], v[16:17]
	v_add_f64 v[42:43], v[18:19], v[42:43]
	ds_read_b128 v[16:19], v32 offset:2816
	s_waitcnt lgkmcnt(0)
	v_mul_f64 v[44:45], v[10:11], v[18:19]
	v_fma_f64 v[44:45], v[8:9], v[16:17], -v[44:45]
	v_mul_f64 v[8:9], v[8:9], v[18:19]
	v_add_f64 v[36:37], v[36:37], v[44:45]
	v_fma_f64 v[8:9], v[10:11], v[16:17], v[8:9]
	v_add_f64 v[34:35], v[8:9], v[34:35]
	ds_read_b128 v[8:11], v33 offset:2128
	s_waitcnt lgkmcnt(0)
	v_mul_f64 v[44:45], v[10:11], v[14:15]
	v_mul_f64 v[14:15], v[8:9], v[14:15]
	v_fma_f64 v[44:45], v[8:9], v[12:13], -v[44:45]
	v_fma_f64 v[12:13], v[10:11], v[12:13], v[14:15]
	v_add_f64 v[38:39], v[38:39], v[44:45]
	v_add_f64 v[40:41], v[12:13], v[40:41]
	v_mul_f64 v[12:13], v[10:11], v[18:19]
	v_fma_f64 v[12:13], v[8:9], v[16:17], -v[12:13]
	v_mul_f64 v[8:9], v[8:9], v[18:19]
	v_add_f64 v[20:21], v[20:21], v[12:13]
	v_fma_f64 v[8:9], v[10:11], v[16:17], v[8:9]
	;; [unrolled: 31-line block ×3, first 2 shown]
	v_add_f64 v[50:51], v[8:9], v[22:23]
	ds_read_b128 v[8:11], v33 offset:112
	ds_read_b128 v[12:15], v32 offset:3584
	;; [unrolled: 1-line block ×3, first 2 shown]
	s_waitcnt lgkmcnt(1)
	v_mul_f64 v[16:17], v[10:11], v[14:15]
	v_mul_f64 v[18:19], v[8:9], v[14:15]
	v_fma_f64 v[16:17], v[8:9], v[12:13], -v[16:17]
	v_fma_f64 v[18:19], v[10:11], v[12:13], v[18:19]
	v_add_f64 v[20:21], v[4:5], v[16:17]
	s_waitcnt lgkmcnt(0)
	v_mul_f64 v[4:5], v[10:11], v[36:37]
	v_add_f64 v[22:23], v[18:19], v[42:43]
	v_fma_f64 v[4:5], v[8:9], v[34:35], -v[4:5]
	v_mul_f64 v[8:9], v[8:9], v[36:37]
	v_add_f64 v[16:17], v[44:45], v[4:5]
	v_fma_f64 v[8:9], v[10:11], v[34:35], v[8:9]
	v_add_f64 v[18:19], v[8:9], v[46:47]
	ds_read_b128 v[8:11], v33 offset:2160
	s_waitcnt lgkmcnt(0)
	s_barrier
	buffer_gl0_inv
	v_mul_f64 v[4:5], v[10:11], v[14:15]
	v_mul_f64 v[14:15], v[8:9], v[14:15]
	v_fma_f64 v[4:5], v[8:9], v[12:13], -v[4:5]
	v_fma_f64 v[14:15], v[10:11], v[12:13], v[14:15]
	v_add_f64 v[12:13], v[38:39], v[4:5]
	v_mul_f64 v[4:5], v[10:11], v[36:37]
	v_add_f64 v[14:15], v[14:15], v[40:41]
	v_fma_f64 v[4:5], v[8:9], v[34:35], -v[4:5]
	v_mul_f64 v[8:9], v[8:9], v[36:37]
	v_fma_f64 v[8:9], v[10:11], v[34:35], v[8:9]
	v_add_f64 v[10:11], v[48:49], v[4:5]
	v_add_f64 v[8:9], v[8:9], v[50:51]
	s_cbranch_vccz .LBB273_17
.LBB273_7:                              ; =>This Inner Loop Header: Depth=1
	s_mov_b32 s18, s7
	s_mov_b32 s10, 0
	s_and_saveexec_b32 s11, s0
	s_cbranch_execnz .LBB273_15
; %bb.8:                                ;   in Loop: Header=BB273_7 Depth=1
	s_or_b32 exec_lo, exec_lo, s11
	s_and_saveexec_b32 s11, s18
	s_xor_b32 s11, exec_lo, s11
	s_cbranch_execnz .LBB273_16
.LBB273_9:                              ;   in Loop: Header=BB273_7 Depth=1
	s_or_b32 exec_lo, exec_lo, s11
	s_and_saveexec_b32 s11, s10
	s_cbranch_execz .LBB273_11
.LBB273_10:                             ;   in Loop: Header=BB273_7 Depth=1
	v_lshlrev_b64 v[4:5], 4, v[6:7]
	v_add_co_u32 v4, vcc_lo, v27, v4
	v_add_co_ci_u32_e64 v5, null, v28, v5, vcc_lo
	global_load_dwordx4 v[34:37], v[4:5], off
	s_waitcnt vmcnt(0)
	ds_write2_b64 v26, v[34:35], v[36:37] offset1:1
.LBB273_11:                             ;   in Loop: Header=BB273_7 Depth=1
	s_or_b32 exec_lo, exec_lo, s11
	v_add_nc_u32_e32 v2, s2, v24
	v_cmp_le_u64_e32 vcc_lo, s[12:13], v[2:3]
	s_or_b32 s10, vcc_lo, s1
	s_and_saveexec_b32 s11, s10
	s_xor_b32 s10, exec_lo, s11
	s_cbranch_execz .LBB273_13
; %bb.12:                               ;   in Loop: Header=BB273_7 Depth=1
	v_mov_b32_e32 v2, v3
	v_mov_b32_e32 v4, v3
	v_mov_b32_e32 v5, v3
	ds_write_b128 v29, v[2:5]
.LBB273_13:                             ;   in Loop: Header=BB273_7 Depth=1
	s_andn2_saveexec_b32 s10, s10
	s_cbranch_execz .LBB273_6
; %bb.14:                               ;   in Loop: Header=BB273_7 Depth=1
	v_lshlrev_b64 v[4:5], 4, v[2:3]
	v_add_co_u32 v4, vcc_lo, v30, v4
	v_add_co_ci_u32_e64 v5, null, v31, v5, vcc_lo
	global_load_dwordx4 v[34:37], v[4:5], off
	s_waitcnt vmcnt(0)
	ds_write2_b64 v29, v[34:35], v[36:37] offset1:1
	s_branch .LBB273_6
.LBB273_15:                             ;   in Loop: Header=BB273_7 Depth=1
	v_add_nc_u32_e32 v2, s2, v25
	v_mov_b32_e32 v7, v3
	s_andn2_b32 s18, s7, exec_lo
	s_mov_b32 s10, exec_lo
	v_cmp_le_u64_e32 vcc_lo, s[12:13], v[2:3]
	v_mov_b32_e32 v6, v2
	s_and_b32 s19, vcc_lo, exec_lo
	s_or_b32 s18, s18, s19
	s_or_b32 exec_lo, exec_lo, s11
	s_and_saveexec_b32 s11, s18
	s_xor_b32 s11, exec_lo, s11
	s_cbranch_execz .LBB273_9
.LBB273_16:                             ;   in Loop: Header=BB273_7 Depth=1
	v_mov_b32_e32 v2, v3
	v_mov_b32_e32 v4, v3
	v_mov_b32_e32 v5, v3
	s_andn2_b32 s10, s10, exec_lo
	ds_write_b128 v26, v[2:5]
	s_or_b32 exec_lo, exec_lo, s11
	s_and_saveexec_b32 s11, s10
	s_cbranch_execnz .LBB273_10
	s_branch .LBB273_11
.LBB273_17:
	v_add_nc_u32_e32 v25, s6, v1
	v_cmp_neq_f64_e64 s6, s[38:39], 0
	s_waitcnt lgkmcnt(0)
	s_mul_i32 s1, s31, s8
	s_mul_hi_u32 s2, s30, s8
	s_mul_i32 s0, s30, s8
	v_ashrrev_i32_e32 v3, 31, v25
	v_mul_lo_u32 v5, s29, v25
	v_mad_u64_u32 v[1:2], null, s28, v25, 0
	s_add_i32 s1, s2, s1
	v_mul_lo_u32 v3, s28, v3
	v_add_nc_u32_e32 v4, s5, v0
	s_lshl_b64 s[2:3], s[0:1], 4
	v_cmp_gt_i32_e64 s0, s4, v25
	s_add_u32 s2, s42, s2
	s_addc_u32 s3, s43, s3
	s_xor_b32 s5, s9, -1
	v_cmp_le_i32_e32 vcc_lo, v4, v25
	v_add3_u32 v2, v2, v3, v5
	v_ashrrev_i32_e32 v5, 31, v4
	s_or_b32 s5, s6, s5
	v_lshlrev_b64 v[0:1], 4, v[1:2]
	v_cndmask_b32_e64 v24, 0, 1, s5
	s_and_b32 s6, s0, vcc_lo
	v_add_co_u32 v26, s1, s2, v0
	v_add_co_ci_u32_e64 v27, null, s3, v1, s1
	s_and_saveexec_b32 s1, s6
	s_cbranch_execz .LBB273_21
; %bb.18:
	v_mul_f64 v[0:1], s[16:17], v[22:23]
	v_mul_f64 v[2:3], s[14:15], v[22:23]
	v_lshlrev_b64 v[6:7], 4, v[4:5]
	v_add_co_u32 v6, vcc_lo, v26, v6
	v_add_co_ci_u32_e64 v7, null, v27, v7, vcc_lo
	s_andn2_b32 vcc_lo, exec_lo, s5
	v_fma_f64 v[0:1], s[14:15], v[20:21], -v[0:1]
	v_fma_f64 v[2:3], s[16:17], v[20:21], v[2:3]
	s_cbranch_vccnz .LBB273_20
; %bb.19:
	global_load_dwordx4 v[20:23], v[6:7], off
	s_waitcnt vmcnt(0)
	v_mul_f64 v[28:29], s[40:41], v[22:23]
	v_mul_f64 v[22:23], s[38:39], v[22:23]
	v_fma_f64 v[28:29], s[38:39], v[20:21], -v[28:29]
	v_fma_f64 v[20:21], s[40:41], v[20:21], v[22:23]
	v_add_f64 v[0:1], v[0:1], v[28:29]
	v_add_f64 v[2:3], v[2:3], v[20:21]
.LBB273_20:
	global_store_dwordx4 v[6:7], v[0:3], off
.LBB273_21:
	s_or_b32 exec_lo, exec_lo, s1
	v_add_nc_u32_e32 v6, 16, v4
	v_cmp_le_i32_e32 vcc_lo, v6, v25
	v_ashrrev_i32_e32 v7, 31, v6
	s_and_b32 s0, s0, vcc_lo
	s_and_saveexec_b32 s1, s0
	s_cbranch_execz .LBB273_25
; %bb.22:
	v_mul_f64 v[0:1], s[16:17], v[18:19]
	v_mul_f64 v[2:3], s[14:15], v[18:19]
	v_cmp_ne_u32_e32 vcc_lo, 1, v24
	s_and_b32 vcc_lo, exec_lo, vcc_lo
	v_fma_f64 v[0:1], s[14:15], v[16:17], -v[0:1]
	v_fma_f64 v[2:3], s[16:17], v[16:17], v[2:3]
	v_lshlrev_b64 v[16:17], 4, v[6:7]
	v_add_co_u32 v16, s0, v26, v16
	v_add_co_ci_u32_e64 v17, null, v27, v17, s0
	s_cbranch_vccnz .LBB273_24
; %bb.23:
	global_load_dwordx4 v[18:21], v[16:17], off
	s_waitcnt vmcnt(0)
	v_mul_f64 v[22:23], s[40:41], v[20:21]
	v_mul_f64 v[20:21], s[38:39], v[20:21]
	v_fma_f64 v[22:23], s[38:39], v[18:19], -v[22:23]
	v_fma_f64 v[18:19], s[40:41], v[18:19], v[20:21]
	v_add_f64 v[0:1], v[0:1], v[22:23]
	v_add_f64 v[2:3], v[2:3], v[18:19]
.LBB273_24:
	global_store_dwordx4 v[16:17], v[0:3], off
.LBB273_25:
	s_or_b32 exec_lo, exec_lo, s1
	v_add_nc_u32_e32 v18, 16, v25
	v_ashrrev_i32_e32 v2, 31, v18
	v_mul_lo_u32 v3, s29, v18
	v_mad_u64_u32 v[0:1], null, s28, v18, 0
	v_cmp_gt_i32_e64 s0, s4, v18
	v_mul_lo_u32 v2, s28, v2
	v_cmp_le_i32_e32 vcc_lo, v4, v18
	v_add3_u32 v1, v1, v2, v3
	v_lshlrev_b64 v[0:1], 4, v[0:1]
	v_add_co_u32 v16, s1, s2, v0
	v_add_co_ci_u32_e64 v17, null, s3, v1, s1
	s_and_b32 s1, s0, vcc_lo
	s_and_saveexec_b32 s2, s1
	s_cbranch_execz .LBB273_29
; %bb.26:
	v_mul_f64 v[0:1], s[16:17], v[14:15]
	v_mul_f64 v[2:3], s[14:15], v[14:15]
	v_lshlrev_b64 v[4:5], 4, v[4:5]
	v_cmp_ne_u32_e32 vcc_lo, 1, v24
	s_and_b32 vcc_lo, exec_lo, vcc_lo
	v_add_co_u32 v4, s1, v16, v4
	v_add_co_ci_u32_e64 v5, null, v17, v5, s1
	v_fma_f64 v[0:1], s[14:15], v[12:13], -v[0:1]
	v_fma_f64 v[2:3], s[16:17], v[12:13], v[2:3]
	s_cbranch_vccnz .LBB273_28
; %bb.27:
	global_load_dwordx4 v[12:15], v[4:5], off
	s_waitcnt vmcnt(0)
	v_mul_f64 v[19:20], s[40:41], v[14:15]
	v_mul_f64 v[14:15], s[38:39], v[14:15]
	v_fma_f64 v[19:20], s[38:39], v[12:13], -v[19:20]
	v_fma_f64 v[12:13], s[40:41], v[12:13], v[14:15]
	v_add_f64 v[0:1], v[0:1], v[19:20]
	v_add_f64 v[2:3], v[2:3], v[12:13]
.LBB273_28:
	global_store_dwordx4 v[4:5], v[0:3], off
.LBB273_29:
	s_or_b32 exec_lo, exec_lo, s2
	v_cmp_le_i32_e32 vcc_lo, v6, v18
	s_and_b32 s0, s0, vcc_lo
	s_and_saveexec_b32 s1, s0
	s_cbranch_execz .LBB273_34
; %bb.30:
	v_mul_f64 v[0:1], s[16:17], v[8:9]
	v_mul_f64 v[2:3], s[14:15], v[8:9]
	v_lshlrev_b64 v[4:5], 4, v[6:7]
	v_cmp_ne_u32_e32 vcc_lo, 1, v24
	s_and_b32 vcc_lo, exec_lo, vcc_lo
	v_add_co_u32 v4, s0, v16, v4
	v_add_co_ci_u32_e64 v5, null, v17, v5, s0
	v_fma_f64 v[0:1], s[14:15], v[10:11], -v[0:1]
	v_fma_f64 v[2:3], s[16:17], v[10:11], v[2:3]
	s_cbranch_vccnz .LBB273_32
; %bb.31:
	global_load_dwordx4 v[6:9], v[4:5], off
	s_waitcnt vmcnt(0)
	v_mul_f64 v[10:11], s[40:41], v[8:9]
	v_mul_f64 v[8:9], s[38:39], v[8:9]
	v_fma_f64 v[10:11], s[38:39], v[6:7], -v[10:11]
	v_fma_f64 v[6:7], s[40:41], v[6:7], v[8:9]
	v_add_f64 v[0:1], v[0:1], v[10:11]
	v_add_f64 v[2:3], v[2:3], v[6:7]
.LBB273_32:
	global_store_dwordx4 v[4:5], v[0:3], off
	s_endpgm
.LBB273_33:
.LBB273_34:
	s_endpgm
	.section	.rodata,"a",@progbits
	.p2align	6, 0x0
	.amdhsa_kernel _ZL29rocblas_internal_gemmt_kernelIlLi16ELi32ELi8ELc84ELc78ELc85ELb0ELb0E19rocblas_complex_numIdES1_PKS1_PS1_EviT_T9_T10_S5_lS7_S5_lS6_T11_S5_li
		.amdhsa_group_segment_fixed_size 8192
		.amdhsa_private_segment_fixed_size 0
		.amdhsa_kernarg_size 124
		.amdhsa_user_sgpr_count 6
		.amdhsa_user_sgpr_private_segment_buffer 1
		.amdhsa_user_sgpr_dispatch_ptr 0
		.amdhsa_user_sgpr_queue_ptr 0
		.amdhsa_user_sgpr_kernarg_segment_ptr 1
		.amdhsa_user_sgpr_dispatch_id 0
		.amdhsa_user_sgpr_flat_scratch_init 0
		.amdhsa_user_sgpr_private_segment_size 0
		.amdhsa_wavefront_size32 1
		.amdhsa_uses_dynamic_stack 0
		.amdhsa_system_sgpr_private_segment_wavefront_offset 0
		.amdhsa_system_sgpr_workgroup_id_x 1
		.amdhsa_system_sgpr_workgroup_id_y 1
		.amdhsa_system_sgpr_workgroup_id_z 1
		.amdhsa_system_sgpr_workgroup_info 0
		.amdhsa_system_vgpr_workitem_id 1
		.amdhsa_next_free_vgpr 58
		.amdhsa_next_free_sgpr 44
		.amdhsa_reserve_vcc 1
		.amdhsa_reserve_flat_scratch 0
		.amdhsa_float_round_mode_32 0
		.amdhsa_float_round_mode_16_64 0
		.amdhsa_float_denorm_mode_32 3
		.amdhsa_float_denorm_mode_16_64 3
		.amdhsa_dx10_clamp 1
		.amdhsa_ieee_mode 1
		.amdhsa_fp16_overflow 0
		.amdhsa_workgroup_processor_mode 1
		.amdhsa_memory_ordered 1
		.amdhsa_forward_progress 1
		.amdhsa_shared_vgpr_count 0
		.amdhsa_exception_fp_ieee_invalid_op 0
		.amdhsa_exception_fp_denorm_src 0
		.amdhsa_exception_fp_ieee_div_zero 0
		.amdhsa_exception_fp_ieee_overflow 0
		.amdhsa_exception_fp_ieee_underflow 0
		.amdhsa_exception_fp_ieee_inexact 0
		.amdhsa_exception_int_div_zero 0
	.end_amdhsa_kernel
	.section	.text._ZL29rocblas_internal_gemmt_kernelIlLi16ELi32ELi8ELc84ELc78ELc85ELb0ELb0E19rocblas_complex_numIdES1_PKS1_PS1_EviT_T9_T10_S5_lS7_S5_lS6_T11_S5_li,"axG",@progbits,_ZL29rocblas_internal_gemmt_kernelIlLi16ELi32ELi8ELc84ELc78ELc85ELb0ELb0E19rocblas_complex_numIdES1_PKS1_PS1_EviT_T9_T10_S5_lS7_S5_lS6_T11_S5_li,comdat
.Lfunc_end273:
	.size	_ZL29rocblas_internal_gemmt_kernelIlLi16ELi32ELi8ELc84ELc78ELc85ELb0ELb0E19rocblas_complex_numIdES1_PKS1_PS1_EviT_T9_T10_S5_lS7_S5_lS6_T11_S5_li, .Lfunc_end273-_ZL29rocblas_internal_gemmt_kernelIlLi16ELi32ELi8ELc84ELc78ELc85ELb0ELb0E19rocblas_complex_numIdES1_PKS1_PS1_EviT_T9_T10_S5_lS7_S5_lS6_T11_S5_li
                                        ; -- End function
	.set _ZL29rocblas_internal_gemmt_kernelIlLi16ELi32ELi8ELc84ELc78ELc85ELb0ELb0E19rocblas_complex_numIdES1_PKS1_PS1_EviT_T9_T10_S5_lS7_S5_lS6_T11_S5_li.num_vgpr, 58
	.set _ZL29rocblas_internal_gemmt_kernelIlLi16ELi32ELi8ELc84ELc78ELc85ELb0ELb0E19rocblas_complex_numIdES1_PKS1_PS1_EviT_T9_T10_S5_lS7_S5_lS6_T11_S5_li.num_agpr, 0
	.set _ZL29rocblas_internal_gemmt_kernelIlLi16ELi32ELi8ELc84ELc78ELc85ELb0ELb0E19rocblas_complex_numIdES1_PKS1_PS1_EviT_T9_T10_S5_lS7_S5_lS6_T11_S5_li.numbered_sgpr, 44
	.set _ZL29rocblas_internal_gemmt_kernelIlLi16ELi32ELi8ELc84ELc78ELc85ELb0ELb0E19rocblas_complex_numIdES1_PKS1_PS1_EviT_T9_T10_S5_lS7_S5_lS6_T11_S5_li.num_named_barrier, 0
	.set _ZL29rocblas_internal_gemmt_kernelIlLi16ELi32ELi8ELc84ELc78ELc85ELb0ELb0E19rocblas_complex_numIdES1_PKS1_PS1_EviT_T9_T10_S5_lS7_S5_lS6_T11_S5_li.private_seg_size, 0
	.set _ZL29rocblas_internal_gemmt_kernelIlLi16ELi32ELi8ELc84ELc78ELc85ELb0ELb0E19rocblas_complex_numIdES1_PKS1_PS1_EviT_T9_T10_S5_lS7_S5_lS6_T11_S5_li.uses_vcc, 1
	.set _ZL29rocblas_internal_gemmt_kernelIlLi16ELi32ELi8ELc84ELc78ELc85ELb0ELb0E19rocblas_complex_numIdES1_PKS1_PS1_EviT_T9_T10_S5_lS7_S5_lS6_T11_S5_li.uses_flat_scratch, 0
	.set _ZL29rocblas_internal_gemmt_kernelIlLi16ELi32ELi8ELc84ELc78ELc85ELb0ELb0E19rocblas_complex_numIdES1_PKS1_PS1_EviT_T9_T10_S5_lS7_S5_lS6_T11_S5_li.has_dyn_sized_stack, 0
	.set _ZL29rocblas_internal_gemmt_kernelIlLi16ELi32ELi8ELc84ELc78ELc85ELb0ELb0E19rocblas_complex_numIdES1_PKS1_PS1_EviT_T9_T10_S5_lS7_S5_lS6_T11_S5_li.has_recursion, 0
	.set _ZL29rocblas_internal_gemmt_kernelIlLi16ELi32ELi8ELc84ELc78ELc85ELb0ELb0E19rocblas_complex_numIdES1_PKS1_PS1_EviT_T9_T10_S5_lS7_S5_lS6_T11_S5_li.has_indirect_call, 0
	.section	.AMDGPU.csdata,"",@progbits
; Kernel info:
; codeLenInByte = 3644
; TotalNumSgprs: 46
; NumVgprs: 58
; ScratchSize: 0
; MemoryBound: 0
; FloatMode: 240
; IeeeMode: 1
; LDSByteSize: 8192 bytes/workgroup (compile time only)
; SGPRBlocks: 0
; VGPRBlocks: 7
; NumSGPRsForWavesPerEU: 46
; NumVGPRsForWavesPerEU: 58
; Occupancy: 16
; WaveLimiterHint : 0
; COMPUTE_PGM_RSRC2:SCRATCH_EN: 0
; COMPUTE_PGM_RSRC2:USER_SGPR: 6
; COMPUTE_PGM_RSRC2:TRAP_HANDLER: 0
; COMPUTE_PGM_RSRC2:TGID_X_EN: 1
; COMPUTE_PGM_RSRC2:TGID_Y_EN: 1
; COMPUTE_PGM_RSRC2:TGID_Z_EN: 1
; COMPUTE_PGM_RSRC2:TIDIG_COMP_CNT: 1
	.section	.text._ZL29rocblas_internal_gemmt_kernelIlLi16ELi32ELi8ELc84ELc84ELc85ELb0ELb0E19rocblas_complex_numIdES1_PKS1_PS1_EviT_T9_T10_S5_lS7_S5_lS6_T11_S5_li,"axG",@progbits,_ZL29rocblas_internal_gemmt_kernelIlLi16ELi32ELi8ELc84ELc84ELc85ELb0ELb0E19rocblas_complex_numIdES1_PKS1_PS1_EviT_T9_T10_S5_lS7_S5_lS6_T11_S5_li,comdat
	.globl	_ZL29rocblas_internal_gemmt_kernelIlLi16ELi32ELi8ELc84ELc84ELc85ELb0ELb0E19rocblas_complex_numIdES1_PKS1_PS1_EviT_T9_T10_S5_lS7_S5_lS6_T11_S5_li ; -- Begin function _ZL29rocblas_internal_gemmt_kernelIlLi16ELi32ELi8ELc84ELc84ELc85ELb0ELb0E19rocblas_complex_numIdES1_PKS1_PS1_EviT_T9_T10_S5_lS7_S5_lS6_T11_S5_li
	.p2align	8
	.type	_ZL29rocblas_internal_gemmt_kernelIlLi16ELi32ELi8ELc84ELc84ELc85ELb0ELb0E19rocblas_complex_numIdES1_PKS1_PS1_EviT_T9_T10_S5_lS7_S5_lS6_T11_S5_li,@function
_ZL29rocblas_internal_gemmt_kernelIlLi16ELi32ELi8ELc84ELc84ELc85ELb0ELb0E19rocblas_complex_numIdES1_PKS1_PS1_EviT_T9_T10_S5_lS7_S5_lS6_T11_S5_li: ; @_ZL29rocblas_internal_gemmt_kernelIlLi16ELi32ELi8ELc84ELc84ELc85ELb0ELb0E19rocblas_complex_numIdES1_PKS1_PS1_EviT_T9_T10_S5_lS7_S5_lS6_T11_S5_li
; %bb.0:
	s_clause 0x1
	s_load_dwordx8 s[36:43], s[4:5], 0x48
	s_load_dwordx16 s[12:27], s[4:5], 0x8
	s_waitcnt lgkmcnt(0)
	v_cmp_eq_f64_e64 s0, s[38:39], 1.0
	v_cmp_eq_f64_e64 s9, s[40:41], 0
	s_and_b32 s0, s0, s9
	s_andn2_b32 vcc_lo, exec_lo, s0
	s_mov_b32 s0, -1
	s_cbranch_vccnz .LBB274_3
; %bb.1:
	s_cmp_lg_u64 s[12:13], 0
	s_cbranch_scc0 .LBB274_33
; %bb.2:
	v_cmp_neq_f64_e64 s0, s[14:15], 0
	v_cmp_neq_f64_e64 s1, s[16:17], 0
	s_or_b32 s0, s0, s1
.LBB274_3:
	s_and_b32 vcc_lo, exec_lo, s0
	s_cbranch_vccz .LBB274_34
; %bb.4:
	v_cmp_eq_f64_e64 s0, s[14:15], 0
	v_cmp_eq_f64_e64 s1, s[16:17], 0
	s_clause 0x1
	s_load_dwordx4 s[28:31], s[4:5], 0x68
	s_load_dword s4, s[4:5], 0x0
	v_cmp_lt_i64_e64 s2, s[12:13], 1
	v_mov_b32_e32 v20, 0
	v_mov_b32_e32 v22, 0
	;; [unrolled: 1-line block ×16, first 2 shown]
	s_lshl_b32 s5, s6, 5
	s_lshl_b32 s6, s7, 5
	s_and_b32 s0, s0, s1
	s_or_b32 s0, s0, s2
	s_and_b32 vcc_lo, exec_lo, s0
	s_cbranch_vccnz .LBB274_17
; %bb.5:
	v_lshl_add_u32 v4, v1, 4, v0
	s_mul_i32 s1, s37, s8
	s_mul_hi_u32 s2, s36, s8
	s_mul_i32 s0, s36, s8
	s_add_i32 s1, s2, s1
	v_and_b32_e32 v5, 31, v4
	s_lshl_b64 s[0:1], s[0:1], 4
	s_mul_i32 s2, s23, s8
	s_mul_hi_u32 s3, s22, s8
	s_add_u32 s10, s24, s0
	v_or_b32_e32 v6, s5, v5
	s_addc_u32 s11, s25, s1
	s_add_i32 s1, s3, s2
	s_mul_i32 s0, s22, s8
	v_lshrrev_b32_e32 v8, 3, v4
	v_mul_lo_u32 v7, s21, v6
	v_mad_u64_u32 v[2:3], null, s20, v6, 0
	s_lshl_b64 s[0:1], s[0:1], 4
	v_lshrrev_b32_e32 v25, 5, v4
	s_add_u32 s2, s18, s0
	s_addc_u32 s1, s19, s1
	s_ashr_i32 s0, s5, 31
	v_add_nc_u32_e32 v4, s6, v8
	s_mul_i32 s0, s20, s0
	v_and_b32_e32 v24, 7, v0
	v_add3_u32 v3, v3, s0, v7
	v_lshlrev_b32_e32 v7, 4, v5
	v_ashrrev_i32_e32 v5, 31, v4
	s_waitcnt lgkmcnt(0)
	v_cmp_gt_i32_e64 s0, s4, v6
	v_lshlrev_b32_e32 v9, 4, v24
	v_lshlrev_b64 v[2:3], 4, v[2:3]
	v_cmp_le_i32_e64 s7, s4, v6
	v_lshlrev_b64 v[5:6], 4, v[4:5]
	v_lshl_or_b32 v26, v25, 9, v7
	v_lshl_or_b32 v7, v8, 7, v9
	v_mov_b32_e32 v8, 0
	v_add_co_u32 v27, vcc_lo, s2, v2
	v_add_co_ci_u32_e64 v28, null, s1, v3, vcc_lo
	v_cmp_gt_i32_e32 vcc_lo, s4, v4
	v_add_co_u32 v30, s1, s10, v5
	v_mov_b32_e32 v10, 0
	v_mov_b32_e32 v14, 0
	;; [unrolled: 1-line block ×7, first 2 shown]
	v_add_nc_u32_e32 v29, 0x1000, v7
	v_add_co_ci_u32_e64 v31, null, s11, v6, s1
	v_lshlrev_b32_e32 v32, 4, v0
	v_lshl_add_u32 v33, v1, 7, 0x1000
	v_mov_b32_e32 v9, 0
	v_mov_b32_e32 v11, 0
	;; [unrolled: 1-line block ×9, first 2 shown]
	s_mov_b64 s[2:3], 0
	s_xor_b32 s1, vcc_lo, -1
                                        ; implicit-def: $vgpr6_vgpr7
	s_branch .LBB274_7
.LBB274_6:                              ;   in Loop: Header=BB274_7 Depth=1
	s_or_b32 exec_lo, exec_lo, s10
	s_waitcnt lgkmcnt(0)
	s_barrier
	buffer_gl0_inv
	ds_read_b128 v[34:37], v33
	ds_read_b128 v[38:41], v33 offset:16
	ds_read_b128 v[42:45], v33 offset:32
	;; [unrolled: 1-line block ×3, first 2 shown]
	ds_read_b128 v[50:53], v32
	s_add_u32 s2, s2, 8
	s_addc_u32 s3, s3, 0
	v_cmp_gt_i64_e64 s10, s[12:13], s[2:3]
	s_and_b32 vcc_lo, exec_lo, s10
	s_waitcnt lgkmcnt(0)
	v_mul_f64 v[4:5], v[36:37], v[52:53]
	v_mul_f64 v[54:55], v[34:35], v[52:53]
	v_fma_f64 v[4:5], v[34:35], v[50:51], -v[4:5]
	v_fma_f64 v[54:55], v[36:37], v[50:51], v[54:55]
	v_add_f64 v[4:5], v[20:21], v[4:5]
	v_add_f64 v[54:55], v[54:55], v[22:23]
	ds_read_b128 v[20:23], v32 offset:256
	s_waitcnt lgkmcnt(0)
	v_mul_f64 v[56:57], v[36:37], v[22:23]
	v_fma_f64 v[56:57], v[34:35], v[20:21], -v[56:57]
	v_mul_f64 v[34:35], v[34:35], v[22:23]
	v_fma_f64 v[34:35], v[36:37], v[20:21], v[34:35]
	v_add_f64 v[36:37], v[16:17], v[56:57]
	v_add_f64 v[34:35], v[34:35], v[18:19]
	ds_read_b128 v[16:19], v33 offset:2048
	s_waitcnt lgkmcnt(0)
	v_mul_f64 v[56:57], v[18:19], v[52:53]
	v_mul_f64 v[52:53], v[16:17], v[52:53]
	v_fma_f64 v[56:57], v[16:17], v[50:51], -v[56:57]
	v_fma_f64 v[50:51], v[18:19], v[50:51], v[52:53]
	v_add_f64 v[52:53], v[12:13], v[56:57]
	v_add_f64 v[50:51], v[50:51], v[14:15]
	v_mul_f64 v[12:13], v[18:19], v[22:23]
	v_mul_f64 v[14:15], v[16:17], v[22:23]
	v_fma_f64 v[12:13], v[16:17], v[20:21], -v[12:13]
	v_fma_f64 v[14:15], v[18:19], v[20:21], v[14:15]
	v_add_f64 v[20:21], v[10:11], v[12:13]
	v_add_f64 v[22:23], v[14:15], v[8:9]
	ds_read_b128 v[8:11], v32 offset:512
	s_waitcnt lgkmcnt(0)
	v_mul_f64 v[12:13], v[40:41], v[10:11]
	v_mul_f64 v[14:15], v[38:39], v[10:11]
	v_fma_f64 v[12:13], v[38:39], v[8:9], -v[12:13]
	v_fma_f64 v[14:15], v[40:41], v[8:9], v[14:15]
	v_add_f64 v[4:5], v[4:5], v[12:13]
	v_add_f64 v[54:55], v[14:15], v[54:55]
	ds_read_b128 v[12:15], v32 offset:768
	s_waitcnt lgkmcnt(0)
	;; [unrolled: 8-line block ×3, first 2 shown]
	v_mul_f64 v[38:39], v[18:19], v[10:11]
	v_mul_f64 v[10:11], v[16:17], v[10:11]
	v_fma_f64 v[38:39], v[16:17], v[8:9], -v[38:39]
	v_fma_f64 v[8:9], v[18:19], v[8:9], v[10:11]
	v_mul_f64 v[10:11], v[16:17], v[14:15]
	v_add_f64 v[38:39], v[52:53], v[38:39]
	v_add_f64 v[40:41], v[8:9], v[50:51]
	v_mul_f64 v[8:9], v[18:19], v[14:15]
	v_fma_f64 v[10:11], v[18:19], v[12:13], v[10:11]
	v_fma_f64 v[8:9], v[16:17], v[12:13], -v[8:9]
	v_add_f64 v[22:23], v[10:11], v[22:23]
	v_add_f64 v[20:21], v[20:21], v[8:9]
	ds_read_b128 v[8:11], v32 offset:1024
	s_waitcnt lgkmcnt(0)
	v_mul_f64 v[12:13], v[44:45], v[10:11]
	v_mul_f64 v[14:15], v[42:43], v[10:11]
	v_fma_f64 v[12:13], v[42:43], v[8:9], -v[12:13]
	v_fma_f64 v[14:15], v[44:45], v[8:9], v[14:15]
	v_add_f64 v[4:5], v[4:5], v[12:13]
	v_add_f64 v[50:51], v[14:15], v[54:55]
	ds_read_b128 v[12:15], v32 offset:1280
	s_waitcnt lgkmcnt(0)
	v_mul_f64 v[16:17], v[44:45], v[14:15]
	v_mul_f64 v[18:19], v[42:43], v[14:15]
	v_fma_f64 v[16:17], v[42:43], v[12:13], -v[16:17]
	v_fma_f64 v[18:19], v[44:45], v[12:13], v[18:19]
	;; [unrolled: 8-line block ×3, first 2 shown]
	v_mul_f64 v[10:11], v[16:17], v[14:15]
	v_add_f64 v[38:39], v[38:39], v[42:43]
	v_add_f64 v[40:41], v[8:9], v[40:41]
	v_mul_f64 v[8:9], v[18:19], v[14:15]
	v_fma_f64 v[10:11], v[18:19], v[12:13], v[10:11]
	v_fma_f64 v[8:9], v[16:17], v[12:13], -v[8:9]
	v_add_f64 v[22:23], v[10:11], v[22:23]
	v_add_f64 v[20:21], v[20:21], v[8:9]
	ds_read_b128 v[8:11], v32 offset:1536
	s_waitcnt lgkmcnt(0)
	v_mul_f64 v[12:13], v[48:49], v[10:11]
	v_mul_f64 v[14:15], v[46:47], v[10:11]
	v_fma_f64 v[12:13], v[46:47], v[8:9], -v[12:13]
	v_fma_f64 v[14:15], v[48:49], v[8:9], v[14:15]
	v_add_f64 v[4:5], v[4:5], v[12:13]
	v_add_f64 v[42:43], v[14:15], v[50:51]
	ds_read_b128 v[12:15], v32 offset:1792
	s_waitcnt lgkmcnt(0)
	v_mul_f64 v[16:17], v[48:49], v[14:15]
	v_mul_f64 v[18:19], v[46:47], v[14:15]
	v_fma_f64 v[16:17], v[46:47], v[12:13], -v[16:17]
	v_fma_f64 v[18:19], v[48:49], v[12:13], v[18:19]
	v_add_f64 v[36:37], v[36:37], v[16:17]
	v_add_f64 v[34:35], v[18:19], v[34:35]
	ds_read_b128 v[16:19], v33 offset:2096
	s_waitcnt lgkmcnt(0)
	v_mul_f64 v[44:45], v[18:19], v[10:11]
	v_mul_f64 v[10:11], v[16:17], v[10:11]
	v_fma_f64 v[44:45], v[16:17], v[8:9], -v[44:45]
	v_fma_f64 v[8:9], v[18:19], v[8:9], v[10:11]
	v_mul_f64 v[10:11], v[16:17], v[14:15]
	v_add_f64 v[38:39], v[38:39], v[44:45]
	v_add_f64 v[40:41], v[8:9], v[40:41]
	v_mul_f64 v[8:9], v[18:19], v[14:15]
	v_fma_f64 v[10:11], v[18:19], v[12:13], v[10:11]
	v_fma_f64 v[8:9], v[16:17], v[12:13], -v[8:9]
	v_add_f64 v[22:23], v[10:11], v[22:23]
	v_add_f64 v[20:21], v[20:21], v[8:9]
	ds_read_b128 v[8:11], v33 offset:64
	ds_read_b128 v[12:15], v32 offset:2048
	s_waitcnt lgkmcnt(0)
	v_mul_f64 v[16:17], v[10:11], v[14:15]
	v_mul_f64 v[18:19], v[8:9], v[14:15]
	v_fma_f64 v[16:17], v[8:9], v[12:13], -v[16:17]
	v_fma_f64 v[18:19], v[10:11], v[12:13], v[18:19]
	v_add_f64 v[4:5], v[4:5], v[16:17]
	v_add_f64 v[42:43], v[18:19], v[42:43]
	ds_read_b128 v[16:19], v32 offset:2304
	s_waitcnt lgkmcnt(0)
	v_mul_f64 v[44:45], v[10:11], v[18:19]
	v_fma_f64 v[44:45], v[8:9], v[16:17], -v[44:45]
	v_mul_f64 v[8:9], v[8:9], v[18:19]
	v_add_f64 v[36:37], v[36:37], v[44:45]
	v_fma_f64 v[8:9], v[10:11], v[16:17], v[8:9]
	v_add_f64 v[34:35], v[8:9], v[34:35]
	ds_read_b128 v[8:11], v33 offset:2112
	s_waitcnt lgkmcnt(0)
	v_mul_f64 v[44:45], v[10:11], v[14:15]
	v_mul_f64 v[14:15], v[8:9], v[14:15]
	v_fma_f64 v[44:45], v[8:9], v[12:13], -v[44:45]
	v_fma_f64 v[12:13], v[10:11], v[12:13], v[14:15]
	v_add_f64 v[38:39], v[38:39], v[44:45]
	v_add_f64 v[40:41], v[12:13], v[40:41]
	v_mul_f64 v[12:13], v[10:11], v[18:19]
	v_fma_f64 v[12:13], v[8:9], v[16:17], -v[12:13]
	v_mul_f64 v[8:9], v[8:9], v[18:19]
	v_add_f64 v[20:21], v[20:21], v[12:13]
	v_fma_f64 v[8:9], v[10:11], v[16:17], v[8:9]
	v_add_f64 v[22:23], v[8:9], v[22:23]
	ds_read_b128 v[8:11], v33 offset:80
	ds_read_b128 v[12:15], v32 offset:2560
	s_waitcnt lgkmcnt(0)
	v_mul_f64 v[16:17], v[10:11], v[14:15]
	v_mul_f64 v[18:19], v[8:9], v[14:15]
	v_fma_f64 v[16:17], v[8:9], v[12:13], -v[16:17]
	v_fma_f64 v[18:19], v[10:11], v[12:13], v[18:19]
	v_add_f64 v[4:5], v[4:5], v[16:17]
	v_add_f64 v[42:43], v[18:19], v[42:43]
	ds_read_b128 v[16:19], v32 offset:2816
	s_waitcnt lgkmcnt(0)
	v_mul_f64 v[44:45], v[10:11], v[18:19]
	v_fma_f64 v[44:45], v[8:9], v[16:17], -v[44:45]
	v_mul_f64 v[8:9], v[8:9], v[18:19]
	v_add_f64 v[36:37], v[36:37], v[44:45]
	v_fma_f64 v[8:9], v[10:11], v[16:17], v[8:9]
	v_add_f64 v[34:35], v[8:9], v[34:35]
	ds_read_b128 v[8:11], v33 offset:2128
	s_waitcnt lgkmcnt(0)
	v_mul_f64 v[44:45], v[10:11], v[14:15]
	v_mul_f64 v[14:15], v[8:9], v[14:15]
	v_fma_f64 v[44:45], v[8:9], v[12:13], -v[44:45]
	v_fma_f64 v[12:13], v[10:11], v[12:13], v[14:15]
	v_add_f64 v[38:39], v[38:39], v[44:45]
	v_add_f64 v[40:41], v[12:13], v[40:41]
	v_mul_f64 v[12:13], v[10:11], v[18:19]
	v_fma_f64 v[12:13], v[8:9], v[16:17], -v[12:13]
	v_mul_f64 v[8:9], v[8:9], v[18:19]
	v_add_f64 v[20:21], v[20:21], v[12:13]
	v_fma_f64 v[8:9], v[10:11], v[16:17], v[8:9]
	;; [unrolled: 31-line block ×3, first 2 shown]
	v_add_f64 v[50:51], v[8:9], v[22:23]
	ds_read_b128 v[8:11], v33 offset:112
	ds_read_b128 v[12:15], v32 offset:3584
	;; [unrolled: 1-line block ×3, first 2 shown]
	s_waitcnt lgkmcnt(1)
	v_mul_f64 v[16:17], v[10:11], v[14:15]
	v_mul_f64 v[18:19], v[8:9], v[14:15]
	v_fma_f64 v[16:17], v[8:9], v[12:13], -v[16:17]
	v_fma_f64 v[18:19], v[10:11], v[12:13], v[18:19]
	v_add_f64 v[20:21], v[4:5], v[16:17]
	s_waitcnt lgkmcnt(0)
	v_mul_f64 v[4:5], v[10:11], v[36:37]
	v_add_f64 v[22:23], v[18:19], v[42:43]
	v_fma_f64 v[4:5], v[8:9], v[34:35], -v[4:5]
	v_mul_f64 v[8:9], v[8:9], v[36:37]
	v_add_f64 v[16:17], v[44:45], v[4:5]
	v_fma_f64 v[8:9], v[10:11], v[34:35], v[8:9]
	v_add_f64 v[18:19], v[8:9], v[46:47]
	ds_read_b128 v[8:11], v33 offset:2160
	s_waitcnt lgkmcnt(0)
	s_barrier
	buffer_gl0_inv
	v_mul_f64 v[4:5], v[10:11], v[14:15]
	v_mul_f64 v[14:15], v[8:9], v[14:15]
	v_fma_f64 v[4:5], v[8:9], v[12:13], -v[4:5]
	v_fma_f64 v[14:15], v[10:11], v[12:13], v[14:15]
	v_add_f64 v[12:13], v[38:39], v[4:5]
	v_mul_f64 v[4:5], v[10:11], v[36:37]
	v_add_f64 v[14:15], v[14:15], v[40:41]
	v_fma_f64 v[4:5], v[8:9], v[34:35], -v[4:5]
	v_mul_f64 v[8:9], v[8:9], v[36:37]
	v_fma_f64 v[8:9], v[10:11], v[34:35], v[8:9]
	v_add_f64 v[10:11], v[48:49], v[4:5]
	v_add_f64 v[8:9], v[8:9], v[50:51]
	s_cbranch_vccz .LBB274_17
.LBB274_7:                              ; =>This Inner Loop Header: Depth=1
	s_mov_b32 s18, s7
	s_mov_b32 s10, 0
	s_and_saveexec_b32 s11, s0
	s_cbranch_execnz .LBB274_15
; %bb.8:                                ;   in Loop: Header=BB274_7 Depth=1
	s_or_b32 exec_lo, exec_lo, s11
	s_and_saveexec_b32 s11, s18
	s_xor_b32 s11, exec_lo, s11
	s_cbranch_execnz .LBB274_16
.LBB274_9:                              ;   in Loop: Header=BB274_7 Depth=1
	s_or_b32 exec_lo, exec_lo, s11
	s_and_saveexec_b32 s11, s10
	s_cbranch_execz .LBB274_11
.LBB274_10:                             ;   in Loop: Header=BB274_7 Depth=1
	v_lshlrev_b64 v[4:5], 4, v[6:7]
	v_add_co_u32 v4, vcc_lo, v27, v4
	v_add_co_ci_u32_e64 v5, null, v28, v5, vcc_lo
	global_load_dwordx4 v[34:37], v[4:5], off
	s_waitcnt vmcnt(0)
	ds_write2_b64 v26, v[34:35], v[36:37] offset1:1
.LBB274_11:                             ;   in Loop: Header=BB274_7 Depth=1
	s_or_b32 exec_lo, exec_lo, s11
	v_add_nc_u32_e32 v2, s2, v24
	v_cmp_le_u64_e32 vcc_lo, s[12:13], v[2:3]
	s_or_b32 s10, vcc_lo, s1
	s_and_saveexec_b32 s11, s10
	s_xor_b32 s10, exec_lo, s11
	s_cbranch_execz .LBB274_13
; %bb.12:                               ;   in Loop: Header=BB274_7 Depth=1
	v_mov_b32_e32 v2, v3
	v_mov_b32_e32 v4, v3
	v_mov_b32_e32 v5, v3
	ds_write_b128 v29, v[2:5]
.LBB274_13:                             ;   in Loop: Header=BB274_7 Depth=1
	s_andn2_saveexec_b32 s10, s10
	s_cbranch_execz .LBB274_6
; %bb.14:                               ;   in Loop: Header=BB274_7 Depth=1
	v_mad_u64_u32 v[4:5], null, s26, v2, 0
	v_mad_u64_u32 v[34:35], null, s27, v2, v[5:6]
	v_mov_b32_e32 v5, v34
	v_lshlrev_b64 v[4:5], 4, v[4:5]
	v_add_co_u32 v4, vcc_lo, v30, v4
	v_add_co_ci_u32_e64 v5, null, v31, v5, vcc_lo
	global_load_dwordx4 v[34:37], v[4:5], off
	s_waitcnt vmcnt(0)
	ds_write2_b64 v29, v[34:35], v[36:37] offset1:1
	s_branch .LBB274_6
.LBB274_15:                             ;   in Loop: Header=BB274_7 Depth=1
	v_add_nc_u32_e32 v2, s2, v25
	v_mov_b32_e32 v7, v3
	s_andn2_b32 s18, s7, exec_lo
	s_mov_b32 s10, exec_lo
	v_cmp_le_u64_e32 vcc_lo, s[12:13], v[2:3]
	v_mov_b32_e32 v6, v2
	s_and_b32 s19, vcc_lo, exec_lo
	s_or_b32 s18, s18, s19
	s_or_b32 exec_lo, exec_lo, s11
	s_and_saveexec_b32 s11, s18
	s_xor_b32 s11, exec_lo, s11
	s_cbranch_execz .LBB274_9
.LBB274_16:                             ;   in Loop: Header=BB274_7 Depth=1
	v_mov_b32_e32 v2, v3
	v_mov_b32_e32 v4, v3
	;; [unrolled: 1-line block ×3, first 2 shown]
	s_andn2_b32 s10, s10, exec_lo
	ds_write_b128 v26, v[2:5]
	s_or_b32 exec_lo, exec_lo, s11
	s_and_saveexec_b32 s11, s10
	s_cbranch_execnz .LBB274_10
	s_branch .LBB274_11
.LBB274_17:
	v_add_nc_u32_e32 v25, s6, v1
	v_cmp_neq_f64_e64 s6, s[38:39], 0
	s_waitcnt lgkmcnt(0)
	s_mul_i32 s1, s31, s8
	s_mul_hi_u32 s2, s30, s8
	s_mul_i32 s0, s30, s8
	v_ashrrev_i32_e32 v3, 31, v25
	v_mul_lo_u32 v5, s29, v25
	v_mad_u64_u32 v[1:2], null, s28, v25, 0
	s_add_i32 s1, s2, s1
	v_mul_lo_u32 v3, s28, v3
	v_add_nc_u32_e32 v4, s5, v0
	s_lshl_b64 s[2:3], s[0:1], 4
	v_cmp_gt_i32_e64 s0, s4, v25
	s_add_u32 s2, s42, s2
	s_addc_u32 s3, s43, s3
	s_xor_b32 s5, s9, -1
	v_cmp_le_i32_e32 vcc_lo, v4, v25
	v_add3_u32 v2, v2, v3, v5
	v_ashrrev_i32_e32 v5, 31, v4
	s_or_b32 s5, s6, s5
	v_lshlrev_b64 v[0:1], 4, v[1:2]
	v_cndmask_b32_e64 v24, 0, 1, s5
	s_and_b32 s6, s0, vcc_lo
	v_add_co_u32 v26, s1, s2, v0
	v_add_co_ci_u32_e64 v27, null, s3, v1, s1
	s_and_saveexec_b32 s1, s6
	s_cbranch_execz .LBB274_21
; %bb.18:
	v_mul_f64 v[0:1], s[16:17], v[22:23]
	v_mul_f64 v[2:3], s[14:15], v[22:23]
	v_lshlrev_b64 v[6:7], 4, v[4:5]
	v_add_co_u32 v6, vcc_lo, v26, v6
	v_add_co_ci_u32_e64 v7, null, v27, v7, vcc_lo
	s_andn2_b32 vcc_lo, exec_lo, s5
	v_fma_f64 v[0:1], s[14:15], v[20:21], -v[0:1]
	v_fma_f64 v[2:3], s[16:17], v[20:21], v[2:3]
	s_cbranch_vccnz .LBB274_20
; %bb.19:
	global_load_dwordx4 v[20:23], v[6:7], off
	s_waitcnt vmcnt(0)
	v_mul_f64 v[28:29], s[40:41], v[22:23]
	v_mul_f64 v[22:23], s[38:39], v[22:23]
	v_fma_f64 v[28:29], s[38:39], v[20:21], -v[28:29]
	v_fma_f64 v[20:21], s[40:41], v[20:21], v[22:23]
	v_add_f64 v[0:1], v[0:1], v[28:29]
	v_add_f64 v[2:3], v[2:3], v[20:21]
.LBB274_20:
	global_store_dwordx4 v[6:7], v[0:3], off
.LBB274_21:
	s_or_b32 exec_lo, exec_lo, s1
	v_add_nc_u32_e32 v6, 16, v4
	v_cmp_le_i32_e32 vcc_lo, v6, v25
	v_ashrrev_i32_e32 v7, 31, v6
	s_and_b32 s0, s0, vcc_lo
	s_and_saveexec_b32 s1, s0
	s_cbranch_execz .LBB274_25
; %bb.22:
	v_mul_f64 v[0:1], s[16:17], v[18:19]
	v_mul_f64 v[2:3], s[14:15], v[18:19]
	v_cmp_ne_u32_e32 vcc_lo, 1, v24
	s_and_b32 vcc_lo, exec_lo, vcc_lo
	v_fma_f64 v[0:1], s[14:15], v[16:17], -v[0:1]
	v_fma_f64 v[2:3], s[16:17], v[16:17], v[2:3]
	v_lshlrev_b64 v[16:17], 4, v[6:7]
	v_add_co_u32 v16, s0, v26, v16
	v_add_co_ci_u32_e64 v17, null, v27, v17, s0
	s_cbranch_vccnz .LBB274_24
; %bb.23:
	global_load_dwordx4 v[18:21], v[16:17], off
	s_waitcnt vmcnt(0)
	v_mul_f64 v[22:23], s[40:41], v[20:21]
	v_mul_f64 v[20:21], s[38:39], v[20:21]
	v_fma_f64 v[22:23], s[38:39], v[18:19], -v[22:23]
	v_fma_f64 v[18:19], s[40:41], v[18:19], v[20:21]
	v_add_f64 v[0:1], v[0:1], v[22:23]
	v_add_f64 v[2:3], v[2:3], v[18:19]
.LBB274_24:
	global_store_dwordx4 v[16:17], v[0:3], off
.LBB274_25:
	s_or_b32 exec_lo, exec_lo, s1
	v_add_nc_u32_e32 v18, 16, v25
	v_ashrrev_i32_e32 v2, 31, v18
	v_mul_lo_u32 v3, s29, v18
	v_mad_u64_u32 v[0:1], null, s28, v18, 0
	v_cmp_gt_i32_e64 s0, s4, v18
	v_mul_lo_u32 v2, s28, v2
	v_cmp_le_i32_e32 vcc_lo, v4, v18
	v_add3_u32 v1, v1, v2, v3
	v_lshlrev_b64 v[0:1], 4, v[0:1]
	v_add_co_u32 v16, s1, s2, v0
	v_add_co_ci_u32_e64 v17, null, s3, v1, s1
	s_and_b32 s1, s0, vcc_lo
	s_and_saveexec_b32 s2, s1
	s_cbranch_execz .LBB274_29
; %bb.26:
	v_mul_f64 v[0:1], s[16:17], v[14:15]
	v_mul_f64 v[2:3], s[14:15], v[14:15]
	v_lshlrev_b64 v[4:5], 4, v[4:5]
	v_cmp_ne_u32_e32 vcc_lo, 1, v24
	s_and_b32 vcc_lo, exec_lo, vcc_lo
	v_add_co_u32 v4, s1, v16, v4
	v_add_co_ci_u32_e64 v5, null, v17, v5, s1
	v_fma_f64 v[0:1], s[14:15], v[12:13], -v[0:1]
	v_fma_f64 v[2:3], s[16:17], v[12:13], v[2:3]
	s_cbranch_vccnz .LBB274_28
; %bb.27:
	global_load_dwordx4 v[12:15], v[4:5], off
	s_waitcnt vmcnt(0)
	v_mul_f64 v[19:20], s[40:41], v[14:15]
	v_mul_f64 v[14:15], s[38:39], v[14:15]
	v_fma_f64 v[19:20], s[38:39], v[12:13], -v[19:20]
	v_fma_f64 v[12:13], s[40:41], v[12:13], v[14:15]
	v_add_f64 v[0:1], v[0:1], v[19:20]
	v_add_f64 v[2:3], v[2:3], v[12:13]
.LBB274_28:
	global_store_dwordx4 v[4:5], v[0:3], off
.LBB274_29:
	s_or_b32 exec_lo, exec_lo, s2
	v_cmp_le_i32_e32 vcc_lo, v6, v18
	s_and_b32 s0, s0, vcc_lo
	s_and_saveexec_b32 s1, s0
	s_cbranch_execz .LBB274_34
; %bb.30:
	v_mul_f64 v[0:1], s[16:17], v[8:9]
	v_mul_f64 v[2:3], s[14:15], v[8:9]
	v_lshlrev_b64 v[4:5], 4, v[6:7]
	v_cmp_ne_u32_e32 vcc_lo, 1, v24
	s_and_b32 vcc_lo, exec_lo, vcc_lo
	v_add_co_u32 v4, s0, v16, v4
	v_add_co_ci_u32_e64 v5, null, v17, v5, s0
	v_fma_f64 v[0:1], s[14:15], v[10:11], -v[0:1]
	v_fma_f64 v[2:3], s[16:17], v[10:11], v[2:3]
	s_cbranch_vccnz .LBB274_32
; %bb.31:
	global_load_dwordx4 v[6:9], v[4:5], off
	s_waitcnt vmcnt(0)
	v_mul_f64 v[10:11], s[40:41], v[8:9]
	v_mul_f64 v[8:9], s[38:39], v[8:9]
	v_fma_f64 v[10:11], s[38:39], v[6:7], -v[10:11]
	v_fma_f64 v[6:7], s[40:41], v[6:7], v[8:9]
	v_add_f64 v[0:1], v[0:1], v[10:11]
	v_add_f64 v[2:3], v[2:3], v[6:7]
.LBB274_32:
	global_store_dwordx4 v[4:5], v[0:3], off
	s_endpgm
.LBB274_33:
.LBB274_34:
	s_endpgm
	.section	.rodata,"a",@progbits
	.p2align	6, 0x0
	.amdhsa_kernel _ZL29rocblas_internal_gemmt_kernelIlLi16ELi32ELi8ELc84ELc84ELc85ELb0ELb0E19rocblas_complex_numIdES1_PKS1_PS1_EviT_T9_T10_S5_lS7_S5_lS6_T11_S5_li
		.amdhsa_group_segment_fixed_size 8192
		.amdhsa_private_segment_fixed_size 0
		.amdhsa_kernarg_size 124
		.amdhsa_user_sgpr_count 6
		.amdhsa_user_sgpr_private_segment_buffer 1
		.amdhsa_user_sgpr_dispatch_ptr 0
		.amdhsa_user_sgpr_queue_ptr 0
		.amdhsa_user_sgpr_kernarg_segment_ptr 1
		.amdhsa_user_sgpr_dispatch_id 0
		.amdhsa_user_sgpr_flat_scratch_init 0
		.amdhsa_user_sgpr_private_segment_size 0
		.amdhsa_wavefront_size32 1
		.amdhsa_uses_dynamic_stack 0
		.amdhsa_system_sgpr_private_segment_wavefront_offset 0
		.amdhsa_system_sgpr_workgroup_id_x 1
		.amdhsa_system_sgpr_workgroup_id_y 1
		.amdhsa_system_sgpr_workgroup_id_z 1
		.amdhsa_system_sgpr_workgroup_info 0
		.amdhsa_system_vgpr_workitem_id 1
		.amdhsa_next_free_vgpr 58
		.amdhsa_next_free_sgpr 44
		.amdhsa_reserve_vcc 1
		.amdhsa_reserve_flat_scratch 0
		.amdhsa_float_round_mode_32 0
		.amdhsa_float_round_mode_16_64 0
		.amdhsa_float_denorm_mode_32 3
		.amdhsa_float_denorm_mode_16_64 3
		.amdhsa_dx10_clamp 1
		.amdhsa_ieee_mode 1
		.amdhsa_fp16_overflow 0
		.amdhsa_workgroup_processor_mode 1
		.amdhsa_memory_ordered 1
		.amdhsa_forward_progress 1
		.amdhsa_shared_vgpr_count 0
		.amdhsa_exception_fp_ieee_invalid_op 0
		.amdhsa_exception_fp_denorm_src 0
		.amdhsa_exception_fp_ieee_div_zero 0
		.amdhsa_exception_fp_ieee_overflow 0
		.amdhsa_exception_fp_ieee_underflow 0
		.amdhsa_exception_fp_ieee_inexact 0
		.amdhsa_exception_int_div_zero 0
	.end_amdhsa_kernel
	.section	.text._ZL29rocblas_internal_gemmt_kernelIlLi16ELi32ELi8ELc84ELc84ELc85ELb0ELb0E19rocblas_complex_numIdES1_PKS1_PS1_EviT_T9_T10_S5_lS7_S5_lS6_T11_S5_li,"axG",@progbits,_ZL29rocblas_internal_gemmt_kernelIlLi16ELi32ELi8ELc84ELc84ELc85ELb0ELb0E19rocblas_complex_numIdES1_PKS1_PS1_EviT_T9_T10_S5_lS7_S5_lS6_T11_S5_li,comdat
.Lfunc_end274:
	.size	_ZL29rocblas_internal_gemmt_kernelIlLi16ELi32ELi8ELc84ELc84ELc85ELb0ELb0E19rocblas_complex_numIdES1_PKS1_PS1_EviT_T9_T10_S5_lS7_S5_lS6_T11_S5_li, .Lfunc_end274-_ZL29rocblas_internal_gemmt_kernelIlLi16ELi32ELi8ELc84ELc84ELc85ELb0ELb0E19rocblas_complex_numIdES1_PKS1_PS1_EviT_T9_T10_S5_lS7_S5_lS6_T11_S5_li
                                        ; -- End function
	.set _ZL29rocblas_internal_gemmt_kernelIlLi16ELi32ELi8ELc84ELc84ELc85ELb0ELb0E19rocblas_complex_numIdES1_PKS1_PS1_EviT_T9_T10_S5_lS7_S5_lS6_T11_S5_li.num_vgpr, 58
	.set _ZL29rocblas_internal_gemmt_kernelIlLi16ELi32ELi8ELc84ELc84ELc85ELb0ELb0E19rocblas_complex_numIdES1_PKS1_PS1_EviT_T9_T10_S5_lS7_S5_lS6_T11_S5_li.num_agpr, 0
	.set _ZL29rocblas_internal_gemmt_kernelIlLi16ELi32ELi8ELc84ELc84ELc85ELb0ELb0E19rocblas_complex_numIdES1_PKS1_PS1_EviT_T9_T10_S5_lS7_S5_lS6_T11_S5_li.numbered_sgpr, 44
	.set _ZL29rocblas_internal_gemmt_kernelIlLi16ELi32ELi8ELc84ELc84ELc85ELb0ELb0E19rocblas_complex_numIdES1_PKS1_PS1_EviT_T9_T10_S5_lS7_S5_lS6_T11_S5_li.num_named_barrier, 0
	.set _ZL29rocblas_internal_gemmt_kernelIlLi16ELi32ELi8ELc84ELc84ELc85ELb0ELb0E19rocblas_complex_numIdES1_PKS1_PS1_EviT_T9_T10_S5_lS7_S5_lS6_T11_S5_li.private_seg_size, 0
	.set _ZL29rocblas_internal_gemmt_kernelIlLi16ELi32ELi8ELc84ELc84ELc85ELb0ELb0E19rocblas_complex_numIdES1_PKS1_PS1_EviT_T9_T10_S5_lS7_S5_lS6_T11_S5_li.uses_vcc, 1
	.set _ZL29rocblas_internal_gemmt_kernelIlLi16ELi32ELi8ELc84ELc84ELc85ELb0ELb0E19rocblas_complex_numIdES1_PKS1_PS1_EviT_T9_T10_S5_lS7_S5_lS6_T11_S5_li.uses_flat_scratch, 0
	.set _ZL29rocblas_internal_gemmt_kernelIlLi16ELi32ELi8ELc84ELc84ELc85ELb0ELb0E19rocblas_complex_numIdES1_PKS1_PS1_EviT_T9_T10_S5_lS7_S5_lS6_T11_S5_li.has_dyn_sized_stack, 0
	.set _ZL29rocblas_internal_gemmt_kernelIlLi16ELi32ELi8ELc84ELc84ELc85ELb0ELb0E19rocblas_complex_numIdES1_PKS1_PS1_EviT_T9_T10_S5_lS7_S5_lS6_T11_S5_li.has_recursion, 0
	.set _ZL29rocblas_internal_gemmt_kernelIlLi16ELi32ELi8ELc84ELc84ELc85ELb0ELb0E19rocblas_complex_numIdES1_PKS1_PS1_EviT_T9_T10_S5_lS7_S5_lS6_T11_S5_li.has_indirect_call, 0
	.section	.AMDGPU.csdata,"",@progbits
; Kernel info:
; codeLenInByte = 3632
; TotalNumSgprs: 46
; NumVgprs: 58
; ScratchSize: 0
; MemoryBound: 0
; FloatMode: 240
; IeeeMode: 1
; LDSByteSize: 8192 bytes/workgroup (compile time only)
; SGPRBlocks: 0
; VGPRBlocks: 7
; NumSGPRsForWavesPerEU: 46
; NumVGPRsForWavesPerEU: 58
; Occupancy: 16
; WaveLimiterHint : 0
; COMPUTE_PGM_RSRC2:SCRATCH_EN: 0
; COMPUTE_PGM_RSRC2:USER_SGPR: 6
; COMPUTE_PGM_RSRC2:TRAP_HANDLER: 0
; COMPUTE_PGM_RSRC2:TGID_X_EN: 1
; COMPUTE_PGM_RSRC2:TGID_Y_EN: 1
; COMPUTE_PGM_RSRC2:TGID_Z_EN: 1
; COMPUTE_PGM_RSRC2:TIDIG_COMP_CNT: 1
	.section	.text._ZL29rocblas_internal_gemmt_kernelIlLi16ELi32ELi8ELc84ELc67ELc85ELb0ELb1E19rocblas_complex_numIdES1_PKS1_PS1_EviT_T9_T10_S5_lS7_S5_lS6_T11_S5_li,"axG",@progbits,_ZL29rocblas_internal_gemmt_kernelIlLi16ELi32ELi8ELc84ELc67ELc85ELb0ELb1E19rocblas_complex_numIdES1_PKS1_PS1_EviT_T9_T10_S5_lS7_S5_lS6_T11_S5_li,comdat
	.globl	_ZL29rocblas_internal_gemmt_kernelIlLi16ELi32ELi8ELc84ELc67ELc85ELb0ELb1E19rocblas_complex_numIdES1_PKS1_PS1_EviT_T9_T10_S5_lS7_S5_lS6_T11_S5_li ; -- Begin function _ZL29rocblas_internal_gemmt_kernelIlLi16ELi32ELi8ELc84ELc67ELc85ELb0ELb1E19rocblas_complex_numIdES1_PKS1_PS1_EviT_T9_T10_S5_lS7_S5_lS6_T11_S5_li
	.p2align	8
	.type	_ZL29rocblas_internal_gemmt_kernelIlLi16ELi32ELi8ELc84ELc67ELc85ELb0ELb1E19rocblas_complex_numIdES1_PKS1_PS1_EviT_T9_T10_S5_lS7_S5_lS6_T11_S5_li,@function
_ZL29rocblas_internal_gemmt_kernelIlLi16ELi32ELi8ELc84ELc67ELc85ELb0ELb1E19rocblas_complex_numIdES1_PKS1_PS1_EviT_T9_T10_S5_lS7_S5_lS6_T11_S5_li: ; @_ZL29rocblas_internal_gemmt_kernelIlLi16ELi32ELi8ELc84ELc67ELc85ELb0ELb1E19rocblas_complex_numIdES1_PKS1_PS1_EviT_T9_T10_S5_lS7_S5_lS6_T11_S5_li
; %bb.0:
	s_clause 0x1
	s_load_dwordx8 s[36:43], s[4:5], 0x48
	s_load_dwordx16 s[12:27], s[4:5], 0x8
	s_waitcnt lgkmcnt(0)
	v_cmp_eq_f64_e64 s0, s[38:39], 1.0
	v_cmp_eq_f64_e64 s9, s[40:41], 0
	s_and_b32 s0, s0, s9
	s_andn2_b32 vcc_lo, exec_lo, s0
	s_mov_b32 s0, -1
	s_cbranch_vccnz .LBB275_3
; %bb.1:
	s_cmp_lg_u64 s[12:13], 0
	s_cbranch_scc0 .LBB275_31
; %bb.2:
	v_cmp_neq_f64_e64 s0, s[14:15], 0
	v_cmp_neq_f64_e64 s1, s[16:17], 0
	s_or_b32 s0, s0, s1
.LBB275_3:
	s_and_b32 vcc_lo, exec_lo, s0
	s_cbranch_vccz .LBB275_32
; %bb.4:
	v_cmp_eq_f64_e64 s0, s[14:15], 0
	v_cmp_eq_f64_e64 s1, s[16:17], 0
	s_clause 0x1
	s_load_dwordx4 s[28:31], s[4:5], 0x68
	s_load_dword s4, s[4:5], 0x0
	v_cmp_lt_i64_e64 s2, s[12:13], 1
	v_mov_b32_e32 v22, 0
	v_mov_b32_e32 v24, 0
	;; [unrolled: 1-line block ×16, first 2 shown]
	s_lshl_b32 s5, s6, 5
	s_lshl_b32 s6, s7, 5
	s_and_b32 s0, s0, s1
	s_or_b32 s0, s0, s2
	s_and_b32 vcc_lo, exec_lo, s0
	s_cbranch_vccnz .LBB275_15
; %bb.5:
	v_lshl_add_u32 v4, v1, 4, v0
	s_mul_i32 s1, s37, s8
	s_mul_hi_u32 s2, s36, s8
	s_mul_i32 s0, s36, s8
	s_add_i32 s1, s2, s1
	v_and_b32_e32 v5, 31, v4
	s_lshl_b64 s[0:1], s[0:1], 4
	s_mul_i32 s2, s23, s8
	s_mul_hi_u32 s3, s22, s8
	s_add_u32 s10, s24, s0
	v_or_b32_e32 v6, s5, v5
	s_addc_u32 s11, s25, s1
	s_add_i32 s1, s3, s2
	s_mul_i32 s0, s22, s8
	v_lshrrev_b32_e32 v8, 3, v4
	v_mul_lo_u32 v7, s21, v6
	v_mad_u64_u32 v[2:3], null, s20, v6, 0
	s_lshl_b64 s[0:1], s[0:1], 4
	v_lshrrev_b32_e32 v27, 5, v4
	s_add_u32 s2, s18, s0
	s_addc_u32 s1, s19, s1
	s_ashr_i32 s0, s5, 31
	v_add_nc_u32_e32 v4, s6, v8
	s_mul_i32 s0, s20, s0
	v_and_b32_e32 v26, 7, v0
	v_add3_u32 v3, v3, s0, v7
	v_lshlrev_b32_e32 v7, 4, v5
	v_ashrrev_i32_e32 v5, 31, v4
	s_waitcnt lgkmcnt(0)
	v_cmp_gt_i32_e64 s0, s4, v6
	v_lshlrev_b32_e32 v9, 4, v26
	v_lshlrev_b64 v[2:3], 4, v[2:3]
	v_cmp_le_i32_e64 s7, s4, v6
	v_lshlrev_b64 v[5:6], 4, v[4:5]
	v_lshl_or_b32 v28, v27, 9, v7
	v_lshl_or_b32 v7, v8, 7, v9
	v_mov_b32_e32 v10, 0
	v_add_co_u32 v29, vcc_lo, s2, v2
	v_add_co_ci_u32_e64 v30, null, s1, v3, vcc_lo
	v_add_co_u32 v32, vcc_lo, s10, v5
	v_mov_b32_e32 v12, 0
	v_mov_b32_e32 v16, 0
	;; [unrolled: 1-line block ×7, first 2 shown]
	v_cmp_gt_i32_e64 s1, s4, v4
	v_add_nc_u32_e32 v31, 0x1000, v7
	v_add_co_ci_u32_e64 v33, null, s11, v6, vcc_lo
	v_lshlrev_b32_e32 v34, 4, v0
	v_lshl_add_u32 v35, v1, 7, 0x1000
	v_mov_b32_e32 v11, 0
	v_mov_b32_e32 v13, 0
	;; [unrolled: 1-line block ×9, first 2 shown]
	s_mov_b64 s[2:3], 0
                                        ; implicit-def: $vgpr8_vgpr9
	s_branch .LBB275_7
.LBB275_6:                              ;   in Loop: Header=BB275_7 Depth=1
	s_or_b32 exec_lo, exec_lo, s10
	ds_write_b128 v31, v[4:7]
	s_waitcnt lgkmcnt(0)
	s_barrier
	buffer_gl0_inv
	ds_read_b128 v[4:7], v35
	ds_read_b128 v[36:39], v34
	ds_read_b128 v[40:43], v34 offset:256
	ds_read_b128 v[44:47], v35 offset:2048
	;; [unrolled: 1-line block ×11, first 2 shown]
	s_add_u32 s2, s2, 8
	s_addc_u32 s3, s3, 0
	v_cmp_gt_i64_e64 s10, s[12:13], s[2:3]
	s_waitcnt lgkmcnt(11)
	v_mul_f64 v[84:85], v[6:7], v[38:39]
	v_mul_f64 v[86:87], v[4:5], v[38:39]
	s_waitcnt lgkmcnt(10)
	v_mul_f64 v[88:89], v[6:7], v[42:43]
	v_mul_f64 v[90:91], v[4:5], v[42:43]
	;; [unrolled: 3-line block ×3, first 2 shown]
	v_mul_f64 v[94:95], v[46:47], v[42:43]
	v_mul_f64 v[42:43], v[44:45], v[42:43]
	s_waitcnt lgkmcnt(7)
	v_mul_f64 v[96:97], v[50:51], v[54:55]
	v_mul_f64 v[98:99], v[48:49], v[54:55]
	s_waitcnt lgkmcnt(6)
	v_mul_f64 v[100:101], v[50:51], v[58:59]
	s_waitcnt lgkmcnt(5)
	v_mul_f64 v[104:105], v[62:63], v[54:55]
	v_mul_f64 v[54:55], v[60:61], v[54:55]
	;; [unrolled: 1-line block ×5, first 2 shown]
	s_waitcnt lgkmcnt(3)
	v_mul_f64 v[108:109], v[70:71], v[66:67]
	v_mul_f64 v[110:111], v[68:69], v[66:67]
	s_and_b32 vcc_lo, exec_lo, s10
	v_fma_f64 v[84:85], v[4:5], v[36:37], -v[84:85]
	v_fma_f64 v[86:87], v[6:7], v[36:37], v[86:87]
	v_fma_f64 v[88:89], v[4:5], v[40:41], -v[88:89]
	v_fma_f64 v[90:91], v[6:7], v[40:41], v[90:91]
	;; [unrolled: 2-line block ×3, first 2 shown]
	v_fma_f64 v[94:95], v[44:45], v[40:41], -v[94:95]
	ds_read_b128 v[4:7], v34 offset:1536
	s_waitcnt lgkmcnt(3)
	v_mul_f64 v[112:113], v[70:71], v[74:75]
	v_mul_f64 v[114:115], v[68:69], v[74:75]
	v_fma_f64 v[118:119], v[46:47], v[40:41], v[42:43]
	v_fma_f64 v[96:97], v[48:49], v[52:53], -v[96:97]
	v_fma_f64 v[98:99], v[50:51], v[52:53], v[98:99]
	v_fma_f64 v[48:49], v[48:49], v[56:57], -v[100:101]
	s_waitcnt lgkmcnt(2)
	v_mul_f64 v[44:45], v[78:79], v[66:67]
	v_fma_f64 v[100:101], v[60:61], v[52:53], -v[104:105]
	v_fma_f64 v[52:53], v[62:63], v[52:53], v[54:55]
	v_mul_f64 v[46:47], v[76:77], v[66:67]
	v_mul_f64 v[54:55], v[78:79], v[74:75]
	;; [unrolled: 1-line block ×3, first 2 shown]
	v_fma_f64 v[50:51], v[50:51], v[56:57], v[102:103]
	v_fma_f64 v[60:61], v[60:61], v[56:57], -v[106:107]
	v_fma_f64 v[56:57], v[62:63], v[56:57], v[58:59]
	v_fma_f64 v[58:59], v[68:69], v[64:65], -v[108:109]
	v_fma_f64 v[62:63], v[70:71], v[64:65], v[110:111]
	v_add_f64 v[84:85], v[22:23], v[84:85]
	v_add_f64 v[86:87], v[86:87], v[24:25]
	;; [unrolled: 1-line block ×5, first 2 shown]
	v_fma_f64 v[68:69], v[68:69], v[72:73], -v[112:113]
	v_fma_f64 v[70:71], v[70:71], v[72:73], v[114:115]
	v_add_f64 v[106:107], v[116:117], v[16:17]
	ds_read_b128 v[36:39], v34 offset:1792
	ds_read_b128 v[40:43], v35 offset:2096
	s_waitcnt lgkmcnt(2)
	v_mul_f64 v[74:75], v[82:83], v[6:7]
	v_mul_f64 v[102:103], v[80:81], v[6:7]
	v_fma_f64 v[110:111], v[76:77], v[64:65], -v[44:45]
	ds_read_b128 v[14:17], v35 offset:64
	v_fma_f64 v[64:65], v[78:79], v[64:65], v[46:47]
	v_fma_f64 v[76:77], v[76:77], v[72:73], -v[54:55]
	v_fma_f64 v[66:67], v[78:79], v[72:73], v[66:67]
	v_add_f64 v[54:55], v[12:13], v[94:95]
	v_add_f64 v[72:73], v[118:119], v[10:11]
	ds_read_b128 v[18:21], v34 offset:2048
	ds_read_b128 v[22:25], v34 offset:2304
	ds_read_b128 v[44:47], v35 offset:2112
	ds_read_b128 v[10:13], v34 offset:2560
	v_add_f64 v[84:85], v[84:85], v[96:97]
	v_add_f64 v[86:87], v[98:99], v[86:87]
	;; [unrolled: 1-line block ×5, first 2 shown]
	s_waitcnt lgkmcnt(6)
	v_mul_f64 v[104:105], v[82:83], v[38:39]
	v_mul_f64 v[108:109], v[80:81], v[38:39]
	s_waitcnt lgkmcnt(5)
	v_mul_f64 v[112:113], v[42:43], v[6:7]
	v_mul_f64 v[6:7], v[40:41], v[6:7]
	v_add_f64 v[52:53], v[52:53], v[106:107]
	v_mul_f64 v[94:95], v[42:43], v[38:39]
	v_mul_f64 v[38:39], v[40:41], v[38:39]
	v_fma_f64 v[74:75], v[80:81], v[4:5], -v[74:75]
	v_fma_f64 v[78:79], v[82:83], v[4:5], v[102:103]
	ds_read_b128 v[48:51], v35 offset:2128
	s_waitcnt lgkmcnt(4)
	v_mul_f64 v[100:101], v[16:17], v[20:21]
	v_mul_f64 v[102:103], v[14:15], v[20:21]
	v_add_f64 v[60:61], v[54:55], v[60:61]
	v_add_f64 v[56:57], v[56:57], v[72:73]
	s_waitcnt lgkmcnt(3)
	v_mul_f64 v[106:107], v[14:15], v[24:25]
	s_waitcnt lgkmcnt(2)
	v_mul_f64 v[72:73], v[46:47], v[20:21]
	v_mul_f64 v[20:21], v[44:45], v[20:21]
	v_add_f64 v[58:59], v[84:85], v[58:59]
	v_add_f64 v[62:63], v[62:63], v[86:87]
	;; [unrolled: 1-line block ×5, first 2 shown]
	v_fma_f64 v[80:81], v[80:81], v[36:37], -v[104:105]
	v_fma_f64 v[82:83], v[82:83], v[36:37], v[108:109]
	v_fma_f64 v[96:97], v[40:41], v[4:5], -v[112:113]
	v_fma_f64 v[98:99], v[42:43], v[4:5], v[6:7]
	v_mul_f64 v[104:105], v[16:17], v[24:25]
	v_add_f64 v[64:65], v[64:65], v[52:53]
	v_mul_f64 v[86:87], v[46:47], v[24:25]
	v_mul_f64 v[24:25], v[44:45], v[24:25]
	v_fma_f64 v[40:41], v[40:41], v[36:37], -v[94:95]
	v_fma_f64 v[42:43], v[42:43], v[36:37], v[38:39]
	ds_read_b128 v[4:7], v35 offset:80
	ds_read_b128 v[52:55], v34 offset:2816
	v_add_f64 v[60:61], v[60:61], v[76:77]
	v_add_f64 v[56:57], v[66:67], v[56:57]
	v_fma_f64 v[90:91], v[14:15], v[18:19], -v[100:101]
	v_fma_f64 v[92:93], v[16:17], v[18:19], v[102:103]
	v_fma_f64 v[100:101], v[16:17], v[22:23], v[106:107]
	v_fma_f64 v[66:67], v[44:45], v[18:19], -v[72:73]
	v_add_f64 v[58:59], v[58:59], v[74:75]
	v_add_f64 v[62:63], v[78:79], v[62:63]
	v_fma_f64 v[72:73], v[46:47], v[18:19], v[20:21]
	v_add_f64 v[68:69], v[68:69], v[80:81]
	v_add_f64 v[70:71], v[82:83], v[70:71]
	v_add_f64 v[74:75], v[84:85], v[96:97]
	s_waitcnt lgkmcnt(2)
	v_mul_f64 v[82:83], v[50:51], v[12:13]
	v_fma_f64 v[94:95], v[14:15], v[22:23], -v[104:105]
	v_add_f64 v[64:65], v[98:99], v[64:65]
	v_fma_f64 v[44:45], v[44:45], v[22:23], -v[86:87]
	v_fma_f64 v[46:47], v[46:47], v[22:23], v[24:25]
	s_waitcnt lgkmcnt(1)
	v_mul_f64 v[88:89], v[6:7], v[12:13]
	v_mul_f64 v[76:77], v[4:5], v[12:13]
	s_waitcnt lgkmcnt(0)
	v_mul_f64 v[78:79], v[6:7], v[54:55]
	v_mul_f64 v[80:81], v[4:5], v[54:55]
	;; [unrolled: 1-line block ×5, first 2 shown]
	v_add_f64 v[40:41], v[60:61], v[40:41]
	v_add_f64 v[42:43], v[42:43], v[56:57]
	ds_read_b128 v[14:17], v35 offset:96
	ds_read_b128 v[18:21], v34 offset:3072
	;; [unrolled: 1-line block ×4, first 2 shown]
	v_add_f64 v[56:57], v[58:59], v[90:91]
	v_add_f64 v[58:59], v[92:93], v[62:63]
	;; [unrolled: 1-line block ×3, first 2 shown]
	v_fma_f64 v[82:83], v[48:49], v[10:11], -v[82:83]
	v_add_f64 v[62:63], v[68:69], v[94:95]
	v_add_f64 v[68:69], v[100:101], v[70:71]
	;; [unrolled: 1-line block ×3, first 2 shown]
	v_fma_f64 v[60:61], v[4:5], v[10:11], -v[88:89]
	v_fma_f64 v[70:71], v[6:7], v[10:11], v[76:77]
	v_fma_f64 v[72:73], v[4:5], v[52:53], -v[78:79]
	v_fma_f64 v[74:75], v[6:7], v[52:53], v[80:81]
	ds_read_b128 v[4:7], v35 offset:112
	v_fma_f64 v[88:89], v[50:51], v[10:11], v[12:13]
	s_waitcnt lgkmcnt(3)
	v_mul_f64 v[76:77], v[16:17], v[20:21]
	v_mul_f64 v[78:79], v[14:15], v[20:21]
	s_waitcnt lgkmcnt(2)
	v_mul_f64 v[80:81], v[16:17], v[38:39]
	v_mul_f64 v[86:87], v[14:15], v[38:39]
	v_fma_f64 v[48:49], v[48:49], v[52:53], -v[84:85]
	v_fma_f64 v[50:51], v[50:51], v[52:53], v[54:55]
	v_add_f64 v[52:53], v[40:41], v[44:45]
	v_add_f64 v[46:47], v[46:47], v[42:43]
	s_waitcnt lgkmcnt(1)
	v_mul_f64 v[54:55], v[24:25], v[20:21]
	v_mul_f64 v[20:21], v[22:23], v[20:21]
	;; [unrolled: 1-line block ×4, first 2 shown]
	ds_read_b128 v[10:13], v35 offset:2160
	ds_read_b128 v[38:41], v34 offset:3584
	;; [unrolled: 1-line block ×3, first 2 shown]
	v_add_f64 v[66:67], v[66:67], v[82:83]
	s_waitcnt lgkmcnt(0)
	v_add_f64 v[56:57], v[56:57], v[60:61]
	v_add_f64 v[58:59], v[70:71], v[58:59]
	;; [unrolled: 1-line block ×4, first 2 shown]
	s_barrier
	v_add_f64 v[64:65], v[88:89], v[64:65]
	v_fma_f64 v[60:61], v[14:15], v[18:19], -v[76:77]
	v_fma_f64 v[70:71], v[16:17], v[18:19], v[78:79]
	v_fma_f64 v[14:15], v[14:15], v[36:37], -v[80:81]
	v_fma_f64 v[16:17], v[16:17], v[36:37], v[86:87]
	buffer_gl0_inv
	v_add_f64 v[48:49], v[52:53], v[48:49]
	v_add_f64 v[46:47], v[50:51], v[46:47]
	v_fma_f64 v[50:51], v[22:23], v[18:19], -v[54:55]
	v_fma_f64 v[18:19], v[24:25], v[18:19], v[20:21]
	v_fma_f64 v[20:21], v[22:23], v[36:37], -v[84:85]
	v_fma_f64 v[22:23], v[24:25], v[36:37], v[90:91]
	v_mul_f64 v[24:25], v[6:7], v[40:41]
	v_mul_f64 v[36:37], v[4:5], v[40:41]
	;; [unrolled: 1-line block ×8, first 2 shown]
	v_add_f64 v[56:57], v[56:57], v[60:61]
	v_add_f64 v[58:59], v[70:71], v[58:59]
	;; [unrolled: 1-line block ×8, first 2 shown]
	v_fma_f64 v[18:19], v[4:5], v[38:39], -v[24:25]
	v_fma_f64 v[20:21], v[6:7], v[38:39], v[36:37]
	v_fma_f64 v[4:5], v[4:5], v[42:43], -v[52:53]
	v_fma_f64 v[6:7], v[6:7], v[42:43], v[54:55]
	;; [unrolled: 2-line block ×4, first 2 shown]
	v_add_f64 v[22:23], v[56:57], v[18:19]
	v_add_f64 v[24:25], v[20:21], v[58:59]
	;; [unrolled: 1-line block ×8, first 2 shown]
	s_cbranch_vccz .LBB275_15
.LBB275_7:                              ; =>This Inner Loop Header: Depth=1
	s_mov_b32 s18, s7
	s_mov_b32 s10, 0
	s_and_saveexec_b32 s11, s0
	s_cbranch_execnz .LBB275_13
; %bb.8:                                ;   in Loop: Header=BB275_7 Depth=1
	s_or_b32 exec_lo, exec_lo, s11
	s_and_saveexec_b32 s11, s18
	s_xor_b32 s11, exec_lo, s11
	s_cbranch_execnz .LBB275_14
.LBB275_9:                              ;   in Loop: Header=BB275_7 Depth=1
	s_or_b32 exec_lo, exec_lo, s11
	s_and_saveexec_b32 s11, s10
	s_cbranch_execz .LBB275_11
.LBB275_10:                             ;   in Loop: Header=BB275_7 Depth=1
	v_lshlrev_b64 v[4:5], 4, v[8:9]
	v_add_co_u32 v4, vcc_lo, v29, v4
	v_add_co_ci_u32_e64 v5, null, v30, v5, vcc_lo
	global_load_dwordx4 v[4:7], v[4:5], off
	s_waitcnt vmcnt(0)
	ds_write2_b64 v28, v[4:5], v[6:7] offset1:1
.LBB275_11:                             ;   in Loop: Header=BB275_7 Depth=1
	s_or_b32 exec_lo, exec_lo, s11
	v_add_nc_u32_e32 v2, s2, v26
	v_mov_b32_e32 v4, 0
	v_mov_b32_e32 v6, 0
	;; [unrolled: 1-line block ×4, first 2 shown]
	v_cmp_gt_u64_e32 vcc_lo, s[12:13], v[2:3]
	s_and_b32 s11, vcc_lo, s1
	s_and_saveexec_b32 s10, s11
	s_cbranch_execz .LBB275_6
; %bb.12:                               ;   in Loop: Header=BB275_7 Depth=1
	v_mad_u64_u32 v[4:5], null, s26, v2, 0
	v_mad_u64_u32 v[5:6], null, s27, v2, v[5:6]
	v_lshlrev_b64 v[4:5], 4, v[4:5]
	v_add_co_u32 v4, vcc_lo, v32, v4
	v_add_co_ci_u32_e64 v5, null, v33, v5, vcc_lo
	global_load_dwordx4 v[4:7], v[4:5], off
	s_waitcnt vmcnt(0)
	v_xor_b32_e32 v7, 0x80000000, v7
	s_branch .LBB275_6
.LBB275_13:                             ;   in Loop: Header=BB275_7 Depth=1
	v_add_nc_u32_e32 v2, s2, v27
	v_mov_b32_e32 v9, v3
	s_andn2_b32 s18, s7, exec_lo
	s_mov_b32 s10, exec_lo
	v_cmp_le_u64_e32 vcc_lo, s[12:13], v[2:3]
	v_mov_b32_e32 v8, v2
	s_and_b32 s19, vcc_lo, exec_lo
	s_or_b32 s18, s18, s19
	s_or_b32 exec_lo, exec_lo, s11
	s_and_saveexec_b32 s11, s18
	s_xor_b32 s11, exec_lo, s11
	s_cbranch_execz .LBB275_9
.LBB275_14:                             ;   in Loop: Header=BB275_7 Depth=1
	v_mov_b32_e32 v2, v3
	v_mov_b32_e32 v4, v3
	;; [unrolled: 1-line block ×3, first 2 shown]
	s_andn2_b32 s10, s10, exec_lo
	ds_write_b128 v28, v[2:5]
	s_or_b32 exec_lo, exec_lo, s11
	s_and_saveexec_b32 s11, s10
	s_cbranch_execnz .LBB275_10
	s_branch .LBB275_11
.LBB275_15:
	v_add_nc_u32_e32 v27, s6, v1
	v_cmp_neq_f64_e64 s6, s[38:39], 0
	s_waitcnt lgkmcnt(0)
	s_mul_i32 s1, s31, s8
	s_mul_hi_u32 s2, s30, s8
	s_mul_i32 s0, s30, s8
	v_ashrrev_i32_e32 v3, 31, v27
	v_mul_lo_u32 v5, s29, v27
	v_mad_u64_u32 v[1:2], null, s28, v27, 0
	s_add_i32 s1, s2, s1
	v_mul_lo_u32 v3, s28, v3
	v_add_nc_u32_e32 v4, s5, v0
	s_lshl_b64 s[2:3], s[0:1], 4
	v_cmp_gt_i32_e64 s0, s4, v27
	s_add_u32 s2, s42, s2
	s_addc_u32 s3, s43, s3
	s_xor_b32 s5, s9, -1
	v_cmp_le_i32_e32 vcc_lo, v4, v27
	v_add3_u32 v2, v2, v3, v5
	v_ashrrev_i32_e32 v5, 31, v4
	s_or_b32 s5, s6, s5
	v_lshlrev_b64 v[0:1], 4, v[1:2]
	v_cndmask_b32_e64 v26, 0, 1, s5
	s_and_b32 s6, s0, vcc_lo
	v_add_co_u32 v8, s1, s2, v0
	v_add_co_ci_u32_e64 v9, null, s3, v1, s1
	s_and_saveexec_b32 s1, s6
	s_cbranch_execz .LBB275_19
; %bb.16:
	v_mul_f64 v[0:1], s[16:17], v[24:25]
	v_mul_f64 v[2:3], s[14:15], v[24:25]
	v_lshlrev_b64 v[6:7], 4, v[4:5]
	v_add_co_u32 v6, vcc_lo, v8, v6
	v_add_co_ci_u32_e64 v7, null, v9, v7, vcc_lo
	s_andn2_b32 vcc_lo, exec_lo, s5
	v_fma_f64 v[0:1], s[14:15], v[22:23], -v[0:1]
	v_fma_f64 v[2:3], s[16:17], v[22:23], v[2:3]
	s_cbranch_vccnz .LBB275_18
; %bb.17:
	global_load_dwordx4 v[22:25], v[6:7], off
	s_waitcnt vmcnt(0)
	v_mul_f64 v[28:29], s[40:41], v[24:25]
	v_mul_f64 v[24:25], s[38:39], v[24:25]
	v_fma_f64 v[28:29], s[38:39], v[22:23], -v[28:29]
	v_fma_f64 v[22:23], s[40:41], v[22:23], v[24:25]
	v_add_f64 v[0:1], v[0:1], v[28:29]
	v_add_f64 v[2:3], v[2:3], v[22:23]
.LBB275_18:
	global_store_dwordx4 v[6:7], v[0:3], off
.LBB275_19:
	s_or_b32 exec_lo, exec_lo, s1
	v_add_nc_u32_e32 v6, 16, v4
	v_cmp_le_i32_e32 vcc_lo, v6, v27
	v_ashrrev_i32_e32 v7, 31, v6
	s_and_b32 s0, s0, vcc_lo
	s_and_saveexec_b32 s1, s0
	s_cbranch_execz .LBB275_23
; %bb.20:
	v_mul_f64 v[0:1], s[16:17], v[20:21]
	v_mul_f64 v[2:3], s[14:15], v[20:21]
	v_cmp_ne_u32_e32 vcc_lo, 1, v26
	s_and_b32 vcc_lo, exec_lo, vcc_lo
	v_fma_f64 v[0:1], s[14:15], v[18:19], -v[0:1]
	v_fma_f64 v[2:3], s[16:17], v[18:19], v[2:3]
	v_lshlrev_b64 v[18:19], 4, v[6:7]
	v_add_co_u32 v8, s0, v8, v18
	v_add_co_ci_u32_e64 v9, null, v9, v19, s0
	s_cbranch_vccnz .LBB275_22
; %bb.21:
	global_load_dwordx4 v[18:21], v[8:9], off
	s_waitcnt vmcnt(0)
	v_mul_f64 v[22:23], s[40:41], v[20:21]
	v_mul_f64 v[20:21], s[38:39], v[20:21]
	v_fma_f64 v[22:23], s[38:39], v[18:19], -v[22:23]
	v_fma_f64 v[18:19], s[40:41], v[18:19], v[20:21]
	v_add_f64 v[0:1], v[0:1], v[22:23]
	v_add_f64 v[2:3], v[2:3], v[18:19]
.LBB275_22:
	global_store_dwordx4 v[8:9], v[0:3], off
.LBB275_23:
	s_or_b32 exec_lo, exec_lo, s1
	v_add_nc_u32_e32 v18, 16, v27
	v_ashrrev_i32_e32 v2, 31, v18
	v_mul_lo_u32 v3, s29, v18
	v_mad_u64_u32 v[0:1], null, s28, v18, 0
	v_cmp_gt_i32_e64 s0, s4, v18
	v_mul_lo_u32 v2, s28, v2
	v_cmp_le_i32_e32 vcc_lo, v4, v18
	v_add3_u32 v1, v1, v2, v3
	v_lshlrev_b64 v[0:1], 4, v[0:1]
	v_add_co_u32 v8, s1, s2, v0
	v_add_co_ci_u32_e64 v9, null, s3, v1, s1
	s_and_b32 s1, s0, vcc_lo
	s_and_saveexec_b32 s2, s1
	s_cbranch_execz .LBB275_27
; %bb.24:
	v_mul_f64 v[0:1], s[16:17], v[16:17]
	v_mul_f64 v[2:3], s[14:15], v[16:17]
	v_lshlrev_b64 v[4:5], 4, v[4:5]
	v_cmp_ne_u32_e32 vcc_lo, 1, v26
	s_and_b32 vcc_lo, exec_lo, vcc_lo
	v_add_co_u32 v4, s1, v8, v4
	v_add_co_ci_u32_e64 v5, null, v9, v5, s1
	v_fma_f64 v[0:1], s[14:15], v[14:15], -v[0:1]
	v_fma_f64 v[2:3], s[16:17], v[14:15], v[2:3]
	s_cbranch_vccnz .LBB275_26
; %bb.25:
	global_load_dwordx4 v[14:17], v[4:5], off
	s_waitcnt vmcnt(0)
	v_mul_f64 v[19:20], s[40:41], v[16:17]
	v_mul_f64 v[16:17], s[38:39], v[16:17]
	v_fma_f64 v[19:20], s[38:39], v[14:15], -v[19:20]
	v_fma_f64 v[14:15], s[40:41], v[14:15], v[16:17]
	v_add_f64 v[0:1], v[0:1], v[19:20]
	v_add_f64 v[2:3], v[2:3], v[14:15]
.LBB275_26:
	global_store_dwordx4 v[4:5], v[0:3], off
.LBB275_27:
	s_or_b32 exec_lo, exec_lo, s2
	v_cmp_le_i32_e32 vcc_lo, v6, v18
	s_and_b32 s0, s0, vcc_lo
	s_and_saveexec_b32 s1, s0
	s_cbranch_execz .LBB275_32
; %bb.28:
	v_mul_f64 v[0:1], s[16:17], v[10:11]
	v_mul_f64 v[2:3], s[14:15], v[10:11]
	v_lshlrev_b64 v[4:5], 4, v[6:7]
	v_cmp_ne_u32_e32 vcc_lo, 1, v26
	s_and_b32 vcc_lo, exec_lo, vcc_lo
	v_add_co_u32 v4, s0, v8, v4
	v_add_co_ci_u32_e64 v5, null, v9, v5, s0
	v_fma_f64 v[0:1], s[14:15], v[12:13], -v[0:1]
	v_fma_f64 v[2:3], s[16:17], v[12:13], v[2:3]
	s_cbranch_vccnz .LBB275_30
; %bb.29:
	global_load_dwordx4 v[6:9], v[4:5], off
	s_waitcnt vmcnt(0)
	v_mul_f64 v[10:11], s[40:41], v[8:9]
	v_mul_f64 v[8:9], s[38:39], v[8:9]
	v_fma_f64 v[10:11], s[38:39], v[6:7], -v[10:11]
	v_fma_f64 v[6:7], s[40:41], v[6:7], v[8:9]
	v_add_f64 v[0:1], v[0:1], v[10:11]
	v_add_f64 v[2:3], v[2:3], v[6:7]
.LBB275_30:
	global_store_dwordx4 v[4:5], v[0:3], off
	s_endpgm
.LBB275_31:
.LBB275_32:
	s_endpgm
	.section	.rodata,"a",@progbits
	.p2align	6, 0x0
	.amdhsa_kernel _ZL29rocblas_internal_gemmt_kernelIlLi16ELi32ELi8ELc84ELc67ELc85ELb0ELb1E19rocblas_complex_numIdES1_PKS1_PS1_EviT_T9_T10_S5_lS7_S5_lS6_T11_S5_li
		.amdhsa_group_segment_fixed_size 8192
		.amdhsa_private_segment_fixed_size 0
		.amdhsa_kernarg_size 124
		.amdhsa_user_sgpr_count 6
		.amdhsa_user_sgpr_private_segment_buffer 1
		.amdhsa_user_sgpr_dispatch_ptr 0
		.amdhsa_user_sgpr_queue_ptr 0
		.amdhsa_user_sgpr_kernarg_segment_ptr 1
		.amdhsa_user_sgpr_dispatch_id 0
		.amdhsa_user_sgpr_flat_scratch_init 0
		.amdhsa_user_sgpr_private_segment_size 0
		.amdhsa_wavefront_size32 1
		.amdhsa_uses_dynamic_stack 0
		.amdhsa_system_sgpr_private_segment_wavefront_offset 0
		.amdhsa_system_sgpr_workgroup_id_x 1
		.amdhsa_system_sgpr_workgroup_id_y 1
		.amdhsa_system_sgpr_workgroup_id_z 1
		.amdhsa_system_sgpr_workgroup_info 0
		.amdhsa_system_vgpr_workitem_id 1
		.amdhsa_next_free_vgpr 120
		.amdhsa_next_free_sgpr 44
		.amdhsa_reserve_vcc 1
		.amdhsa_reserve_flat_scratch 0
		.amdhsa_float_round_mode_32 0
		.amdhsa_float_round_mode_16_64 0
		.amdhsa_float_denorm_mode_32 3
		.amdhsa_float_denorm_mode_16_64 3
		.amdhsa_dx10_clamp 1
		.amdhsa_ieee_mode 1
		.amdhsa_fp16_overflow 0
		.amdhsa_workgroup_processor_mode 1
		.amdhsa_memory_ordered 1
		.amdhsa_forward_progress 1
		.amdhsa_shared_vgpr_count 0
		.amdhsa_exception_fp_ieee_invalid_op 0
		.amdhsa_exception_fp_denorm_src 0
		.amdhsa_exception_fp_ieee_div_zero 0
		.amdhsa_exception_fp_ieee_overflow 0
		.amdhsa_exception_fp_ieee_underflow 0
		.amdhsa_exception_fp_ieee_inexact 0
		.amdhsa_exception_int_div_zero 0
	.end_amdhsa_kernel
	.section	.text._ZL29rocblas_internal_gemmt_kernelIlLi16ELi32ELi8ELc84ELc67ELc85ELb0ELb1E19rocblas_complex_numIdES1_PKS1_PS1_EviT_T9_T10_S5_lS7_S5_lS6_T11_S5_li,"axG",@progbits,_ZL29rocblas_internal_gemmt_kernelIlLi16ELi32ELi8ELc84ELc67ELc85ELb0ELb1E19rocblas_complex_numIdES1_PKS1_PS1_EviT_T9_T10_S5_lS7_S5_lS6_T11_S5_li,comdat
.Lfunc_end275:
	.size	_ZL29rocblas_internal_gemmt_kernelIlLi16ELi32ELi8ELc84ELc67ELc85ELb0ELb1E19rocblas_complex_numIdES1_PKS1_PS1_EviT_T9_T10_S5_lS7_S5_lS6_T11_S5_li, .Lfunc_end275-_ZL29rocblas_internal_gemmt_kernelIlLi16ELi32ELi8ELc84ELc67ELc85ELb0ELb1E19rocblas_complex_numIdES1_PKS1_PS1_EviT_T9_T10_S5_lS7_S5_lS6_T11_S5_li
                                        ; -- End function
	.set _ZL29rocblas_internal_gemmt_kernelIlLi16ELi32ELi8ELc84ELc67ELc85ELb0ELb1E19rocblas_complex_numIdES1_PKS1_PS1_EviT_T9_T10_S5_lS7_S5_lS6_T11_S5_li.num_vgpr, 120
	.set _ZL29rocblas_internal_gemmt_kernelIlLi16ELi32ELi8ELc84ELc67ELc85ELb0ELb1E19rocblas_complex_numIdES1_PKS1_PS1_EviT_T9_T10_S5_lS7_S5_lS6_T11_S5_li.num_agpr, 0
	.set _ZL29rocblas_internal_gemmt_kernelIlLi16ELi32ELi8ELc84ELc67ELc85ELb0ELb1E19rocblas_complex_numIdES1_PKS1_PS1_EviT_T9_T10_S5_lS7_S5_lS6_T11_S5_li.numbered_sgpr, 44
	.set _ZL29rocblas_internal_gemmt_kernelIlLi16ELi32ELi8ELc84ELc67ELc85ELb0ELb1E19rocblas_complex_numIdES1_PKS1_PS1_EviT_T9_T10_S5_lS7_S5_lS6_T11_S5_li.num_named_barrier, 0
	.set _ZL29rocblas_internal_gemmt_kernelIlLi16ELi32ELi8ELc84ELc67ELc85ELb0ELb1E19rocblas_complex_numIdES1_PKS1_PS1_EviT_T9_T10_S5_lS7_S5_lS6_T11_S5_li.private_seg_size, 0
	.set _ZL29rocblas_internal_gemmt_kernelIlLi16ELi32ELi8ELc84ELc67ELc85ELb0ELb1E19rocblas_complex_numIdES1_PKS1_PS1_EviT_T9_T10_S5_lS7_S5_lS6_T11_S5_li.uses_vcc, 1
	.set _ZL29rocblas_internal_gemmt_kernelIlLi16ELi32ELi8ELc84ELc67ELc85ELb0ELb1E19rocblas_complex_numIdES1_PKS1_PS1_EviT_T9_T10_S5_lS7_S5_lS6_T11_S5_li.uses_flat_scratch, 0
	.set _ZL29rocblas_internal_gemmt_kernelIlLi16ELi32ELi8ELc84ELc67ELc85ELb0ELb1E19rocblas_complex_numIdES1_PKS1_PS1_EviT_T9_T10_S5_lS7_S5_lS6_T11_S5_li.has_dyn_sized_stack, 0
	.set _ZL29rocblas_internal_gemmt_kernelIlLi16ELi32ELi8ELc84ELc67ELc85ELb0ELb1E19rocblas_complex_numIdES1_PKS1_PS1_EviT_T9_T10_S5_lS7_S5_lS6_T11_S5_li.has_recursion, 0
	.set _ZL29rocblas_internal_gemmt_kernelIlLi16ELi32ELi8ELc84ELc67ELc85ELb0ELb1E19rocblas_complex_numIdES1_PKS1_PS1_EviT_T9_T10_S5_lS7_S5_lS6_T11_S5_li.has_indirect_call, 0
	.section	.AMDGPU.csdata,"",@progbits
; Kernel info:
; codeLenInByte = 3612
; TotalNumSgprs: 46
; NumVgprs: 120
; ScratchSize: 0
; MemoryBound: 1
; FloatMode: 240
; IeeeMode: 1
; LDSByteSize: 8192 bytes/workgroup (compile time only)
; SGPRBlocks: 0
; VGPRBlocks: 14
; NumSGPRsForWavesPerEU: 46
; NumVGPRsForWavesPerEU: 120
; Occupancy: 8
; WaveLimiterHint : 0
; COMPUTE_PGM_RSRC2:SCRATCH_EN: 0
; COMPUTE_PGM_RSRC2:USER_SGPR: 6
; COMPUTE_PGM_RSRC2:TRAP_HANDLER: 0
; COMPUTE_PGM_RSRC2:TGID_X_EN: 1
; COMPUTE_PGM_RSRC2:TGID_Y_EN: 1
; COMPUTE_PGM_RSRC2:TGID_Z_EN: 1
; COMPUTE_PGM_RSRC2:TIDIG_COMP_CNT: 1
	.section	.text._ZL29rocblas_internal_gemmt_kernelIlLi16ELi32ELi8ELc67ELc78ELc85ELb1ELb0E19rocblas_complex_numIdES1_PKS1_PS1_EviT_T9_T10_S5_lS7_S5_lS6_T11_S5_li,"axG",@progbits,_ZL29rocblas_internal_gemmt_kernelIlLi16ELi32ELi8ELc67ELc78ELc85ELb1ELb0E19rocblas_complex_numIdES1_PKS1_PS1_EviT_T9_T10_S5_lS7_S5_lS6_T11_S5_li,comdat
	.globl	_ZL29rocblas_internal_gemmt_kernelIlLi16ELi32ELi8ELc67ELc78ELc85ELb1ELb0E19rocblas_complex_numIdES1_PKS1_PS1_EviT_T9_T10_S5_lS7_S5_lS6_T11_S5_li ; -- Begin function _ZL29rocblas_internal_gemmt_kernelIlLi16ELi32ELi8ELc67ELc78ELc85ELb1ELb0E19rocblas_complex_numIdES1_PKS1_PS1_EviT_T9_T10_S5_lS7_S5_lS6_T11_S5_li
	.p2align	8
	.type	_ZL29rocblas_internal_gemmt_kernelIlLi16ELi32ELi8ELc67ELc78ELc85ELb1ELb0E19rocblas_complex_numIdES1_PKS1_PS1_EviT_T9_T10_S5_lS7_S5_lS6_T11_S5_li,@function
_ZL29rocblas_internal_gemmt_kernelIlLi16ELi32ELi8ELc67ELc78ELc85ELb1ELb0E19rocblas_complex_numIdES1_PKS1_PS1_EviT_T9_T10_S5_lS7_S5_lS6_T11_S5_li: ; @_ZL29rocblas_internal_gemmt_kernelIlLi16ELi32ELi8ELc67ELc78ELc85ELb1ELb0E19rocblas_complex_numIdES1_PKS1_PS1_EviT_T9_T10_S5_lS7_S5_lS6_T11_S5_li
; %bb.0:
	s_clause 0x1
	s_load_dwordx8 s[36:43], s[4:5], 0x48
	s_load_dwordx16 s[12:27], s[4:5], 0x8
	s_waitcnt lgkmcnt(0)
	v_cmp_eq_f64_e64 s0, s[38:39], 1.0
	v_cmp_eq_f64_e64 s9, s[40:41], 0
	s_and_b32 s0, s0, s9
	s_andn2_b32 vcc_lo, exec_lo, s0
	s_mov_b32 s0, -1
	s_cbranch_vccnz .LBB276_3
; %bb.1:
	s_cmp_lg_u64 s[12:13], 0
	s_cbranch_scc0 .LBB276_31
; %bb.2:
	v_cmp_neq_f64_e64 s0, s[14:15], 0
	v_cmp_neq_f64_e64 s1, s[16:17], 0
	s_or_b32 s0, s0, s1
.LBB276_3:
	s_and_b32 vcc_lo, exec_lo, s0
	s_cbranch_vccz .LBB276_32
; %bb.4:
	v_cmp_eq_f64_e64 s0, s[14:15], 0
	v_cmp_eq_f64_e64 s1, s[16:17], 0
	s_clause 0x1
	s_load_dwordx4 s[28:31], s[4:5], 0x68
	s_load_dword s4, s[4:5], 0x0
	v_cmp_lt_i64_e64 s2, s[12:13], 1
	v_mov_b32_e32 v20, 0
	v_mov_b32_e32 v22, 0
	;; [unrolled: 1-line block ×16, first 2 shown]
	s_lshl_b32 s5, s6, 5
	s_lshl_b32 s6, s7, 5
	s_and_b32 s0, s0, s1
	s_or_b32 s0, s0, s2
	s_and_b32 vcc_lo, exec_lo, s0
	s_cbranch_vccnz .LBB276_15
; %bb.5:
	v_lshl_add_u32 v6, v1, 4, v0
	s_mul_i32 s1, s37, s8
	s_mul_hi_u32 s2, s36, s8
	s_mul_i32 s0, s36, s8
	s_add_i32 s1, s2, s1
	v_lshrrev_b32_e32 v7, 3, v6
	v_and_b32_e32 v8, 31, v6
	s_lshl_b64 s[0:1], s[0:1], 4
	s_mul_hi_u32 s3, s22, s8
	s_add_u32 s2, s24, s0
	v_add_nc_u32_e32 v9, s6, v7
	v_or_b32_e32 v10, s5, v8
	s_mul_i32 s0, s23, s8
	s_addc_u32 s7, s25, s1
	s_add_i32 s1, s3, s0
	v_ashrrev_i32_e32 v4, 31, v9
	s_mul_i32 s0, s22, s8
	v_mul_lo_u32 v11, s21, v10
	v_mad_u64_u32 v[2:3], null, s20, v10, 0
	s_lshl_b64 s[0:1], s[0:1], 4
	v_mul_lo_u32 v12, s26, v4
	v_mul_lo_u32 v13, s27, v9
	v_mad_u64_u32 v[4:5], null, s26, v9, 0
	s_add_u32 s3, s18, s0
	s_addc_u32 s1, s19, s1
	s_ashr_i32 s0, s5, 31
	v_and_b32_e32 v24, 7, v0
	s_mul_i32 s0, s20, s0
	v_lshrrev_b32_e32 v25, 5, v6
	v_add3_u32 v3, v3, s0, v11
	v_add3_u32 v5, v5, v12, v13
	v_lshlrev_b32_e32 v6, 4, v8
	v_lshlrev_b32_e32 v8, 4, v24
	s_waitcnt lgkmcnt(0)
	v_cmp_gt_i32_e64 s0, s4, v10
	v_lshlrev_b64 v[2:3], 4, v[2:3]
	v_lshlrev_b64 v[4:5], 4, v[4:5]
	v_lshl_or_b32 v26, v25, 9, v6
	v_lshl_or_b32 v6, v7, 7, v8
	v_mov_b32_e32 v10, 0
	v_mov_b32_e32 v12, 0
	v_add_co_u32 v27, vcc_lo, s3, v2
	v_add_co_ci_u32_e64 v28, null, s1, v3, vcc_lo
	v_cmp_gt_i32_e32 vcc_lo, s4, v9
	v_add_co_u32 v30, s1, s2, v4
	v_mov_b32_e32 v8, 0
	v_mov_b32_e32 v14, 0
	;; [unrolled: 1-line block ×6, first 2 shown]
	v_add_nc_u32_e32 v29, 0x1000, v6
	v_add_co_ci_u32_e64 v31, null, s7, v5, s1
	v_lshlrev_b32_e32 v32, 4, v0
	v_lshl_add_u32 v33, v1, 7, 0x1000
	v_mov_b32_e32 v9, 0
	v_mov_b32_e32 v11, 0
	;; [unrolled: 1-line block ×9, first 2 shown]
	s_mov_b64 s[2:3], 0
	s_xor_b32 s1, vcc_lo, -1
	s_branch .LBB276_7
.LBB276_6:                              ;   in Loop: Header=BB276_7 Depth=1
	s_or_b32 exec_lo, exec_lo, s7
	s_waitcnt lgkmcnt(0)
	s_barrier
	buffer_gl0_inv
	ds_read_b128 v[4:7], v33
	ds_read_b128 v[34:37], v32
	ds_read_b128 v[38:41], v32 offset:256
	ds_read_b128 v[42:45], v33 offset:2048
	;; [unrolled: 1-line block ×12, first 2 shown]
	s_add_u32 s2, s2, 8
	s_addc_u32 s3, s3, 0
	v_cmp_gt_i64_e64 s7, s[12:13], s[2:3]
	s_and_b32 vcc_lo, exec_lo, s7
	s_waitcnt lgkmcnt(12)
	v_mul_f64 v[86:87], v[6:7], v[36:37]
	v_mul_f64 v[88:89], v[4:5], v[36:37]
	s_waitcnt lgkmcnt(11)
	v_mul_f64 v[90:91], v[6:7], v[40:41]
	v_mul_f64 v[92:93], v[4:5], v[40:41]
	;; [unrolled: 3-line block ×3, first 2 shown]
	v_mul_f64 v[96:97], v[44:45], v[40:41]
	v_mul_f64 v[40:41], v[42:43], v[40:41]
	s_waitcnt lgkmcnt(8)
	v_mul_f64 v[98:99], v[48:49], v[52:53]
	v_mul_f64 v[100:101], v[46:47], v[52:53]
	s_waitcnt lgkmcnt(7)
	;; [unrolled: 3-line block ×3, first 2 shown]
	v_mul_f64 v[106:107], v[60:61], v[52:53]
	v_mul_f64 v[52:53], v[58:59], v[52:53]
	v_mul_f64 v[108:109], v[60:61], v[56:57]
	v_mul_f64 v[56:57], v[58:59], v[56:57]
	s_waitcnt lgkmcnt(3)
	v_mul_f64 v[112:113], v[72:73], v[64:65]
	v_mul_f64 v[116:117], v[70:71], v[64:65]
	;; [unrolled: 1-line block ×4, first 2 shown]
	s_waitcnt lgkmcnt(1)
	v_mul_f64 v[122:123], v[80:81], v[64:65]
	v_mul_f64 v[64:65], v[78:79], v[64:65]
	v_fma_f64 v[86:87], v[4:5], v[34:35], -v[86:87]
	v_fma_f64 v[88:89], v[6:7], v[34:35], v[88:89]
	v_fma_f64 v[90:91], v[4:5], v[38:39], -v[90:91]
	v_fma_f64 v[92:93], v[6:7], v[38:39], v[92:93]
	;; [unrolled: 2-line block ×8, first 2 shown]
	ds_read_b128 v[4:7], v32 offset:1536
	ds_read_b128 v[34:37], v32 offset:1792
	;; [unrolled: 1-line block ×6, first 2 shown]
	v_add_f64 v[54:55], v[20:21], v[86:87]
	v_add_f64 v[22:23], v[88:89], v[22:23]
	;; [unrolled: 1-line block ×3, first 2 shown]
	v_mul_f64 v[86:87], v[80:81], v[68:69]
	v_mul_f64 v[68:69], v[78:79], v[68:69]
	v_add_f64 v[88:89], v[92:93], v[18:19]
	v_add_f64 v[92:93], v[14:15], v[94:95]
	v_add_f64 v[12:13], v[110:111], v[12:13]
	v_add_f64 v[96:97], v[10:11], v[96:97]
	v_add_f64 v[114:115], v[114:115], v[8:9]
	v_fma_f64 v[90:91], v[70:71], v[62:63], -v[112:113]
	v_fma_f64 v[94:95], v[72:73], v[62:63], v[116:117]
	v_fma_f64 v[70:71], v[70:71], v[66:67], -v[118:119]
	v_fma_f64 v[72:73], v[72:73], v[66:67], v[120:121]
	s_waitcnt lgkmcnt(5)
	v_mul_f64 v[108:109], v[76:77], v[6:7]
	v_mul_f64 v[110:111], v[74:75], v[6:7]
	v_fma_f64 v[112:113], v[78:79], v[62:63], -v[122:123]
	v_fma_f64 v[62:63], v[80:81], v[62:63], v[64:65]
	s_waitcnt lgkmcnt(4)
	v_mul_f64 v[64:65], v[76:77], v[36:37]
	v_mul_f64 v[116:117], v[74:75], v[36:37]
	ds_read_b128 v[14:17], v32 offset:2560
	ds_read_b128 v[18:21], v32 offset:2816
	v_add_f64 v[98:99], v[54:55], v[98:99]
	v_add_f64 v[22:23], v[100:101], v[22:23]
	;; [unrolled: 1-line block ×3, first 2 shown]
	v_mul_f64 v[102:103], v[84:85], v[6:7]
	v_mul_f64 v[6:7], v[82:83], v[6:7]
	v_add_f64 v[88:89], v[104:105], v[88:89]
	v_add_f64 v[92:93], v[92:93], v[106:107]
	v_fma_f64 v[78:79], v[78:79], v[66:67], -v[86:87]
	v_fma_f64 v[66:67], v[80:81], v[66:67], v[68:69]
	v_mul_f64 v[68:69], v[84:85], v[36:37]
	v_mul_f64 v[36:37], v[82:83], v[36:37]
	v_add_f64 v[12:13], v[124:125], v[12:13]
	v_add_f64 v[58:59], v[96:97], v[58:59]
	;; [unrolled: 1-line block ×3, first 2 shown]
	ds_read_b128 v[8:11], v33 offset:2112
	ds_read_b128 v[54:57], v33 offset:2128
	s_waitcnt lgkmcnt(5)
	v_mul_f64 v[80:81], v[48:49], v[40:41]
	v_mul_f64 v[86:87], v[46:47], v[40:41]
	;; [unrolled: 1-line block ×4, first 2 shown]
	v_fma_f64 v[106:107], v[74:75], v[4:5], -v[108:109]
	v_fma_f64 v[108:109], v[76:77], v[4:5], v[110:111]
	v_fma_f64 v[64:65], v[74:75], v[34:35], -v[64:65]
	v_fma_f64 v[74:75], v[76:77], v[34:35], v[116:117]
	v_add_f64 v[90:91], v[98:99], v[90:91]
	v_add_f64 v[22:23], v[94:95], v[22:23]
	;; [unrolled: 1-line block ×3, first 2 shown]
	v_fma_f64 v[94:95], v[82:83], v[4:5], -v[102:103]
	v_add_f64 v[72:73], v[72:73], v[88:89]
	v_add_f64 v[88:89], v[92:93], v[112:113]
	v_fma_f64 v[4:5], v[84:85], v[4:5], v[6:7]
	s_waitcnt lgkmcnt(3)
	v_mul_f64 v[98:99], v[52:53], v[16:17]
	v_fma_f64 v[6:7], v[82:83], v[34:35], -v[68:69]
	v_fma_f64 v[68:69], v[84:85], v[34:35], v[36:37]
	s_waitcnt lgkmcnt(1)
	v_mul_f64 v[76:77], v[10:11], v[40:41]
	v_mul_f64 v[40:41], v[8:9], v[40:41]
	;; [unrolled: 1-line block ×4, first 2 shown]
	v_add_f64 v[12:13], v[62:63], v[12:13]
	v_add_f64 v[58:59], v[58:59], v[78:79]
	;; [unrolled: 1-line block ×3, first 2 shown]
	v_mul_f64 v[100:101], v[50:51], v[16:17]
	v_mul_f64 v[62:63], v[52:53], v[20:21]
	v_fma_f64 v[78:79], v[46:47], v[38:39], -v[80:81]
	v_fma_f64 v[80:81], v[48:49], v[38:39], v[86:87]
	v_fma_f64 v[46:47], v[46:47], v[42:43], -v[104:105]
	v_fma_f64 v[48:49], v[48:49], v[42:43], v[96:97]
	v_add_f64 v[66:67], v[90:91], v[106:107]
	v_add_f64 v[82:83], v[108:109], v[22:23]
	;; [unrolled: 1-line block ×5, first 2 shown]
	s_waitcnt lgkmcnt(0)
	v_mul_f64 v[84:85], v[56:57], v[16:17]
	v_mul_f64 v[16:17], v[54:55], v[16:17]
	;; [unrolled: 1-line block ×4, first 2 shown]
	v_fma_f64 v[70:71], v[8:9], v[38:39], -v[76:77]
	v_mul_f64 v[76:77], v[50:51], v[20:21]
	v_fma_f64 v[90:91], v[10:11], v[38:39], v[40:41]
	v_fma_f64 v[8:9], v[8:9], v[42:43], -v[92:93]
	v_add_f64 v[12:13], v[4:5], v[12:13]
	v_add_f64 v[58:59], v[58:59], v[6:7]
	v_fma_f64 v[42:43], v[10:11], v[42:43], v[44:45]
	v_add_f64 v[44:45], v[68:69], v[60:61]
	ds_read_b128 v[4:7], v33 offset:96
	ds_read_b128 v[20:23], v32 offset:3072
	;; [unrolled: 1-line block ×4, first 2 shown]
	v_add_f64 v[60:61], v[66:67], v[78:79]
	v_add_f64 v[66:67], v[80:81], v[82:83]
	;; [unrolled: 1-line block ×3, first 2 shown]
	v_fma_f64 v[64:65], v[50:51], v[14:15], -v[98:99]
	v_add_f64 v[48:49], v[48:49], v[72:73]
	v_fma_f64 v[50:51], v[50:51], v[18:19], -v[62:63]
	v_fma_f64 v[62:63], v[54:55], v[14:15], -v[84:85]
	v_fma_f64 v[72:73], v[56:57], v[14:15], v[16:17]
	v_fma_f64 v[54:55], v[54:55], v[18:19], -v[86:87]
	v_add_f64 v[68:69], v[74:75], v[70:71]
	v_fma_f64 v[70:71], v[52:53], v[14:15], v[100:101]
	v_fma_f64 v[52:53], v[52:53], v[18:19], v[76:77]
	v_fma_f64 v[56:57], v[56:57], v[18:19], v[88:89]
	v_add_f64 v[74:75], v[90:91], v[12:13]
	v_add_f64 v[58:59], v[58:59], v[8:9]
	s_waitcnt lgkmcnt(2)
	v_mul_f64 v[76:77], v[6:7], v[22:23]
	v_mul_f64 v[78:79], v[4:5], v[22:23]
	s_waitcnt lgkmcnt(1)
	v_mul_f64 v[80:81], v[6:7], v[36:37]
	v_mul_f64 v[82:83], v[4:5], v[36:37]
	;; [unrolled: 3-line block ×3, first 2 shown]
	v_mul_f64 v[86:87], v[40:41], v[36:37]
	v_add_f64 v[88:89], v[42:43], v[44:45]
	v_mul_f64 v[36:37], v[38:39], v[36:37]
	ds_read_b128 v[8:11], v33 offset:112
	ds_read_b128 v[12:15], v33 offset:2160
	;; [unrolled: 1-line block ×4, first 2 shown]
	v_add_f64 v[60:61], v[60:61], v[64:65]
	v_add_f64 v[46:47], v[46:47], v[50:51]
	s_waitcnt lgkmcnt(0)
	s_barrier
	v_add_f64 v[50:51], v[68:69], v[62:63]
	v_add_f64 v[64:65], v[70:71], v[66:67]
	;; [unrolled: 1-line block ×3, first 2 shown]
	buffer_gl0_inv
	v_add_f64 v[52:53], v[72:73], v[74:75]
	v_add_f64 v[54:55], v[58:59], v[54:55]
	v_fma_f64 v[58:59], v[4:5], v[20:21], -v[76:77]
	v_fma_f64 v[62:63], v[6:7], v[20:21], v[78:79]
	v_fma_f64 v[4:5], v[4:5], v[34:35], -v[80:81]
	v_fma_f64 v[6:7], v[6:7], v[34:35], v[82:83]
	;; [unrolled: 2-line block ×3, first 2 shown]
	v_fma_f64 v[22:23], v[38:39], v[34:35], -v[86:87]
	v_add_f64 v[38:39], v[56:57], v[88:89]
	v_fma_f64 v[34:35], v[40:41], v[34:35], v[36:37]
	v_mul_f64 v[36:37], v[10:11], v[18:19]
	v_mul_f64 v[40:41], v[8:9], v[18:19]
	;; [unrolled: 1-line block ×8, first 2 shown]
	v_add_f64 v[58:59], v[60:61], v[58:59]
	v_add_f64 v[60:61], v[62:63], v[64:65]
	;; [unrolled: 1-line block ×8, first 2 shown]
	v_fma_f64 v[20:21], v[8:9], v[16:17], -v[36:37]
	v_fma_f64 v[22:23], v[10:11], v[16:17], v[40:41]
	v_fma_f64 v[8:9], v[8:9], v[42:43], -v[56:57]
	v_fma_f64 v[10:11], v[10:11], v[42:43], v[68:69]
	;; [unrolled: 2-line block ×4, first 2 shown]
	v_add_f64 v[20:21], v[58:59], v[20:21]
	v_add_f64 v[22:23], v[22:23], v[60:61]
	;; [unrolled: 1-line block ×8, first 2 shown]
	s_cbranch_vccz .LBB276_15
.LBB276_7:                              ; =>This Inner Loop Header: Depth=1
	v_mov_b32_e32 v4, 0
	v_mov_b32_e32 v6, 0
	;; [unrolled: 1-line block ×4, first 2 shown]
	s_and_saveexec_b32 s7, s0
	s_cbranch_execz .LBB276_11
; %bb.8:                                ;   in Loop: Header=BB276_7 Depth=1
	v_mov_b32_e32 v6, 0
	v_mov_b32_e32 v4, 0
	v_add_nc_u32_e32 v2, s2, v25
	v_mov_b32_e32 v7, 0
	v_mov_b32_e32 v5, 0
	s_mov_b32 s10, exec_lo
	v_cmpx_gt_u64_e64 s[12:13], v[2:3]
	s_cbranch_execz .LBB276_10
; %bb.9:                                ;   in Loop: Header=BB276_7 Depth=1
	v_lshlrev_b64 v[4:5], 4, v[2:3]
	v_add_co_u32 v4, vcc_lo, v27, v4
	v_add_co_ci_u32_e64 v5, null, v28, v5, vcc_lo
	global_load_dwordx4 v[4:7], v[4:5], off
	s_waitcnt vmcnt(0)
	v_xor_b32_e32 v7, 0x80000000, v7
.LBB276_10:                             ;   in Loop: Header=BB276_7 Depth=1
	s_or_b32 exec_lo, exec_lo, s10
.LBB276_11:                             ;   in Loop: Header=BB276_7 Depth=1
	s_or_b32 exec_lo, exec_lo, s7
	v_add_nc_u32_e32 v2, s2, v24
	ds_write_b128 v26, v[4:7]
	v_cmp_le_u64_e32 vcc_lo, s[12:13], v[2:3]
	s_or_b32 s7, vcc_lo, s1
	s_and_saveexec_b32 s10, s7
	s_xor_b32 s7, exec_lo, s10
	s_cbranch_execz .LBB276_13
; %bb.12:                               ;   in Loop: Header=BB276_7 Depth=1
	v_mov_b32_e32 v2, v3
	v_mov_b32_e32 v4, v3
	;; [unrolled: 1-line block ×3, first 2 shown]
	ds_write_b128 v29, v[2:5]
.LBB276_13:                             ;   in Loop: Header=BB276_7 Depth=1
	s_andn2_saveexec_b32 s7, s7
	s_cbranch_execz .LBB276_6
; %bb.14:                               ;   in Loop: Header=BB276_7 Depth=1
	v_lshlrev_b64 v[4:5], 4, v[2:3]
	v_add_co_u32 v4, vcc_lo, v30, v4
	v_add_co_ci_u32_e64 v5, null, v31, v5, vcc_lo
	global_load_dwordx4 v[4:7], v[4:5], off
	s_waitcnt vmcnt(0)
	ds_write2_b64 v29, v[4:5], v[6:7] offset1:1
	s_branch .LBB276_6
.LBB276_15:
	v_add_nc_u32_e32 v25, s6, v1
	v_cmp_neq_f64_e64 s6, s[38:39], 0
	s_waitcnt lgkmcnt(0)
	s_mul_i32 s1, s31, s8
	s_mul_hi_u32 s2, s30, s8
	s_mul_i32 s0, s30, s8
	v_ashrrev_i32_e32 v3, 31, v25
	v_mul_lo_u32 v5, s29, v25
	v_mad_u64_u32 v[1:2], null, s28, v25, 0
	s_add_i32 s1, s2, s1
	v_mul_lo_u32 v3, s28, v3
	v_add_nc_u32_e32 v4, s5, v0
	s_lshl_b64 s[2:3], s[0:1], 4
	v_cmp_gt_i32_e64 s0, s4, v25
	s_add_u32 s2, s42, s2
	s_addc_u32 s3, s43, s3
	s_xor_b32 s5, s9, -1
	v_cmp_le_i32_e32 vcc_lo, v4, v25
	v_add3_u32 v2, v2, v3, v5
	v_ashrrev_i32_e32 v5, 31, v4
	s_or_b32 s5, s6, s5
	v_lshlrev_b64 v[0:1], 4, v[1:2]
	v_cndmask_b32_e64 v24, 0, 1, s5
	s_and_b32 s6, s0, vcc_lo
	v_add_co_u32 v26, s1, s2, v0
	v_add_co_ci_u32_e64 v27, null, s3, v1, s1
	s_and_saveexec_b32 s1, s6
	s_cbranch_execz .LBB276_19
; %bb.16:
	v_mul_f64 v[0:1], s[16:17], v[22:23]
	v_mul_f64 v[2:3], s[14:15], v[22:23]
	v_lshlrev_b64 v[6:7], 4, v[4:5]
	v_add_co_u32 v6, vcc_lo, v26, v6
	v_add_co_ci_u32_e64 v7, null, v27, v7, vcc_lo
	s_andn2_b32 vcc_lo, exec_lo, s5
	v_fma_f64 v[0:1], s[14:15], v[20:21], -v[0:1]
	v_fma_f64 v[2:3], s[16:17], v[20:21], v[2:3]
	s_cbranch_vccnz .LBB276_18
; %bb.17:
	global_load_dwordx4 v[20:23], v[6:7], off
	s_waitcnt vmcnt(0)
	v_mul_f64 v[28:29], s[40:41], v[22:23]
	v_mul_f64 v[22:23], s[38:39], v[22:23]
	v_fma_f64 v[28:29], s[38:39], v[20:21], -v[28:29]
	v_fma_f64 v[20:21], s[40:41], v[20:21], v[22:23]
	v_add_f64 v[0:1], v[0:1], v[28:29]
	v_add_f64 v[2:3], v[2:3], v[20:21]
.LBB276_18:
	global_store_dwordx4 v[6:7], v[0:3], off
.LBB276_19:
	s_or_b32 exec_lo, exec_lo, s1
	v_add_nc_u32_e32 v6, 16, v4
	v_cmp_le_i32_e32 vcc_lo, v6, v25
	v_ashrrev_i32_e32 v7, 31, v6
	s_and_b32 s0, s0, vcc_lo
	s_and_saveexec_b32 s1, s0
	s_cbranch_execz .LBB276_23
; %bb.20:
	v_mul_f64 v[0:1], s[16:17], v[18:19]
	v_mul_f64 v[2:3], s[14:15], v[18:19]
	v_cmp_ne_u32_e32 vcc_lo, 1, v24
	s_and_b32 vcc_lo, exec_lo, vcc_lo
	v_fma_f64 v[0:1], s[14:15], v[16:17], -v[0:1]
	v_fma_f64 v[2:3], s[16:17], v[16:17], v[2:3]
	v_lshlrev_b64 v[16:17], 4, v[6:7]
	v_add_co_u32 v16, s0, v26, v16
	v_add_co_ci_u32_e64 v17, null, v27, v17, s0
	s_cbranch_vccnz .LBB276_22
; %bb.21:
	global_load_dwordx4 v[18:21], v[16:17], off
	s_waitcnt vmcnt(0)
	v_mul_f64 v[22:23], s[40:41], v[20:21]
	v_mul_f64 v[20:21], s[38:39], v[20:21]
	v_fma_f64 v[22:23], s[38:39], v[18:19], -v[22:23]
	v_fma_f64 v[18:19], s[40:41], v[18:19], v[20:21]
	v_add_f64 v[0:1], v[0:1], v[22:23]
	v_add_f64 v[2:3], v[2:3], v[18:19]
.LBB276_22:
	global_store_dwordx4 v[16:17], v[0:3], off
.LBB276_23:
	s_or_b32 exec_lo, exec_lo, s1
	v_add_nc_u32_e32 v18, 16, v25
	v_ashrrev_i32_e32 v2, 31, v18
	v_mul_lo_u32 v3, s29, v18
	v_mad_u64_u32 v[0:1], null, s28, v18, 0
	v_cmp_gt_i32_e64 s0, s4, v18
	v_mul_lo_u32 v2, s28, v2
	v_cmp_le_i32_e32 vcc_lo, v4, v18
	v_add3_u32 v1, v1, v2, v3
	v_lshlrev_b64 v[0:1], 4, v[0:1]
	v_add_co_u32 v16, s1, s2, v0
	v_add_co_ci_u32_e64 v17, null, s3, v1, s1
	s_and_b32 s1, s0, vcc_lo
	s_and_saveexec_b32 s2, s1
	s_cbranch_execz .LBB276_27
; %bb.24:
	v_mul_f64 v[0:1], s[16:17], v[12:13]
	v_mul_f64 v[2:3], s[14:15], v[12:13]
	v_lshlrev_b64 v[4:5], 4, v[4:5]
	v_cmp_ne_u32_e32 vcc_lo, 1, v24
	s_and_b32 vcc_lo, exec_lo, vcc_lo
	v_add_co_u32 v4, s1, v16, v4
	v_add_co_ci_u32_e64 v5, null, v17, v5, s1
	v_fma_f64 v[0:1], s[14:15], v[14:15], -v[0:1]
	v_fma_f64 v[2:3], s[16:17], v[14:15], v[2:3]
	s_cbranch_vccnz .LBB276_26
; %bb.25:
	global_load_dwordx4 v[12:15], v[4:5], off
	s_waitcnt vmcnt(0)
	v_mul_f64 v[19:20], s[40:41], v[14:15]
	v_mul_f64 v[14:15], s[38:39], v[14:15]
	v_fma_f64 v[19:20], s[38:39], v[12:13], -v[19:20]
	v_fma_f64 v[12:13], s[40:41], v[12:13], v[14:15]
	v_add_f64 v[0:1], v[0:1], v[19:20]
	v_add_f64 v[2:3], v[2:3], v[12:13]
.LBB276_26:
	global_store_dwordx4 v[4:5], v[0:3], off
.LBB276_27:
	s_or_b32 exec_lo, exec_lo, s2
	v_cmp_le_i32_e32 vcc_lo, v6, v18
	s_and_b32 s0, s0, vcc_lo
	s_and_saveexec_b32 s1, s0
	s_cbranch_execz .LBB276_32
; %bb.28:
	v_mul_f64 v[0:1], s[16:17], v[8:9]
	v_mul_f64 v[2:3], s[14:15], v[8:9]
	v_lshlrev_b64 v[4:5], 4, v[6:7]
	v_cmp_ne_u32_e32 vcc_lo, 1, v24
	s_and_b32 vcc_lo, exec_lo, vcc_lo
	v_add_co_u32 v4, s0, v16, v4
	v_add_co_ci_u32_e64 v5, null, v17, v5, s0
	v_fma_f64 v[0:1], s[14:15], v[10:11], -v[0:1]
	v_fma_f64 v[2:3], s[16:17], v[10:11], v[2:3]
	s_cbranch_vccnz .LBB276_30
; %bb.29:
	global_load_dwordx4 v[6:9], v[4:5], off
	s_waitcnt vmcnt(0)
	v_mul_f64 v[10:11], s[40:41], v[8:9]
	v_mul_f64 v[8:9], s[38:39], v[8:9]
	v_fma_f64 v[10:11], s[38:39], v[6:7], -v[10:11]
	v_fma_f64 v[6:7], s[40:41], v[6:7], v[8:9]
	v_add_f64 v[0:1], v[0:1], v[10:11]
	v_add_f64 v[2:3], v[2:3], v[6:7]
.LBB276_30:
	global_store_dwordx4 v[4:5], v[0:3], off
	s_endpgm
.LBB276_31:
.LBB276_32:
	s_endpgm
	.section	.rodata,"a",@progbits
	.p2align	6, 0x0
	.amdhsa_kernel _ZL29rocblas_internal_gemmt_kernelIlLi16ELi32ELi8ELc67ELc78ELc85ELb1ELb0E19rocblas_complex_numIdES1_PKS1_PS1_EviT_T9_T10_S5_lS7_S5_lS6_T11_S5_li
		.amdhsa_group_segment_fixed_size 8192
		.amdhsa_private_segment_fixed_size 0
		.amdhsa_kernarg_size 124
		.amdhsa_user_sgpr_count 6
		.amdhsa_user_sgpr_private_segment_buffer 1
		.amdhsa_user_sgpr_dispatch_ptr 0
		.amdhsa_user_sgpr_queue_ptr 0
		.amdhsa_user_sgpr_kernarg_segment_ptr 1
		.amdhsa_user_sgpr_dispatch_id 0
		.amdhsa_user_sgpr_flat_scratch_init 0
		.amdhsa_user_sgpr_private_segment_size 0
		.amdhsa_wavefront_size32 1
		.amdhsa_uses_dynamic_stack 0
		.amdhsa_system_sgpr_private_segment_wavefront_offset 0
		.amdhsa_system_sgpr_workgroup_id_x 1
		.amdhsa_system_sgpr_workgroup_id_y 1
		.amdhsa_system_sgpr_workgroup_id_z 1
		.amdhsa_system_sgpr_workgroup_info 0
		.amdhsa_system_vgpr_workitem_id 1
		.amdhsa_next_free_vgpr 126
		.amdhsa_next_free_sgpr 44
		.amdhsa_reserve_vcc 1
		.amdhsa_reserve_flat_scratch 0
		.amdhsa_float_round_mode_32 0
		.amdhsa_float_round_mode_16_64 0
		.amdhsa_float_denorm_mode_32 3
		.amdhsa_float_denorm_mode_16_64 3
		.amdhsa_dx10_clamp 1
		.amdhsa_ieee_mode 1
		.amdhsa_fp16_overflow 0
		.amdhsa_workgroup_processor_mode 1
		.amdhsa_memory_ordered 1
		.amdhsa_forward_progress 1
		.amdhsa_shared_vgpr_count 0
		.amdhsa_exception_fp_ieee_invalid_op 0
		.amdhsa_exception_fp_denorm_src 0
		.amdhsa_exception_fp_ieee_div_zero 0
		.amdhsa_exception_fp_ieee_overflow 0
		.amdhsa_exception_fp_ieee_underflow 0
		.amdhsa_exception_fp_ieee_inexact 0
		.amdhsa_exception_int_div_zero 0
	.end_amdhsa_kernel
	.section	.text._ZL29rocblas_internal_gemmt_kernelIlLi16ELi32ELi8ELc67ELc78ELc85ELb1ELb0E19rocblas_complex_numIdES1_PKS1_PS1_EviT_T9_T10_S5_lS7_S5_lS6_T11_S5_li,"axG",@progbits,_ZL29rocblas_internal_gemmt_kernelIlLi16ELi32ELi8ELc67ELc78ELc85ELb1ELb0E19rocblas_complex_numIdES1_PKS1_PS1_EviT_T9_T10_S5_lS7_S5_lS6_T11_S5_li,comdat
.Lfunc_end276:
	.size	_ZL29rocblas_internal_gemmt_kernelIlLi16ELi32ELi8ELc67ELc78ELc85ELb1ELb0E19rocblas_complex_numIdES1_PKS1_PS1_EviT_T9_T10_S5_lS7_S5_lS6_T11_S5_li, .Lfunc_end276-_ZL29rocblas_internal_gemmt_kernelIlLi16ELi32ELi8ELc67ELc78ELc85ELb1ELb0E19rocblas_complex_numIdES1_PKS1_PS1_EviT_T9_T10_S5_lS7_S5_lS6_T11_S5_li
                                        ; -- End function
	.set _ZL29rocblas_internal_gemmt_kernelIlLi16ELi32ELi8ELc67ELc78ELc85ELb1ELb0E19rocblas_complex_numIdES1_PKS1_PS1_EviT_T9_T10_S5_lS7_S5_lS6_T11_S5_li.num_vgpr, 126
	.set _ZL29rocblas_internal_gemmt_kernelIlLi16ELi32ELi8ELc67ELc78ELc85ELb1ELb0E19rocblas_complex_numIdES1_PKS1_PS1_EviT_T9_T10_S5_lS7_S5_lS6_T11_S5_li.num_agpr, 0
	.set _ZL29rocblas_internal_gemmt_kernelIlLi16ELi32ELi8ELc67ELc78ELc85ELb1ELb0E19rocblas_complex_numIdES1_PKS1_PS1_EviT_T9_T10_S5_lS7_S5_lS6_T11_S5_li.numbered_sgpr, 44
	.set _ZL29rocblas_internal_gemmt_kernelIlLi16ELi32ELi8ELc67ELc78ELc85ELb1ELb0E19rocblas_complex_numIdES1_PKS1_PS1_EviT_T9_T10_S5_lS7_S5_lS6_T11_S5_li.num_named_barrier, 0
	.set _ZL29rocblas_internal_gemmt_kernelIlLi16ELi32ELi8ELc67ELc78ELc85ELb1ELb0E19rocblas_complex_numIdES1_PKS1_PS1_EviT_T9_T10_S5_lS7_S5_lS6_T11_S5_li.private_seg_size, 0
	.set _ZL29rocblas_internal_gemmt_kernelIlLi16ELi32ELi8ELc67ELc78ELc85ELb1ELb0E19rocblas_complex_numIdES1_PKS1_PS1_EviT_T9_T10_S5_lS7_S5_lS6_T11_S5_li.uses_vcc, 1
	.set _ZL29rocblas_internal_gemmt_kernelIlLi16ELi32ELi8ELc67ELc78ELc85ELb1ELb0E19rocblas_complex_numIdES1_PKS1_PS1_EviT_T9_T10_S5_lS7_S5_lS6_T11_S5_li.uses_flat_scratch, 0
	.set _ZL29rocblas_internal_gemmt_kernelIlLi16ELi32ELi8ELc67ELc78ELc85ELb1ELb0E19rocblas_complex_numIdES1_PKS1_PS1_EviT_T9_T10_S5_lS7_S5_lS6_T11_S5_li.has_dyn_sized_stack, 0
	.set _ZL29rocblas_internal_gemmt_kernelIlLi16ELi32ELi8ELc67ELc78ELc85ELb1ELb0E19rocblas_complex_numIdES1_PKS1_PS1_EviT_T9_T10_S5_lS7_S5_lS6_T11_S5_li.has_recursion, 0
	.set _ZL29rocblas_internal_gemmt_kernelIlLi16ELi32ELi8ELc67ELc78ELc85ELb1ELb0E19rocblas_complex_numIdES1_PKS1_PS1_EviT_T9_T10_S5_lS7_S5_lS6_T11_S5_li.has_indirect_call, 0
	.section	.AMDGPU.csdata,"",@progbits
; Kernel info:
; codeLenInByte = 3552
; TotalNumSgprs: 46
; NumVgprs: 126
; ScratchSize: 0
; MemoryBound: 1
; FloatMode: 240
; IeeeMode: 1
; LDSByteSize: 8192 bytes/workgroup (compile time only)
; SGPRBlocks: 0
; VGPRBlocks: 15
; NumSGPRsForWavesPerEU: 46
; NumVGPRsForWavesPerEU: 126
; Occupancy: 8
; WaveLimiterHint : 0
; COMPUTE_PGM_RSRC2:SCRATCH_EN: 0
; COMPUTE_PGM_RSRC2:USER_SGPR: 6
; COMPUTE_PGM_RSRC2:TRAP_HANDLER: 0
; COMPUTE_PGM_RSRC2:TGID_X_EN: 1
; COMPUTE_PGM_RSRC2:TGID_Y_EN: 1
; COMPUTE_PGM_RSRC2:TGID_Z_EN: 1
; COMPUTE_PGM_RSRC2:TIDIG_COMP_CNT: 1
	.section	.text._ZL29rocblas_internal_gemmt_kernelIlLi16ELi32ELi8ELc67ELc84ELc85ELb1ELb0E19rocblas_complex_numIdES1_PKS1_PS1_EviT_T9_T10_S5_lS7_S5_lS6_T11_S5_li,"axG",@progbits,_ZL29rocblas_internal_gemmt_kernelIlLi16ELi32ELi8ELc67ELc84ELc85ELb1ELb0E19rocblas_complex_numIdES1_PKS1_PS1_EviT_T9_T10_S5_lS7_S5_lS6_T11_S5_li,comdat
	.globl	_ZL29rocblas_internal_gemmt_kernelIlLi16ELi32ELi8ELc67ELc84ELc85ELb1ELb0E19rocblas_complex_numIdES1_PKS1_PS1_EviT_T9_T10_S5_lS7_S5_lS6_T11_S5_li ; -- Begin function _ZL29rocblas_internal_gemmt_kernelIlLi16ELi32ELi8ELc67ELc84ELc85ELb1ELb0E19rocblas_complex_numIdES1_PKS1_PS1_EviT_T9_T10_S5_lS7_S5_lS6_T11_S5_li
	.p2align	8
	.type	_ZL29rocblas_internal_gemmt_kernelIlLi16ELi32ELi8ELc67ELc84ELc85ELb1ELb0E19rocblas_complex_numIdES1_PKS1_PS1_EviT_T9_T10_S5_lS7_S5_lS6_T11_S5_li,@function
_ZL29rocblas_internal_gemmt_kernelIlLi16ELi32ELi8ELc67ELc84ELc85ELb1ELb0E19rocblas_complex_numIdES1_PKS1_PS1_EviT_T9_T10_S5_lS7_S5_lS6_T11_S5_li: ; @_ZL29rocblas_internal_gemmt_kernelIlLi16ELi32ELi8ELc67ELc84ELc85ELb1ELb0E19rocblas_complex_numIdES1_PKS1_PS1_EviT_T9_T10_S5_lS7_S5_lS6_T11_S5_li
; %bb.0:
	s_clause 0x1
	s_load_dwordx8 s[36:43], s[4:5], 0x48
	s_load_dwordx16 s[12:27], s[4:5], 0x8
	s_waitcnt lgkmcnt(0)
	v_cmp_eq_f64_e64 s0, s[38:39], 1.0
	v_cmp_eq_f64_e64 s9, s[40:41], 0
	s_and_b32 s0, s0, s9
	s_andn2_b32 vcc_lo, exec_lo, s0
	s_mov_b32 s0, -1
	s_cbranch_vccnz .LBB277_3
; %bb.1:
	s_cmp_lg_u64 s[12:13], 0
	s_cbranch_scc0 .LBB277_31
; %bb.2:
	v_cmp_neq_f64_e64 s0, s[14:15], 0
	v_cmp_neq_f64_e64 s1, s[16:17], 0
	s_or_b32 s0, s0, s1
.LBB277_3:
	s_and_b32 vcc_lo, exec_lo, s0
	s_cbranch_vccz .LBB277_32
; %bb.4:
	v_cmp_eq_f64_e64 s0, s[14:15], 0
	v_cmp_eq_f64_e64 s1, s[16:17], 0
	s_clause 0x1
	s_load_dwordx4 s[28:31], s[4:5], 0x68
	s_load_dword s4, s[4:5], 0x0
	v_cmp_lt_i64_e64 s2, s[12:13], 1
	v_mov_b32_e32 v20, 0
	v_mov_b32_e32 v22, 0
	;; [unrolled: 1-line block ×16, first 2 shown]
	s_lshl_b32 s5, s6, 5
	s_lshl_b32 s6, s7, 5
	s_and_b32 s0, s0, s1
	s_or_b32 s0, s0, s2
	s_and_b32 vcc_lo, exec_lo, s0
	s_cbranch_vccnz .LBB277_15
; %bb.5:
	v_lshl_add_u32 v5, v1, 4, v0
	s_mul_i32 s1, s37, s8
	s_mul_hi_u32 s2, s36, s8
	s_mul_i32 s0, s36, s8
	s_add_i32 s1, s2, s1
	v_and_b32_e32 v6, 31, v5
	s_lshl_b64 s[0:1], s[0:1], 4
	s_mul_i32 s2, s23, s8
	s_add_u32 s3, s24, s0
	s_addc_u32 s7, s25, s1
	v_or_b32_e32 v7, s5, v6
	s_mul_hi_u32 s1, s22, s8
	s_mul_i32 s0, s22, s8
	s_add_i32 s1, s1, s2
	v_lshrrev_b32_e32 v9, 3, v5
	v_mul_lo_u32 v8, s21, v7
	v_mad_u64_u32 v[2:3], null, s20, v7, 0
	s_lshl_b64 s[0:1], s[0:1], 4
	v_add_nc_u32_e32 v4, s6, v9
	s_add_u32 s2, s18, s0
	s_addc_u32 s1, s19, s1
	s_ashr_i32 s0, s5, 31
	v_and_b32_e32 v24, 7, v0
	s_mul_i32 s0, s20, s0
	v_lshrrev_b32_e32 v25, 5, v5
	v_add3_u32 v3, v3, s0, v8
	v_lshlrev_b32_e32 v6, 4, v6
	v_ashrrev_i32_e32 v5, 31, v4
	v_lshlrev_b32_e32 v8, 4, v24
	s_waitcnt lgkmcnt(0)
	v_cmp_gt_i32_e64 s0, s4, v7
	v_lshlrev_b64 v[2:3], 4, v[2:3]
	v_lshl_or_b32 v26, v25, 9, v6
	v_lshlrev_b64 v[5:6], 4, v[4:5]
	v_lshl_or_b32 v7, v9, 7, v8
	v_mov_b32_e32 v8, 0
	v_mov_b32_e32 v10, 0
	v_add_co_u32 v27, vcc_lo, s2, v2
	v_add_co_ci_u32_e64 v28, null, s1, v3, vcc_lo
	v_cmp_gt_i32_e32 vcc_lo, s4, v4
	v_add_co_u32 v30, s1, s3, v5
	v_mov_b32_e32 v12, 0
	v_mov_b32_e32 v14, 0
	;; [unrolled: 1-line block ×6, first 2 shown]
	v_add_nc_u32_e32 v29, 0x1000, v7
	v_add_co_ci_u32_e64 v31, null, s7, v6, s1
	v_lshlrev_b32_e32 v32, 4, v0
	v_lshl_add_u32 v33, v1, 7, 0x1000
	v_mov_b32_e32 v9, 0
	v_mov_b32_e32 v11, 0
	;; [unrolled: 1-line block ×9, first 2 shown]
	s_mov_b64 s[2:3], 0
	s_xor_b32 s1, vcc_lo, -1
	s_branch .LBB277_7
.LBB277_6:                              ;   in Loop: Header=BB277_7 Depth=1
	s_or_b32 exec_lo, exec_lo, s7
	s_waitcnt lgkmcnt(0)
	s_barrier
	buffer_gl0_inv
	ds_read_b128 v[4:7], v33
	ds_read_b128 v[34:37], v32
	ds_read_b128 v[38:41], v32 offset:256
	ds_read_b128 v[42:45], v33 offset:2048
	;; [unrolled: 1-line block ×12, first 2 shown]
	s_add_u32 s2, s2, 8
	s_addc_u32 s3, s3, 0
	v_cmp_gt_i64_e64 s7, s[12:13], s[2:3]
	s_and_b32 vcc_lo, exec_lo, s7
	s_waitcnt lgkmcnt(12)
	v_mul_f64 v[86:87], v[6:7], v[36:37]
	v_mul_f64 v[88:89], v[4:5], v[36:37]
	s_waitcnt lgkmcnt(11)
	v_mul_f64 v[90:91], v[6:7], v[40:41]
	v_mul_f64 v[92:93], v[4:5], v[40:41]
	;; [unrolled: 3-line block ×3, first 2 shown]
	v_mul_f64 v[96:97], v[44:45], v[40:41]
	v_mul_f64 v[40:41], v[42:43], v[40:41]
	s_waitcnt lgkmcnt(8)
	v_mul_f64 v[98:99], v[48:49], v[52:53]
	v_mul_f64 v[100:101], v[46:47], v[52:53]
	s_waitcnt lgkmcnt(7)
	;; [unrolled: 3-line block ×3, first 2 shown]
	v_mul_f64 v[106:107], v[60:61], v[52:53]
	v_mul_f64 v[52:53], v[58:59], v[52:53]
	;; [unrolled: 1-line block ×4, first 2 shown]
	s_waitcnt lgkmcnt(3)
	v_mul_f64 v[112:113], v[72:73], v[64:65]
	v_mul_f64 v[116:117], v[70:71], v[64:65]
	;; [unrolled: 1-line block ×4, first 2 shown]
	s_waitcnt lgkmcnt(1)
	v_mul_f64 v[122:123], v[80:81], v[64:65]
	v_mul_f64 v[64:65], v[78:79], v[64:65]
	v_fma_f64 v[86:87], v[4:5], v[34:35], -v[86:87]
	v_fma_f64 v[88:89], v[6:7], v[34:35], v[88:89]
	v_fma_f64 v[90:91], v[4:5], v[38:39], -v[90:91]
	v_fma_f64 v[92:93], v[6:7], v[38:39], v[92:93]
	;; [unrolled: 2-line block ×8, first 2 shown]
	ds_read_b128 v[4:7], v32 offset:1536
	ds_read_b128 v[34:37], v32 offset:1792
	;; [unrolled: 1-line block ×6, first 2 shown]
	v_add_f64 v[54:55], v[20:21], v[86:87]
	v_add_f64 v[22:23], v[88:89], v[22:23]
	;; [unrolled: 1-line block ×3, first 2 shown]
	v_mul_f64 v[86:87], v[80:81], v[68:69]
	v_mul_f64 v[68:69], v[78:79], v[68:69]
	v_add_f64 v[88:89], v[92:93], v[18:19]
	v_add_f64 v[92:93], v[14:15], v[94:95]
	;; [unrolled: 1-line block ×5, first 2 shown]
	v_fma_f64 v[90:91], v[70:71], v[62:63], -v[112:113]
	v_fma_f64 v[94:95], v[72:73], v[62:63], v[116:117]
	v_fma_f64 v[70:71], v[70:71], v[66:67], -v[118:119]
	v_fma_f64 v[72:73], v[72:73], v[66:67], v[120:121]
	s_waitcnt lgkmcnt(5)
	v_mul_f64 v[108:109], v[76:77], v[6:7]
	v_mul_f64 v[110:111], v[74:75], v[6:7]
	v_fma_f64 v[112:113], v[78:79], v[62:63], -v[122:123]
	v_fma_f64 v[62:63], v[80:81], v[62:63], v[64:65]
	s_waitcnt lgkmcnt(4)
	v_mul_f64 v[64:65], v[76:77], v[36:37]
	v_mul_f64 v[116:117], v[74:75], v[36:37]
	ds_read_b128 v[14:17], v32 offset:2560
	ds_read_b128 v[18:21], v32 offset:2816
	v_add_f64 v[98:99], v[54:55], v[98:99]
	v_add_f64 v[22:23], v[100:101], v[22:23]
	v_add_f64 v[100:101], v[56:57], v[102:103]
	v_mul_f64 v[102:103], v[84:85], v[6:7]
	v_mul_f64 v[6:7], v[82:83], v[6:7]
	v_add_f64 v[88:89], v[104:105], v[88:89]
	v_add_f64 v[92:93], v[92:93], v[106:107]
	v_fma_f64 v[78:79], v[78:79], v[66:67], -v[86:87]
	v_fma_f64 v[66:67], v[80:81], v[66:67], v[68:69]
	v_mul_f64 v[68:69], v[84:85], v[36:37]
	v_mul_f64 v[36:37], v[82:83], v[36:37]
	v_add_f64 v[12:13], v[124:125], v[12:13]
	v_add_f64 v[58:59], v[96:97], v[58:59]
	;; [unrolled: 1-line block ×3, first 2 shown]
	ds_read_b128 v[8:11], v33 offset:2112
	ds_read_b128 v[54:57], v33 offset:2128
	s_waitcnt lgkmcnt(5)
	v_mul_f64 v[80:81], v[48:49], v[40:41]
	v_mul_f64 v[86:87], v[46:47], v[40:41]
	;; [unrolled: 1-line block ×4, first 2 shown]
	v_fma_f64 v[106:107], v[74:75], v[4:5], -v[108:109]
	v_fma_f64 v[108:109], v[76:77], v[4:5], v[110:111]
	v_fma_f64 v[64:65], v[74:75], v[34:35], -v[64:65]
	v_fma_f64 v[74:75], v[76:77], v[34:35], v[116:117]
	v_add_f64 v[90:91], v[98:99], v[90:91]
	v_add_f64 v[22:23], v[94:95], v[22:23]
	;; [unrolled: 1-line block ×3, first 2 shown]
	v_fma_f64 v[94:95], v[82:83], v[4:5], -v[102:103]
	v_add_f64 v[72:73], v[72:73], v[88:89]
	v_add_f64 v[88:89], v[92:93], v[112:113]
	v_fma_f64 v[4:5], v[84:85], v[4:5], v[6:7]
	s_waitcnt lgkmcnt(3)
	v_mul_f64 v[98:99], v[52:53], v[16:17]
	v_fma_f64 v[6:7], v[82:83], v[34:35], -v[68:69]
	v_fma_f64 v[68:69], v[84:85], v[34:35], v[36:37]
	s_waitcnt lgkmcnt(1)
	v_mul_f64 v[76:77], v[10:11], v[40:41]
	v_mul_f64 v[40:41], v[8:9], v[40:41]
	;; [unrolled: 1-line block ×4, first 2 shown]
	v_add_f64 v[12:13], v[62:63], v[12:13]
	v_add_f64 v[58:59], v[58:59], v[78:79]
	;; [unrolled: 1-line block ×3, first 2 shown]
	v_mul_f64 v[100:101], v[50:51], v[16:17]
	v_mul_f64 v[62:63], v[52:53], v[20:21]
	v_fma_f64 v[78:79], v[46:47], v[38:39], -v[80:81]
	v_fma_f64 v[80:81], v[48:49], v[38:39], v[86:87]
	v_fma_f64 v[46:47], v[46:47], v[42:43], -v[104:105]
	v_fma_f64 v[48:49], v[48:49], v[42:43], v[96:97]
	v_add_f64 v[66:67], v[90:91], v[106:107]
	v_add_f64 v[82:83], v[108:109], v[22:23]
	;; [unrolled: 1-line block ×5, first 2 shown]
	s_waitcnt lgkmcnt(0)
	v_mul_f64 v[84:85], v[56:57], v[16:17]
	v_mul_f64 v[16:17], v[54:55], v[16:17]
	;; [unrolled: 1-line block ×4, first 2 shown]
	v_fma_f64 v[70:71], v[8:9], v[38:39], -v[76:77]
	v_mul_f64 v[76:77], v[50:51], v[20:21]
	v_fma_f64 v[90:91], v[10:11], v[38:39], v[40:41]
	v_fma_f64 v[8:9], v[8:9], v[42:43], -v[92:93]
	v_add_f64 v[12:13], v[4:5], v[12:13]
	v_add_f64 v[58:59], v[58:59], v[6:7]
	v_fma_f64 v[42:43], v[10:11], v[42:43], v[44:45]
	v_add_f64 v[44:45], v[68:69], v[60:61]
	ds_read_b128 v[4:7], v33 offset:96
	ds_read_b128 v[20:23], v32 offset:3072
	;; [unrolled: 1-line block ×4, first 2 shown]
	v_add_f64 v[60:61], v[66:67], v[78:79]
	v_add_f64 v[66:67], v[80:81], v[82:83]
	;; [unrolled: 1-line block ×3, first 2 shown]
	v_fma_f64 v[64:65], v[50:51], v[14:15], -v[98:99]
	v_add_f64 v[48:49], v[48:49], v[72:73]
	v_fma_f64 v[50:51], v[50:51], v[18:19], -v[62:63]
	v_fma_f64 v[62:63], v[54:55], v[14:15], -v[84:85]
	v_fma_f64 v[72:73], v[56:57], v[14:15], v[16:17]
	v_fma_f64 v[54:55], v[54:55], v[18:19], -v[86:87]
	v_add_f64 v[68:69], v[74:75], v[70:71]
	v_fma_f64 v[70:71], v[52:53], v[14:15], v[100:101]
	v_fma_f64 v[52:53], v[52:53], v[18:19], v[76:77]
	;; [unrolled: 1-line block ×3, first 2 shown]
	v_add_f64 v[74:75], v[90:91], v[12:13]
	v_add_f64 v[58:59], v[58:59], v[8:9]
	s_waitcnt lgkmcnt(2)
	v_mul_f64 v[76:77], v[6:7], v[22:23]
	v_mul_f64 v[78:79], v[4:5], v[22:23]
	s_waitcnt lgkmcnt(1)
	v_mul_f64 v[80:81], v[6:7], v[36:37]
	v_mul_f64 v[82:83], v[4:5], v[36:37]
	;; [unrolled: 3-line block ×3, first 2 shown]
	v_mul_f64 v[86:87], v[40:41], v[36:37]
	v_add_f64 v[88:89], v[42:43], v[44:45]
	v_mul_f64 v[36:37], v[38:39], v[36:37]
	ds_read_b128 v[8:11], v33 offset:112
	ds_read_b128 v[12:15], v33 offset:2160
	;; [unrolled: 1-line block ×4, first 2 shown]
	v_add_f64 v[60:61], v[60:61], v[64:65]
	v_add_f64 v[46:47], v[46:47], v[50:51]
	s_waitcnt lgkmcnt(0)
	s_barrier
	v_add_f64 v[50:51], v[68:69], v[62:63]
	v_add_f64 v[64:65], v[70:71], v[66:67]
	;; [unrolled: 1-line block ×3, first 2 shown]
	buffer_gl0_inv
	v_add_f64 v[52:53], v[72:73], v[74:75]
	v_add_f64 v[54:55], v[58:59], v[54:55]
	v_fma_f64 v[58:59], v[4:5], v[20:21], -v[76:77]
	v_fma_f64 v[62:63], v[6:7], v[20:21], v[78:79]
	v_fma_f64 v[4:5], v[4:5], v[34:35], -v[80:81]
	v_fma_f64 v[6:7], v[6:7], v[34:35], v[82:83]
	;; [unrolled: 2-line block ×3, first 2 shown]
	v_fma_f64 v[22:23], v[38:39], v[34:35], -v[86:87]
	v_add_f64 v[38:39], v[56:57], v[88:89]
	v_fma_f64 v[34:35], v[40:41], v[34:35], v[36:37]
	v_mul_f64 v[36:37], v[10:11], v[18:19]
	v_mul_f64 v[40:41], v[8:9], v[18:19]
	;; [unrolled: 1-line block ×8, first 2 shown]
	v_add_f64 v[58:59], v[60:61], v[58:59]
	v_add_f64 v[60:61], v[62:63], v[64:65]
	;; [unrolled: 1-line block ×8, first 2 shown]
	v_fma_f64 v[20:21], v[8:9], v[16:17], -v[36:37]
	v_fma_f64 v[22:23], v[10:11], v[16:17], v[40:41]
	v_fma_f64 v[8:9], v[8:9], v[42:43], -v[56:57]
	v_fma_f64 v[10:11], v[10:11], v[42:43], v[68:69]
	;; [unrolled: 2-line block ×4, first 2 shown]
	v_add_f64 v[20:21], v[58:59], v[20:21]
	v_add_f64 v[22:23], v[22:23], v[60:61]
	;; [unrolled: 1-line block ×8, first 2 shown]
	s_cbranch_vccz .LBB277_15
.LBB277_7:                              ; =>This Inner Loop Header: Depth=1
	v_mov_b32_e32 v4, 0
	v_mov_b32_e32 v6, 0
	;; [unrolled: 1-line block ×4, first 2 shown]
	s_and_saveexec_b32 s7, s0
	s_cbranch_execz .LBB277_11
; %bb.8:                                ;   in Loop: Header=BB277_7 Depth=1
	v_mov_b32_e32 v6, 0
	v_mov_b32_e32 v4, 0
	v_add_nc_u32_e32 v2, s2, v25
	v_mov_b32_e32 v7, 0
	v_mov_b32_e32 v5, 0
	s_mov_b32 s10, exec_lo
	v_cmpx_gt_u64_e64 s[12:13], v[2:3]
	s_cbranch_execz .LBB277_10
; %bb.9:                                ;   in Loop: Header=BB277_7 Depth=1
	v_lshlrev_b64 v[4:5], 4, v[2:3]
	v_add_co_u32 v4, vcc_lo, v27, v4
	v_add_co_ci_u32_e64 v5, null, v28, v5, vcc_lo
	global_load_dwordx4 v[4:7], v[4:5], off
	s_waitcnt vmcnt(0)
	v_xor_b32_e32 v7, 0x80000000, v7
.LBB277_10:                             ;   in Loop: Header=BB277_7 Depth=1
	s_or_b32 exec_lo, exec_lo, s10
.LBB277_11:                             ;   in Loop: Header=BB277_7 Depth=1
	s_or_b32 exec_lo, exec_lo, s7
	v_add_nc_u32_e32 v2, s2, v24
	ds_write_b128 v26, v[4:7]
	v_cmp_le_u64_e32 vcc_lo, s[12:13], v[2:3]
	s_or_b32 s7, vcc_lo, s1
	s_and_saveexec_b32 s10, s7
	s_xor_b32 s7, exec_lo, s10
	s_cbranch_execz .LBB277_13
; %bb.12:                               ;   in Loop: Header=BB277_7 Depth=1
	v_mov_b32_e32 v2, v3
	v_mov_b32_e32 v4, v3
	v_mov_b32_e32 v5, v3
	ds_write_b128 v29, v[2:5]
.LBB277_13:                             ;   in Loop: Header=BB277_7 Depth=1
	s_andn2_saveexec_b32 s7, s7
	s_cbranch_execz .LBB277_6
; %bb.14:                               ;   in Loop: Header=BB277_7 Depth=1
	v_mad_u64_u32 v[4:5], null, s26, v2, 0
	v_mad_u64_u32 v[5:6], null, s27, v2, v[5:6]
	v_lshlrev_b64 v[4:5], 4, v[4:5]
	v_add_co_u32 v4, vcc_lo, v30, v4
	v_add_co_ci_u32_e64 v5, null, v31, v5, vcc_lo
	global_load_dwordx4 v[4:7], v[4:5], off
	s_waitcnt vmcnt(0)
	ds_write2_b64 v29, v[4:5], v[6:7] offset1:1
	s_branch .LBB277_6
.LBB277_15:
	v_add_nc_u32_e32 v25, s6, v1
	v_cmp_neq_f64_e64 s6, s[38:39], 0
	s_waitcnt lgkmcnt(0)
	s_mul_i32 s1, s31, s8
	s_mul_hi_u32 s2, s30, s8
	s_mul_i32 s0, s30, s8
	v_ashrrev_i32_e32 v3, 31, v25
	v_mul_lo_u32 v5, s29, v25
	v_mad_u64_u32 v[1:2], null, s28, v25, 0
	s_add_i32 s1, s2, s1
	v_mul_lo_u32 v3, s28, v3
	v_add_nc_u32_e32 v4, s5, v0
	s_lshl_b64 s[2:3], s[0:1], 4
	v_cmp_gt_i32_e64 s0, s4, v25
	s_add_u32 s2, s42, s2
	s_addc_u32 s3, s43, s3
	s_xor_b32 s5, s9, -1
	v_cmp_le_i32_e32 vcc_lo, v4, v25
	v_add3_u32 v2, v2, v3, v5
	v_ashrrev_i32_e32 v5, 31, v4
	s_or_b32 s5, s6, s5
	v_lshlrev_b64 v[0:1], 4, v[1:2]
	v_cndmask_b32_e64 v24, 0, 1, s5
	s_and_b32 s6, s0, vcc_lo
	v_add_co_u32 v26, s1, s2, v0
	v_add_co_ci_u32_e64 v27, null, s3, v1, s1
	s_and_saveexec_b32 s1, s6
	s_cbranch_execz .LBB277_19
; %bb.16:
	v_mul_f64 v[0:1], s[16:17], v[22:23]
	v_mul_f64 v[2:3], s[14:15], v[22:23]
	v_lshlrev_b64 v[6:7], 4, v[4:5]
	v_add_co_u32 v6, vcc_lo, v26, v6
	v_add_co_ci_u32_e64 v7, null, v27, v7, vcc_lo
	s_andn2_b32 vcc_lo, exec_lo, s5
	v_fma_f64 v[0:1], s[14:15], v[20:21], -v[0:1]
	v_fma_f64 v[2:3], s[16:17], v[20:21], v[2:3]
	s_cbranch_vccnz .LBB277_18
; %bb.17:
	global_load_dwordx4 v[20:23], v[6:7], off
	s_waitcnt vmcnt(0)
	v_mul_f64 v[28:29], s[40:41], v[22:23]
	v_mul_f64 v[22:23], s[38:39], v[22:23]
	v_fma_f64 v[28:29], s[38:39], v[20:21], -v[28:29]
	v_fma_f64 v[20:21], s[40:41], v[20:21], v[22:23]
	v_add_f64 v[0:1], v[0:1], v[28:29]
	v_add_f64 v[2:3], v[2:3], v[20:21]
.LBB277_18:
	global_store_dwordx4 v[6:7], v[0:3], off
.LBB277_19:
	s_or_b32 exec_lo, exec_lo, s1
	v_add_nc_u32_e32 v6, 16, v4
	v_cmp_le_i32_e32 vcc_lo, v6, v25
	v_ashrrev_i32_e32 v7, 31, v6
	s_and_b32 s0, s0, vcc_lo
	s_and_saveexec_b32 s1, s0
	s_cbranch_execz .LBB277_23
; %bb.20:
	v_mul_f64 v[0:1], s[16:17], v[18:19]
	v_mul_f64 v[2:3], s[14:15], v[18:19]
	v_cmp_ne_u32_e32 vcc_lo, 1, v24
	s_and_b32 vcc_lo, exec_lo, vcc_lo
	v_fma_f64 v[0:1], s[14:15], v[16:17], -v[0:1]
	v_fma_f64 v[2:3], s[16:17], v[16:17], v[2:3]
	v_lshlrev_b64 v[16:17], 4, v[6:7]
	v_add_co_u32 v16, s0, v26, v16
	v_add_co_ci_u32_e64 v17, null, v27, v17, s0
	s_cbranch_vccnz .LBB277_22
; %bb.21:
	global_load_dwordx4 v[18:21], v[16:17], off
	s_waitcnt vmcnt(0)
	v_mul_f64 v[22:23], s[40:41], v[20:21]
	v_mul_f64 v[20:21], s[38:39], v[20:21]
	v_fma_f64 v[22:23], s[38:39], v[18:19], -v[22:23]
	v_fma_f64 v[18:19], s[40:41], v[18:19], v[20:21]
	v_add_f64 v[0:1], v[0:1], v[22:23]
	v_add_f64 v[2:3], v[2:3], v[18:19]
.LBB277_22:
	global_store_dwordx4 v[16:17], v[0:3], off
.LBB277_23:
	s_or_b32 exec_lo, exec_lo, s1
	v_add_nc_u32_e32 v18, 16, v25
	v_ashrrev_i32_e32 v2, 31, v18
	v_mul_lo_u32 v3, s29, v18
	v_mad_u64_u32 v[0:1], null, s28, v18, 0
	v_cmp_gt_i32_e64 s0, s4, v18
	v_mul_lo_u32 v2, s28, v2
	v_cmp_le_i32_e32 vcc_lo, v4, v18
	v_add3_u32 v1, v1, v2, v3
	v_lshlrev_b64 v[0:1], 4, v[0:1]
	v_add_co_u32 v16, s1, s2, v0
	v_add_co_ci_u32_e64 v17, null, s3, v1, s1
	s_and_b32 s1, s0, vcc_lo
	s_and_saveexec_b32 s2, s1
	s_cbranch_execz .LBB277_27
; %bb.24:
	v_mul_f64 v[0:1], s[16:17], v[12:13]
	v_mul_f64 v[2:3], s[14:15], v[12:13]
	v_lshlrev_b64 v[4:5], 4, v[4:5]
	v_cmp_ne_u32_e32 vcc_lo, 1, v24
	s_and_b32 vcc_lo, exec_lo, vcc_lo
	v_add_co_u32 v4, s1, v16, v4
	v_add_co_ci_u32_e64 v5, null, v17, v5, s1
	v_fma_f64 v[0:1], s[14:15], v[14:15], -v[0:1]
	v_fma_f64 v[2:3], s[16:17], v[14:15], v[2:3]
	s_cbranch_vccnz .LBB277_26
; %bb.25:
	global_load_dwordx4 v[12:15], v[4:5], off
	s_waitcnt vmcnt(0)
	v_mul_f64 v[19:20], s[40:41], v[14:15]
	v_mul_f64 v[14:15], s[38:39], v[14:15]
	v_fma_f64 v[19:20], s[38:39], v[12:13], -v[19:20]
	v_fma_f64 v[12:13], s[40:41], v[12:13], v[14:15]
	v_add_f64 v[0:1], v[0:1], v[19:20]
	v_add_f64 v[2:3], v[2:3], v[12:13]
.LBB277_26:
	global_store_dwordx4 v[4:5], v[0:3], off
.LBB277_27:
	s_or_b32 exec_lo, exec_lo, s2
	v_cmp_le_i32_e32 vcc_lo, v6, v18
	s_and_b32 s0, s0, vcc_lo
	s_and_saveexec_b32 s1, s0
	s_cbranch_execz .LBB277_32
; %bb.28:
	v_mul_f64 v[0:1], s[16:17], v[8:9]
	v_mul_f64 v[2:3], s[14:15], v[8:9]
	v_lshlrev_b64 v[4:5], 4, v[6:7]
	v_cmp_ne_u32_e32 vcc_lo, 1, v24
	s_and_b32 vcc_lo, exec_lo, vcc_lo
	v_add_co_u32 v4, s0, v16, v4
	v_add_co_ci_u32_e64 v5, null, v17, v5, s0
	v_fma_f64 v[0:1], s[14:15], v[10:11], -v[0:1]
	v_fma_f64 v[2:3], s[16:17], v[10:11], v[2:3]
	s_cbranch_vccnz .LBB277_30
; %bb.29:
	global_load_dwordx4 v[6:9], v[4:5], off
	s_waitcnt vmcnt(0)
	v_mul_f64 v[10:11], s[40:41], v[8:9]
	v_mul_f64 v[8:9], s[38:39], v[8:9]
	v_fma_f64 v[10:11], s[38:39], v[6:7], -v[10:11]
	v_fma_f64 v[6:7], s[40:41], v[6:7], v[8:9]
	v_add_f64 v[0:1], v[0:1], v[10:11]
	v_add_f64 v[2:3], v[2:3], v[6:7]
.LBB277_30:
	global_store_dwordx4 v[4:5], v[0:3], off
	s_endpgm
.LBB277_31:
.LBB277_32:
	s_endpgm
	.section	.rodata,"a",@progbits
	.p2align	6, 0x0
	.amdhsa_kernel _ZL29rocblas_internal_gemmt_kernelIlLi16ELi32ELi8ELc67ELc84ELc85ELb1ELb0E19rocblas_complex_numIdES1_PKS1_PS1_EviT_T9_T10_S5_lS7_S5_lS6_T11_S5_li
		.amdhsa_group_segment_fixed_size 8192
		.amdhsa_private_segment_fixed_size 0
		.amdhsa_kernarg_size 124
		.amdhsa_user_sgpr_count 6
		.amdhsa_user_sgpr_private_segment_buffer 1
		.amdhsa_user_sgpr_dispatch_ptr 0
		.amdhsa_user_sgpr_queue_ptr 0
		.amdhsa_user_sgpr_kernarg_segment_ptr 1
		.amdhsa_user_sgpr_dispatch_id 0
		.amdhsa_user_sgpr_flat_scratch_init 0
		.amdhsa_user_sgpr_private_segment_size 0
		.amdhsa_wavefront_size32 1
		.amdhsa_uses_dynamic_stack 0
		.amdhsa_system_sgpr_private_segment_wavefront_offset 0
		.amdhsa_system_sgpr_workgroup_id_x 1
		.amdhsa_system_sgpr_workgroup_id_y 1
		.amdhsa_system_sgpr_workgroup_id_z 1
		.amdhsa_system_sgpr_workgroup_info 0
		.amdhsa_system_vgpr_workitem_id 1
		.amdhsa_next_free_vgpr 126
		.amdhsa_next_free_sgpr 44
		.amdhsa_reserve_vcc 1
		.amdhsa_reserve_flat_scratch 0
		.amdhsa_float_round_mode_32 0
		.amdhsa_float_round_mode_16_64 0
		.amdhsa_float_denorm_mode_32 3
		.amdhsa_float_denorm_mode_16_64 3
		.amdhsa_dx10_clamp 1
		.amdhsa_ieee_mode 1
		.amdhsa_fp16_overflow 0
		.amdhsa_workgroup_processor_mode 1
		.amdhsa_memory_ordered 1
		.amdhsa_forward_progress 1
		.amdhsa_shared_vgpr_count 0
		.amdhsa_exception_fp_ieee_invalid_op 0
		.amdhsa_exception_fp_denorm_src 0
		.amdhsa_exception_fp_ieee_div_zero 0
		.amdhsa_exception_fp_ieee_overflow 0
		.amdhsa_exception_fp_ieee_underflow 0
		.amdhsa_exception_fp_ieee_inexact 0
		.amdhsa_exception_int_div_zero 0
	.end_amdhsa_kernel
	.section	.text._ZL29rocblas_internal_gemmt_kernelIlLi16ELi32ELi8ELc67ELc84ELc85ELb1ELb0E19rocblas_complex_numIdES1_PKS1_PS1_EviT_T9_T10_S5_lS7_S5_lS6_T11_S5_li,"axG",@progbits,_ZL29rocblas_internal_gemmt_kernelIlLi16ELi32ELi8ELc67ELc84ELc85ELb1ELb0E19rocblas_complex_numIdES1_PKS1_PS1_EviT_T9_T10_S5_lS7_S5_lS6_T11_S5_li,comdat
.Lfunc_end277:
	.size	_ZL29rocblas_internal_gemmt_kernelIlLi16ELi32ELi8ELc67ELc84ELc85ELb1ELb0E19rocblas_complex_numIdES1_PKS1_PS1_EviT_T9_T10_S5_lS7_S5_lS6_T11_S5_li, .Lfunc_end277-_ZL29rocblas_internal_gemmt_kernelIlLi16ELi32ELi8ELc67ELc84ELc85ELb1ELb0E19rocblas_complex_numIdES1_PKS1_PS1_EviT_T9_T10_S5_lS7_S5_lS6_T11_S5_li
                                        ; -- End function
	.set _ZL29rocblas_internal_gemmt_kernelIlLi16ELi32ELi8ELc67ELc84ELc85ELb1ELb0E19rocblas_complex_numIdES1_PKS1_PS1_EviT_T9_T10_S5_lS7_S5_lS6_T11_S5_li.num_vgpr, 126
	.set _ZL29rocblas_internal_gemmt_kernelIlLi16ELi32ELi8ELc67ELc84ELc85ELb1ELb0E19rocblas_complex_numIdES1_PKS1_PS1_EviT_T9_T10_S5_lS7_S5_lS6_T11_S5_li.num_agpr, 0
	.set _ZL29rocblas_internal_gemmt_kernelIlLi16ELi32ELi8ELc67ELc84ELc85ELb1ELb0E19rocblas_complex_numIdES1_PKS1_PS1_EviT_T9_T10_S5_lS7_S5_lS6_T11_S5_li.numbered_sgpr, 44
	.set _ZL29rocblas_internal_gemmt_kernelIlLi16ELi32ELi8ELc67ELc84ELc85ELb1ELb0E19rocblas_complex_numIdES1_PKS1_PS1_EviT_T9_T10_S5_lS7_S5_lS6_T11_S5_li.num_named_barrier, 0
	.set _ZL29rocblas_internal_gemmt_kernelIlLi16ELi32ELi8ELc67ELc84ELc85ELb1ELb0E19rocblas_complex_numIdES1_PKS1_PS1_EviT_T9_T10_S5_lS7_S5_lS6_T11_S5_li.private_seg_size, 0
	.set _ZL29rocblas_internal_gemmt_kernelIlLi16ELi32ELi8ELc67ELc84ELc85ELb1ELb0E19rocblas_complex_numIdES1_PKS1_PS1_EviT_T9_T10_S5_lS7_S5_lS6_T11_S5_li.uses_vcc, 1
	.set _ZL29rocblas_internal_gemmt_kernelIlLi16ELi32ELi8ELc67ELc84ELc85ELb1ELb0E19rocblas_complex_numIdES1_PKS1_PS1_EviT_T9_T10_S5_lS7_S5_lS6_T11_S5_li.uses_flat_scratch, 0
	.set _ZL29rocblas_internal_gemmt_kernelIlLi16ELi32ELi8ELc67ELc84ELc85ELb1ELb0E19rocblas_complex_numIdES1_PKS1_PS1_EviT_T9_T10_S5_lS7_S5_lS6_T11_S5_li.has_dyn_sized_stack, 0
	.set _ZL29rocblas_internal_gemmt_kernelIlLi16ELi32ELi8ELc67ELc84ELc85ELb1ELb0E19rocblas_complex_numIdES1_PKS1_PS1_EviT_T9_T10_S5_lS7_S5_lS6_T11_S5_li.has_recursion, 0
	.set _ZL29rocblas_internal_gemmt_kernelIlLi16ELi32ELi8ELc67ELc84ELc85ELb1ELb0E19rocblas_complex_numIdES1_PKS1_PS1_EviT_T9_T10_S5_lS7_S5_lS6_T11_S5_li.has_indirect_call, 0
	.section	.AMDGPU.csdata,"",@progbits
; Kernel info:
; codeLenInByte = 3536
; TotalNumSgprs: 46
; NumVgprs: 126
; ScratchSize: 0
; MemoryBound: 1
; FloatMode: 240
; IeeeMode: 1
; LDSByteSize: 8192 bytes/workgroup (compile time only)
; SGPRBlocks: 0
; VGPRBlocks: 15
; NumSGPRsForWavesPerEU: 46
; NumVGPRsForWavesPerEU: 126
; Occupancy: 8
; WaveLimiterHint : 0
; COMPUTE_PGM_RSRC2:SCRATCH_EN: 0
; COMPUTE_PGM_RSRC2:USER_SGPR: 6
; COMPUTE_PGM_RSRC2:TRAP_HANDLER: 0
; COMPUTE_PGM_RSRC2:TGID_X_EN: 1
; COMPUTE_PGM_RSRC2:TGID_Y_EN: 1
; COMPUTE_PGM_RSRC2:TGID_Z_EN: 1
; COMPUTE_PGM_RSRC2:TIDIG_COMP_CNT: 1
	.section	.text._ZL29rocblas_internal_gemmt_kernelIlLi16ELi32ELi8ELc67ELc67ELc85ELb1ELb1E19rocblas_complex_numIdES1_PKS1_PS1_EviT_T9_T10_S5_lS7_S5_lS6_T11_S5_li,"axG",@progbits,_ZL29rocblas_internal_gemmt_kernelIlLi16ELi32ELi8ELc67ELc67ELc85ELb1ELb1E19rocblas_complex_numIdES1_PKS1_PS1_EviT_T9_T10_S5_lS7_S5_lS6_T11_S5_li,comdat
	.globl	_ZL29rocblas_internal_gemmt_kernelIlLi16ELi32ELi8ELc67ELc67ELc85ELb1ELb1E19rocblas_complex_numIdES1_PKS1_PS1_EviT_T9_T10_S5_lS7_S5_lS6_T11_S5_li ; -- Begin function _ZL29rocblas_internal_gemmt_kernelIlLi16ELi32ELi8ELc67ELc67ELc85ELb1ELb1E19rocblas_complex_numIdES1_PKS1_PS1_EviT_T9_T10_S5_lS7_S5_lS6_T11_S5_li
	.p2align	8
	.type	_ZL29rocblas_internal_gemmt_kernelIlLi16ELi32ELi8ELc67ELc67ELc85ELb1ELb1E19rocblas_complex_numIdES1_PKS1_PS1_EviT_T9_T10_S5_lS7_S5_lS6_T11_S5_li,@function
_ZL29rocblas_internal_gemmt_kernelIlLi16ELi32ELi8ELc67ELc67ELc85ELb1ELb1E19rocblas_complex_numIdES1_PKS1_PS1_EviT_T9_T10_S5_lS7_S5_lS6_T11_S5_li: ; @_ZL29rocblas_internal_gemmt_kernelIlLi16ELi32ELi8ELc67ELc67ELc85ELb1ELb1E19rocblas_complex_numIdES1_PKS1_PS1_EviT_T9_T10_S5_lS7_S5_lS6_T11_S5_li
; %bb.0:
	s_clause 0x1
	s_load_dwordx8 s[36:43], s[4:5], 0x48
	s_load_dwordx16 s[12:27], s[4:5], 0x8
	s_waitcnt lgkmcnt(0)
	v_cmp_eq_f64_e64 s0, s[38:39], 1.0
	v_cmp_eq_f64_e64 s9, s[40:41], 0
	s_and_b32 s0, s0, s9
	s_andn2_b32 vcc_lo, exec_lo, s0
	s_mov_b32 s0, -1
	s_cbranch_vccnz .LBB278_3
; %bb.1:
	s_cmp_lg_u64 s[12:13], 0
	s_cbranch_scc0 .LBB278_29
; %bb.2:
	v_cmp_neq_f64_e64 s0, s[14:15], 0
	v_cmp_neq_f64_e64 s1, s[16:17], 0
	s_or_b32 s0, s0, s1
.LBB278_3:
	s_and_b32 vcc_lo, exec_lo, s0
	s_cbranch_vccz .LBB278_30
; %bb.4:
	v_cmp_eq_f64_e64 s0, s[14:15], 0
	v_cmp_eq_f64_e64 s1, s[16:17], 0
	s_clause 0x1
	s_load_dwordx4 s[28:31], s[4:5], 0x68
	s_load_dword s4, s[4:5], 0x0
	v_cmp_lt_i64_e64 s2, s[12:13], 1
	v_mov_b32_e32 v24, 0
	v_mov_b32_e32 v26, 0
	;; [unrolled: 1-line block ×16, first 2 shown]
	s_lshl_b32 s5, s6, 5
	s_lshl_b32 s6, s7, 5
	s_and_b32 s0, s0, s1
	s_or_b32 s0, s0, s2
	s_and_b32 vcc_lo, exec_lo, s0
	s_cbranch_vccnz .LBB278_13
; %bb.5:
	v_lshl_add_u32 v5, v1, 4, v0
	s_mul_i32 s1, s37, s8
	s_mul_hi_u32 s2, s36, s8
	s_mul_i32 s0, s36, s8
	s_add_i32 s1, s2, s1
	v_and_b32_e32 v6, 31, v5
	s_lshl_b64 s[0:1], s[0:1], 4
	s_mul_i32 s2, s23, s8
	s_add_u32 s3, s24, s0
	s_addc_u32 s7, s25, s1
	v_or_b32_e32 v7, s5, v6
	s_mul_hi_u32 s1, s22, s8
	s_mul_i32 s0, s22, s8
	s_add_i32 s1, s1, s2
	v_lshrrev_b32_e32 v9, 3, v5
	v_mul_lo_u32 v8, s21, v7
	v_mad_u64_u32 v[2:3], null, s20, v7, 0
	s_lshl_b64 s[0:1], s[0:1], 4
	v_add_nc_u32_e32 v4, s6, v9
	s_add_u32 s2, s18, s0
	s_addc_u32 s1, s19, s1
	s_ashr_i32 s0, s5, 31
	v_and_b32_e32 v28, 7, v0
	s_mul_i32 s0, s20, s0
	v_lshrrev_b32_e32 v29, 5, v5
	v_add3_u32 v3, v3, s0, v8
	v_lshlrev_b32_e32 v6, 4, v6
	v_ashrrev_i32_e32 v5, 31, v4
	v_lshlrev_b32_e32 v8, 4, v28
	s_waitcnt lgkmcnt(0)
	v_cmp_gt_i32_e64 s0, s4, v7
	v_lshlrev_b64 v[2:3], 4, v[2:3]
	v_lshl_or_b32 v30, v29, 9, v6
	v_lshlrev_b64 v[5:6], 4, v[4:5]
	v_lshl_or_b32 v7, v9, 7, v8
	v_mov_b32_e32 v12, 0
	v_mov_b32_e32 v14, 0
	v_add_co_u32 v31, vcc_lo, s2, v2
	v_add_co_ci_u32_e64 v32, null, s1, v3, vcc_lo
	v_add_co_u32 v34, vcc_lo, s3, v5
	v_mov_b32_e32 v18, 0
	v_mov_b32_e32 v16, 0
	;; [unrolled: 1-line block ×6, first 2 shown]
	v_cmp_gt_i32_e64 s1, s4, v4
	v_add_nc_u32_e32 v33, 0x1000, v7
	v_add_co_ci_u32_e64 v35, null, s7, v6, vcc_lo
	v_lshlrev_b32_e32 v36, 4, v0
	v_lshl_add_u32 v37, v1, 7, 0x1000
	v_mov_b32_e32 v13, 0
	v_mov_b32_e32 v15, 0
	;; [unrolled: 1-line block ×9, first 2 shown]
	s_mov_b64 s[2:3], 0
	s_branch .LBB278_7
.LBB278_6:                              ;   in Loop: Header=BB278_7 Depth=1
	s_or_b32 exec_lo, exec_lo, s7
	ds_write_b128 v33, v[6:9]
	s_waitcnt lgkmcnt(0)
	s_barrier
	buffer_gl0_inv
	ds_read_b128 v[2:5], v37
	ds_read_b128 v[6:9], v36
	ds_read_b128 v[38:41], v36 offset:256
	ds_read_b128 v[42:45], v37 offset:2048
	;; [unrolled: 1-line block ×11, first 2 shown]
	s_add_u32 s2, s2, 8
	s_addc_u32 s3, s3, 0
	v_cmp_gt_i64_e64 s7, s[12:13], s[2:3]
	s_waitcnt lgkmcnt(11)
	v_mul_f64 v[82:83], v[4:5], v[8:9]
	v_mul_f64 v[84:85], v[2:3], v[8:9]
	s_waitcnt lgkmcnt(10)
	v_mul_f64 v[86:87], v[4:5], v[40:41]
	v_mul_f64 v[88:89], v[2:3], v[40:41]
	;; [unrolled: 3-line block ×3, first 2 shown]
	v_mul_f64 v[92:93], v[44:45], v[40:41]
	v_mul_f64 v[40:41], v[42:43], v[40:41]
	s_waitcnt lgkmcnt(7)
	v_mul_f64 v[94:95], v[48:49], v[52:53]
	v_mul_f64 v[96:97], v[46:47], v[52:53]
	s_waitcnt lgkmcnt(6)
	v_mul_f64 v[98:99], v[48:49], v[56:57]
	s_waitcnt lgkmcnt(5)
	v_mul_f64 v[102:103], v[60:61], v[52:53]
	v_mul_f64 v[52:53], v[58:59], v[52:53]
	;; [unrolled: 1-line block ×5, first 2 shown]
	s_waitcnt lgkmcnt(3)
	v_mul_f64 v[106:107], v[68:69], v[64:65]
	v_mul_f64 v[108:109], v[66:67], v[64:65]
	s_and_b32 vcc_lo, exec_lo, s7
	v_fma_f64 v[82:83], v[2:3], v[6:7], -v[82:83]
	v_fma_f64 v[84:85], v[4:5], v[6:7], v[84:85]
	v_fma_f64 v[86:87], v[2:3], v[38:39], -v[86:87]
	v_fma_f64 v[88:89], v[4:5], v[38:39], v[88:89]
	;; [unrolled: 2-line block ×3, first 2 shown]
	v_fma_f64 v[92:93], v[42:43], v[38:39], -v[92:93]
	ds_read_b128 v[2:5], v36 offset:1536
	s_waitcnt lgkmcnt(3)
	v_mul_f64 v[110:111], v[68:69], v[72:73]
	v_mul_f64 v[112:113], v[66:67], v[72:73]
	v_fma_f64 v[116:117], v[44:45], v[38:39], v[40:41]
	v_fma_f64 v[94:95], v[46:47], v[50:51], -v[94:95]
	v_fma_f64 v[96:97], v[48:49], v[50:51], v[96:97]
	v_fma_f64 v[46:47], v[46:47], v[54:55], -v[98:99]
	s_waitcnt lgkmcnt(2)
	v_mul_f64 v[42:43], v[76:77], v[64:65]
	v_fma_f64 v[98:99], v[58:59], v[50:51], -v[102:103]
	v_fma_f64 v[50:51], v[60:61], v[50:51], v[52:53]
	v_mul_f64 v[44:45], v[74:75], v[64:65]
	v_mul_f64 v[52:53], v[76:77], v[72:73]
	;; [unrolled: 1-line block ×3, first 2 shown]
	v_fma_f64 v[48:49], v[48:49], v[54:55], v[100:101]
	v_fma_f64 v[58:59], v[58:59], v[54:55], -v[104:105]
	v_fma_f64 v[54:55], v[60:61], v[54:55], v[56:57]
	v_fma_f64 v[56:57], v[66:67], v[62:63], -v[106:107]
	v_fma_f64 v[60:61], v[68:69], v[62:63], v[108:109]
	v_add_f64 v[82:83], v[24:25], v[82:83]
	v_add_f64 v[84:85], v[84:85], v[26:27]
	v_add_f64 v[86:87], v[20:21], v[86:87]
	v_add_f64 v[88:89], v[88:89], v[22:23]
	v_add_f64 v[90:91], v[16:17], v[90:91]
	v_fma_f64 v[66:67], v[66:67], v[70:71], -v[110:111]
	v_fma_f64 v[68:69], v[68:69], v[70:71], v[112:113]
	v_add_f64 v[104:105], v[114:115], v[18:19]
	ds_read_b128 v[6:9], v36 offset:1792
	ds_read_b128 v[38:41], v37 offset:2096
	s_waitcnt lgkmcnt(2)
	v_mul_f64 v[72:73], v[80:81], v[4:5]
	v_mul_f64 v[100:101], v[78:79], v[4:5]
	v_fma_f64 v[108:109], v[74:75], v[62:63], -v[42:43]
	ds_read_b128 v[16:19], v37 offset:64
	v_fma_f64 v[62:63], v[76:77], v[62:63], v[44:45]
	v_fma_f64 v[74:75], v[74:75], v[70:71], -v[52:53]
	v_fma_f64 v[64:65], v[76:77], v[70:71], v[64:65]
	v_add_f64 v[52:53], v[14:15], v[92:93]
	v_add_f64 v[70:71], v[116:117], v[12:13]
	ds_read_b128 v[20:23], v36 offset:2048
	ds_read_b128 v[24:27], v36 offset:2304
	;; [unrolled: 1-line block ×4, first 2 shown]
	v_add_f64 v[82:83], v[82:83], v[94:95]
	v_add_f64 v[84:85], v[96:97], v[84:85]
	;; [unrolled: 1-line block ×5, first 2 shown]
	s_waitcnt lgkmcnt(6)
	v_mul_f64 v[102:103], v[80:81], v[8:9]
	v_mul_f64 v[106:107], v[78:79], v[8:9]
	s_waitcnt lgkmcnt(5)
	v_mul_f64 v[110:111], v[40:41], v[4:5]
	v_mul_f64 v[4:5], v[38:39], v[4:5]
	v_add_f64 v[50:51], v[50:51], v[104:105]
	v_mul_f64 v[92:93], v[40:41], v[8:9]
	v_mul_f64 v[8:9], v[38:39], v[8:9]
	v_fma_f64 v[72:73], v[78:79], v[2:3], -v[72:73]
	v_fma_f64 v[76:77], v[80:81], v[2:3], v[100:101]
	ds_read_b128 v[46:49], v37 offset:2128
	s_waitcnt lgkmcnt(4)
	v_mul_f64 v[98:99], v[18:19], v[22:23]
	v_mul_f64 v[100:101], v[16:17], v[22:23]
	v_add_f64 v[58:59], v[52:53], v[58:59]
	v_add_f64 v[54:55], v[54:55], v[70:71]
	s_waitcnt lgkmcnt(3)
	v_mul_f64 v[104:105], v[16:17], v[26:27]
	s_waitcnt lgkmcnt(2)
	v_mul_f64 v[70:71], v[44:45], v[22:23]
	v_mul_f64 v[22:23], v[42:43], v[22:23]
	v_add_f64 v[56:57], v[82:83], v[56:57]
	v_add_f64 v[60:61], v[60:61], v[84:85]
	;; [unrolled: 1-line block ×5, first 2 shown]
	v_fma_f64 v[78:79], v[78:79], v[6:7], -v[102:103]
	v_fma_f64 v[80:81], v[80:81], v[6:7], v[106:107]
	v_fma_f64 v[94:95], v[38:39], v[2:3], -v[110:111]
	v_fma_f64 v[96:97], v[40:41], v[2:3], v[4:5]
	v_mul_f64 v[102:103], v[18:19], v[26:27]
	v_add_f64 v[62:63], v[62:63], v[50:51]
	v_mul_f64 v[84:85], v[44:45], v[26:27]
	v_mul_f64 v[26:27], v[42:43], v[26:27]
	v_fma_f64 v[38:39], v[38:39], v[6:7], -v[92:93]
	v_fma_f64 v[40:41], v[40:41], v[6:7], v[8:9]
	ds_read_b128 v[2:5], v37 offset:80
	ds_read_b128 v[50:53], v36 offset:2816
	v_add_f64 v[58:59], v[58:59], v[74:75]
	v_add_f64 v[54:55], v[64:65], v[54:55]
	v_fma_f64 v[88:89], v[16:17], v[20:21], -v[98:99]
	v_fma_f64 v[90:91], v[18:19], v[20:21], v[100:101]
	v_fma_f64 v[98:99], v[18:19], v[24:25], v[104:105]
	v_fma_f64 v[64:65], v[42:43], v[20:21], -v[70:71]
	v_add_f64 v[56:57], v[56:57], v[72:73]
	v_add_f64 v[60:61], v[76:77], v[60:61]
	v_fma_f64 v[70:71], v[44:45], v[20:21], v[22:23]
	v_add_f64 v[66:67], v[66:67], v[78:79]
	v_add_f64 v[68:69], v[80:81], v[68:69]
	;; [unrolled: 1-line block ×3, first 2 shown]
	s_waitcnt lgkmcnt(2)
	v_mul_f64 v[80:81], v[48:49], v[14:15]
	v_fma_f64 v[92:93], v[16:17], v[24:25], -v[102:103]
	v_add_f64 v[62:63], v[96:97], v[62:63]
	v_fma_f64 v[42:43], v[42:43], v[24:25], -v[84:85]
	v_fma_f64 v[44:45], v[44:45], v[24:25], v[26:27]
	s_waitcnt lgkmcnt(1)
	v_mul_f64 v[86:87], v[4:5], v[14:15]
	v_mul_f64 v[74:75], v[2:3], v[14:15]
	s_waitcnt lgkmcnt(0)
	v_mul_f64 v[76:77], v[4:5], v[52:53]
	v_mul_f64 v[78:79], v[2:3], v[52:53]
	v_mul_f64 v[14:15], v[46:47], v[14:15]
	v_mul_f64 v[82:83], v[48:49], v[52:53]
	v_mul_f64 v[52:53], v[46:47], v[52:53]
	v_add_f64 v[38:39], v[58:59], v[38:39]
	v_add_f64 v[40:41], v[40:41], v[54:55]
	ds_read_b128 v[6:9], v37 offset:96
	ds_read_b128 v[16:19], v36 offset:3072
	;; [unrolled: 1-line block ×4, first 2 shown]
	v_add_f64 v[54:55], v[56:57], v[88:89]
	v_add_f64 v[56:57], v[90:91], v[60:61]
	;; [unrolled: 1-line block ×3, first 2 shown]
	v_fma_f64 v[80:81], v[46:47], v[12:13], -v[80:81]
	v_add_f64 v[60:61], v[66:67], v[92:93]
	v_add_f64 v[66:67], v[98:99], v[68:69]
	;; [unrolled: 1-line block ×3, first 2 shown]
	v_fma_f64 v[58:59], v[2:3], v[12:13], -v[86:87]
	v_fma_f64 v[68:69], v[4:5], v[12:13], v[74:75]
	v_fma_f64 v[70:71], v[2:3], v[50:51], -v[76:77]
	v_fma_f64 v[72:73], v[4:5], v[50:51], v[78:79]
	ds_read_b128 v[2:5], v37 offset:112
	v_fma_f64 v[86:87], v[48:49], v[12:13], v[14:15]
	s_waitcnt lgkmcnt(3)
	v_mul_f64 v[74:75], v[8:9], v[18:19]
	v_mul_f64 v[76:77], v[6:7], v[18:19]
	s_waitcnt lgkmcnt(2)
	v_mul_f64 v[78:79], v[8:9], v[22:23]
	v_mul_f64 v[84:85], v[6:7], v[22:23]
	v_fma_f64 v[46:47], v[46:47], v[50:51], -v[82:83]
	v_fma_f64 v[48:49], v[48:49], v[50:51], v[52:53]
	v_add_f64 v[50:51], v[38:39], v[42:43]
	v_add_f64 v[52:53], v[44:45], v[40:41]
	s_waitcnt lgkmcnt(1)
	v_mul_f64 v[82:83], v[26:27], v[18:19]
	v_mul_f64 v[18:19], v[24:25], v[18:19]
	;; [unrolled: 1-line block ×4, first 2 shown]
	ds_read_b128 v[12:15], v37 offset:2160
	ds_read_b128 v[38:41], v36 offset:3584
	;; [unrolled: 1-line block ×3, first 2 shown]
	v_add_f64 v[64:65], v[64:65], v[80:81]
	s_waitcnt lgkmcnt(0)
	v_add_f64 v[54:55], v[54:55], v[58:59]
	v_add_f64 v[56:57], v[68:69], v[56:57]
	;; [unrolled: 1-line block ×4, first 2 shown]
	s_barrier
	v_add_f64 v[62:63], v[86:87], v[62:63]
	v_fma_f64 v[58:59], v[6:7], v[16:17], -v[74:75]
	v_fma_f64 v[68:69], v[8:9], v[16:17], v[76:77]
	v_fma_f64 v[6:7], v[6:7], v[20:21], -v[78:79]
	v_fma_f64 v[8:9], v[8:9], v[20:21], v[84:85]
	buffer_gl0_inv
	v_add_f64 v[46:47], v[50:51], v[46:47]
	v_add_f64 v[48:49], v[48:49], v[52:53]
	v_fma_f64 v[50:51], v[24:25], v[16:17], -v[82:83]
	v_fma_f64 v[16:17], v[26:27], v[16:17], v[18:19]
	v_fma_f64 v[18:19], v[24:25], v[20:21], -v[88:89]
	v_fma_f64 v[20:21], v[26:27], v[20:21], v[22:23]
	v_mul_f64 v[22:23], v[4:5], v[40:41]
	v_mul_f64 v[24:25], v[2:3], v[40:41]
	;; [unrolled: 1-line block ×8, first 2 shown]
	v_add_f64 v[54:55], v[54:55], v[58:59]
	v_add_f64 v[56:57], v[68:69], v[56:57]
	;; [unrolled: 1-line block ×8, first 2 shown]
	v_fma_f64 v[16:17], v[2:3], v[38:39], -v[22:23]
	v_fma_f64 v[18:19], v[4:5], v[38:39], v[24:25]
	v_fma_f64 v[2:3], v[2:3], v[42:43], -v[26:27]
	v_fma_f64 v[4:5], v[4:5], v[42:43], v[52:53]
	;; [unrolled: 2-line block ×4, first 2 shown]
	v_add_f64 v[24:25], v[54:55], v[16:17]
	v_add_f64 v[26:27], v[18:19], v[56:57]
	;; [unrolled: 1-line block ×8, first 2 shown]
	s_cbranch_vccz .LBB278_13
.LBB278_7:                              ; =>This Inner Loop Header: Depth=1
	v_mov_b32_e32 v2, 0
	v_mov_b32_e32 v4, 0
	;; [unrolled: 1-line block ×4, first 2 shown]
	s_and_saveexec_b32 s7, s0
	s_cbranch_execz .LBB278_11
; %bb.8:                                ;   in Loop: Header=BB278_7 Depth=1
	v_mov_b32_e32 v4, 0
	v_mov_b32_e32 v2, 0
	v_add_nc_u32_e32 v10, s2, v29
	v_mov_b32_e32 v5, 0
	v_mov_b32_e32 v3, 0
	s_mov_b32 s10, exec_lo
	v_cmpx_gt_u64_e64 s[12:13], v[10:11]
	s_cbranch_execz .LBB278_10
; %bb.9:                                ;   in Loop: Header=BB278_7 Depth=1
	v_lshlrev_b64 v[2:3], 4, v[10:11]
	v_add_co_u32 v2, vcc_lo, v31, v2
	v_add_co_ci_u32_e64 v3, null, v32, v3, vcc_lo
	global_load_dwordx4 v[2:5], v[2:3], off
	s_waitcnt vmcnt(0)
	v_xor_b32_e32 v5, 0x80000000, v5
.LBB278_10:                             ;   in Loop: Header=BB278_7 Depth=1
	s_or_b32 exec_lo, exec_lo, s10
.LBB278_11:                             ;   in Loop: Header=BB278_7 Depth=1
	s_or_b32 exec_lo, exec_lo, s7
	v_add_nc_u32_e32 v10, s2, v28
	v_mov_b32_e32 v6, 0
	v_mov_b32_e32 v8, 0
	;; [unrolled: 1-line block ×4, first 2 shown]
	v_cmp_gt_u64_e32 vcc_lo, s[12:13], v[10:11]
	ds_write_b128 v30, v[2:5]
	s_and_b32 s10, vcc_lo, s1
	s_and_saveexec_b32 s7, s10
	s_cbranch_execz .LBB278_6
; %bb.12:                               ;   in Loop: Header=BB278_7 Depth=1
	v_mad_u64_u32 v[2:3], null, s26, v10, 0
	v_mad_u64_u32 v[3:4], null, s27, v10, v[3:4]
	v_lshlrev_b64 v[2:3], 4, v[2:3]
	v_add_co_u32 v2, vcc_lo, v34, v2
	v_add_co_ci_u32_e64 v3, null, v35, v3, vcc_lo
	global_load_dwordx4 v[6:9], v[2:3], off
	s_waitcnt vmcnt(0)
	v_xor_b32_e32 v9, 0x80000000, v9
	s_branch .LBB278_6
.LBB278_13:
	v_add_nc_u32_e32 v11, s6, v1
	v_cmp_neq_f64_e64 s6, s[38:39], 0
	s_waitcnt lgkmcnt(0)
	s_mul_i32 s1, s31, s8
	s_mul_hi_u32 s2, s30, s8
	s_mul_i32 s0, s30, s8
	v_ashrrev_i32_e32 v3, 31, v11
	v_mul_lo_u32 v5, s29, v11
	v_mad_u64_u32 v[1:2], null, s28, v11, 0
	s_add_i32 s1, s2, s1
	v_mul_lo_u32 v3, s28, v3
	v_add_nc_u32_e32 v4, s5, v0
	s_lshl_b64 s[2:3], s[0:1], 4
	v_cmp_gt_i32_e64 s0, s4, v11
	s_add_u32 s2, s42, s2
	s_addc_u32 s3, s43, s3
	s_xor_b32 s5, s9, -1
	v_cmp_le_i32_e32 vcc_lo, v4, v11
	v_add3_u32 v2, v2, v3, v5
	v_ashrrev_i32_e32 v5, 31, v4
	s_or_b32 s5, s6, s5
	v_lshlrev_b64 v[0:1], 4, v[1:2]
	v_cndmask_b32_e64 v10, 0, 1, s5
	s_and_b32 s6, s0, vcc_lo
	v_add_co_u32 v8, s1, s2, v0
	v_add_co_ci_u32_e64 v9, null, s3, v1, s1
	s_and_saveexec_b32 s1, s6
	s_cbranch_execz .LBB278_17
; %bb.14:
	v_mul_f64 v[0:1], s[16:17], v[26:27]
	v_mul_f64 v[2:3], s[14:15], v[26:27]
	v_lshlrev_b64 v[6:7], 4, v[4:5]
	v_add_co_u32 v6, vcc_lo, v8, v6
	v_add_co_ci_u32_e64 v7, null, v9, v7, vcc_lo
	s_andn2_b32 vcc_lo, exec_lo, s5
	v_fma_f64 v[0:1], s[14:15], v[24:25], -v[0:1]
	v_fma_f64 v[2:3], s[16:17], v[24:25], v[2:3]
	s_cbranch_vccnz .LBB278_16
; %bb.15:
	global_load_dwordx4 v[24:27], v[6:7], off
	s_waitcnt vmcnt(0)
	v_mul_f64 v[28:29], s[40:41], v[26:27]
	v_mul_f64 v[26:27], s[38:39], v[26:27]
	v_fma_f64 v[28:29], s[38:39], v[24:25], -v[28:29]
	v_fma_f64 v[24:25], s[40:41], v[24:25], v[26:27]
	v_add_f64 v[0:1], v[0:1], v[28:29]
	v_add_f64 v[2:3], v[2:3], v[24:25]
.LBB278_16:
	global_store_dwordx4 v[6:7], v[0:3], off
.LBB278_17:
	s_or_b32 exec_lo, exec_lo, s1
	v_add_nc_u32_e32 v6, 16, v4
	v_cmp_le_i32_e32 vcc_lo, v6, v11
	v_ashrrev_i32_e32 v7, 31, v6
	s_and_b32 s0, s0, vcc_lo
	s_and_saveexec_b32 s1, s0
	s_cbranch_execz .LBB278_21
; %bb.18:
	v_mul_f64 v[0:1], s[16:17], v[22:23]
	v_mul_f64 v[2:3], s[14:15], v[22:23]
	v_cmp_ne_u32_e32 vcc_lo, 1, v10
	s_and_b32 vcc_lo, exec_lo, vcc_lo
	v_fma_f64 v[0:1], s[14:15], v[20:21], -v[0:1]
	v_fma_f64 v[2:3], s[16:17], v[20:21], v[2:3]
	v_lshlrev_b64 v[20:21], 4, v[6:7]
	v_add_co_u32 v8, s0, v8, v20
	v_add_co_ci_u32_e64 v9, null, v9, v21, s0
	s_cbranch_vccnz .LBB278_20
; %bb.19:
	global_load_dwordx4 v[20:23], v[8:9], off
	s_waitcnt vmcnt(0)
	v_mul_f64 v[24:25], s[40:41], v[22:23]
	v_mul_f64 v[22:23], s[38:39], v[22:23]
	v_fma_f64 v[24:25], s[38:39], v[20:21], -v[24:25]
	v_fma_f64 v[20:21], s[40:41], v[20:21], v[22:23]
	v_add_f64 v[0:1], v[0:1], v[24:25]
	v_add_f64 v[2:3], v[2:3], v[20:21]
.LBB278_20:
	global_store_dwordx4 v[8:9], v[0:3], off
.LBB278_21:
	s_or_b32 exec_lo, exec_lo, s1
	v_add_nc_u32_e32 v11, 16, v11
	v_ashrrev_i32_e32 v2, 31, v11
	v_mul_lo_u32 v3, s29, v11
	v_mad_u64_u32 v[0:1], null, s28, v11, 0
	v_cmp_gt_i32_e64 s0, s4, v11
	v_mul_lo_u32 v2, s28, v2
	v_cmp_le_i32_e32 vcc_lo, v4, v11
	v_add3_u32 v1, v1, v2, v3
	v_lshlrev_b64 v[0:1], 4, v[0:1]
	v_add_co_u32 v8, s1, s2, v0
	v_add_co_ci_u32_e64 v9, null, s3, v1, s1
	s_and_b32 s1, s0, vcc_lo
	s_and_saveexec_b32 s2, s1
	s_cbranch_execz .LBB278_25
; %bb.22:
	v_mul_f64 v[0:1], s[16:17], v[18:19]
	v_mul_f64 v[2:3], s[14:15], v[18:19]
	v_lshlrev_b64 v[4:5], 4, v[4:5]
	v_cmp_ne_u32_e32 vcc_lo, 1, v10
	s_and_b32 vcc_lo, exec_lo, vcc_lo
	v_add_co_u32 v4, s1, v8, v4
	v_add_co_ci_u32_e64 v5, null, v9, v5, s1
	v_fma_f64 v[0:1], s[14:15], v[16:17], -v[0:1]
	v_fma_f64 v[2:3], s[16:17], v[16:17], v[2:3]
	s_cbranch_vccnz .LBB278_24
; %bb.23:
	global_load_dwordx4 v[16:19], v[4:5], off
	s_waitcnt vmcnt(0)
	v_mul_f64 v[20:21], s[40:41], v[18:19]
	v_mul_f64 v[18:19], s[38:39], v[18:19]
	v_fma_f64 v[20:21], s[38:39], v[16:17], -v[20:21]
	v_fma_f64 v[16:17], s[40:41], v[16:17], v[18:19]
	v_add_f64 v[0:1], v[0:1], v[20:21]
	v_add_f64 v[2:3], v[2:3], v[16:17]
.LBB278_24:
	global_store_dwordx4 v[4:5], v[0:3], off
.LBB278_25:
	s_or_b32 exec_lo, exec_lo, s2
	v_cmp_le_i32_e32 vcc_lo, v6, v11
	s_and_b32 s0, s0, vcc_lo
	s_and_saveexec_b32 s1, s0
	s_cbranch_execz .LBB278_30
; %bb.26:
	v_mul_f64 v[0:1], s[16:17], v[12:13]
	v_mul_f64 v[2:3], s[14:15], v[12:13]
	v_lshlrev_b64 v[4:5], 4, v[6:7]
	v_cmp_ne_u32_e32 vcc_lo, 1, v10
	s_and_b32 vcc_lo, exec_lo, vcc_lo
	v_add_co_u32 v4, s0, v8, v4
	v_add_co_ci_u32_e64 v5, null, v9, v5, s0
	v_fma_f64 v[0:1], s[14:15], v[14:15], -v[0:1]
	v_fma_f64 v[2:3], s[16:17], v[14:15], v[2:3]
	s_cbranch_vccnz .LBB278_28
; %bb.27:
	global_load_dwordx4 v[6:9], v[4:5], off
	s_waitcnt vmcnt(0)
	v_mul_f64 v[10:11], s[40:41], v[8:9]
	v_mul_f64 v[8:9], s[38:39], v[8:9]
	v_fma_f64 v[10:11], s[38:39], v[6:7], -v[10:11]
	v_fma_f64 v[6:7], s[40:41], v[6:7], v[8:9]
	v_add_f64 v[0:1], v[0:1], v[10:11]
	v_add_f64 v[2:3], v[2:3], v[6:7]
.LBB278_28:
	global_store_dwordx4 v[4:5], v[0:3], off
	s_endpgm
.LBB278_29:
.LBB278_30:
	s_endpgm
	.section	.rodata,"a",@progbits
	.p2align	6, 0x0
	.amdhsa_kernel _ZL29rocblas_internal_gemmt_kernelIlLi16ELi32ELi8ELc67ELc67ELc85ELb1ELb1E19rocblas_complex_numIdES1_PKS1_PS1_EviT_T9_T10_S5_lS7_S5_lS6_T11_S5_li
		.amdhsa_group_segment_fixed_size 8192
		.amdhsa_private_segment_fixed_size 0
		.amdhsa_kernarg_size 124
		.amdhsa_user_sgpr_count 6
		.amdhsa_user_sgpr_private_segment_buffer 1
		.amdhsa_user_sgpr_dispatch_ptr 0
		.amdhsa_user_sgpr_queue_ptr 0
		.amdhsa_user_sgpr_kernarg_segment_ptr 1
		.amdhsa_user_sgpr_dispatch_id 0
		.amdhsa_user_sgpr_flat_scratch_init 0
		.amdhsa_user_sgpr_private_segment_size 0
		.amdhsa_wavefront_size32 1
		.amdhsa_uses_dynamic_stack 0
		.amdhsa_system_sgpr_private_segment_wavefront_offset 0
		.amdhsa_system_sgpr_workgroup_id_x 1
		.amdhsa_system_sgpr_workgroup_id_y 1
		.amdhsa_system_sgpr_workgroup_id_z 1
		.amdhsa_system_sgpr_workgroup_info 0
		.amdhsa_system_vgpr_workitem_id 1
		.amdhsa_next_free_vgpr 118
		.amdhsa_next_free_sgpr 44
		.amdhsa_reserve_vcc 1
		.amdhsa_reserve_flat_scratch 0
		.amdhsa_float_round_mode_32 0
		.amdhsa_float_round_mode_16_64 0
		.amdhsa_float_denorm_mode_32 3
		.amdhsa_float_denorm_mode_16_64 3
		.amdhsa_dx10_clamp 1
		.amdhsa_ieee_mode 1
		.amdhsa_fp16_overflow 0
		.amdhsa_workgroup_processor_mode 1
		.amdhsa_memory_ordered 1
		.amdhsa_forward_progress 1
		.amdhsa_shared_vgpr_count 0
		.amdhsa_exception_fp_ieee_invalid_op 0
		.amdhsa_exception_fp_denorm_src 0
		.amdhsa_exception_fp_ieee_div_zero 0
		.amdhsa_exception_fp_ieee_overflow 0
		.amdhsa_exception_fp_ieee_underflow 0
		.amdhsa_exception_fp_ieee_inexact 0
		.amdhsa_exception_int_div_zero 0
	.end_amdhsa_kernel
	.section	.text._ZL29rocblas_internal_gemmt_kernelIlLi16ELi32ELi8ELc67ELc67ELc85ELb1ELb1E19rocblas_complex_numIdES1_PKS1_PS1_EviT_T9_T10_S5_lS7_S5_lS6_T11_S5_li,"axG",@progbits,_ZL29rocblas_internal_gemmt_kernelIlLi16ELi32ELi8ELc67ELc67ELc85ELb1ELb1E19rocblas_complex_numIdES1_PKS1_PS1_EviT_T9_T10_S5_lS7_S5_lS6_T11_S5_li,comdat
.Lfunc_end278:
	.size	_ZL29rocblas_internal_gemmt_kernelIlLi16ELi32ELi8ELc67ELc67ELc85ELb1ELb1E19rocblas_complex_numIdES1_PKS1_PS1_EviT_T9_T10_S5_lS7_S5_lS6_T11_S5_li, .Lfunc_end278-_ZL29rocblas_internal_gemmt_kernelIlLi16ELi32ELi8ELc67ELc67ELc85ELb1ELb1E19rocblas_complex_numIdES1_PKS1_PS1_EviT_T9_T10_S5_lS7_S5_lS6_T11_S5_li
                                        ; -- End function
	.set _ZL29rocblas_internal_gemmt_kernelIlLi16ELi32ELi8ELc67ELc67ELc85ELb1ELb1E19rocblas_complex_numIdES1_PKS1_PS1_EviT_T9_T10_S5_lS7_S5_lS6_T11_S5_li.num_vgpr, 118
	.set _ZL29rocblas_internal_gemmt_kernelIlLi16ELi32ELi8ELc67ELc67ELc85ELb1ELb1E19rocblas_complex_numIdES1_PKS1_PS1_EviT_T9_T10_S5_lS7_S5_lS6_T11_S5_li.num_agpr, 0
	.set _ZL29rocblas_internal_gemmt_kernelIlLi16ELi32ELi8ELc67ELc67ELc85ELb1ELb1E19rocblas_complex_numIdES1_PKS1_PS1_EviT_T9_T10_S5_lS7_S5_lS6_T11_S5_li.numbered_sgpr, 44
	.set _ZL29rocblas_internal_gemmt_kernelIlLi16ELi32ELi8ELc67ELc67ELc85ELb1ELb1E19rocblas_complex_numIdES1_PKS1_PS1_EviT_T9_T10_S5_lS7_S5_lS6_T11_S5_li.num_named_barrier, 0
	.set _ZL29rocblas_internal_gemmt_kernelIlLi16ELi32ELi8ELc67ELc67ELc85ELb1ELb1E19rocblas_complex_numIdES1_PKS1_PS1_EviT_T9_T10_S5_lS7_S5_lS6_T11_S5_li.private_seg_size, 0
	.set _ZL29rocblas_internal_gemmt_kernelIlLi16ELi32ELi8ELc67ELc67ELc85ELb1ELb1E19rocblas_complex_numIdES1_PKS1_PS1_EviT_T9_T10_S5_lS7_S5_lS6_T11_S5_li.uses_vcc, 1
	.set _ZL29rocblas_internal_gemmt_kernelIlLi16ELi32ELi8ELc67ELc67ELc85ELb1ELb1E19rocblas_complex_numIdES1_PKS1_PS1_EviT_T9_T10_S5_lS7_S5_lS6_T11_S5_li.uses_flat_scratch, 0
	.set _ZL29rocblas_internal_gemmt_kernelIlLi16ELi32ELi8ELc67ELc67ELc85ELb1ELb1E19rocblas_complex_numIdES1_PKS1_PS1_EviT_T9_T10_S5_lS7_S5_lS6_T11_S5_li.has_dyn_sized_stack, 0
	.set _ZL29rocblas_internal_gemmt_kernelIlLi16ELi32ELi8ELc67ELc67ELc85ELb1ELb1E19rocblas_complex_numIdES1_PKS1_PS1_EviT_T9_T10_S5_lS7_S5_lS6_T11_S5_li.has_recursion, 0
	.set _ZL29rocblas_internal_gemmt_kernelIlLi16ELi32ELi8ELc67ELc67ELc85ELb1ELb1E19rocblas_complex_numIdES1_PKS1_PS1_EviT_T9_T10_S5_lS7_S5_lS6_T11_S5_li.has_indirect_call, 0
	.section	.AMDGPU.csdata,"",@progbits
; Kernel info:
; codeLenInByte = 3544
; TotalNumSgprs: 46
; NumVgprs: 118
; ScratchSize: 0
; MemoryBound: 1
; FloatMode: 240
; IeeeMode: 1
; LDSByteSize: 8192 bytes/workgroup (compile time only)
; SGPRBlocks: 0
; VGPRBlocks: 14
; NumSGPRsForWavesPerEU: 46
; NumVGPRsForWavesPerEU: 118
; Occupancy: 8
; WaveLimiterHint : 0
; COMPUTE_PGM_RSRC2:SCRATCH_EN: 0
; COMPUTE_PGM_RSRC2:USER_SGPR: 6
; COMPUTE_PGM_RSRC2:TRAP_HANDLER: 0
; COMPUTE_PGM_RSRC2:TGID_X_EN: 1
; COMPUTE_PGM_RSRC2:TGID_Y_EN: 1
; COMPUTE_PGM_RSRC2:TGID_Z_EN: 1
; COMPUTE_PGM_RSRC2:TIDIG_COMP_CNT: 1
	.section	.text._ZL29rocblas_internal_gemmt_kernelIlLi16ELi32ELi8ELc78ELc78ELc76ELb0ELb0E19rocblas_complex_numIdES1_PKS1_PS1_EviT_T9_T10_S5_lS7_S5_lS6_T11_S5_li,"axG",@progbits,_ZL29rocblas_internal_gemmt_kernelIlLi16ELi32ELi8ELc78ELc78ELc76ELb0ELb0E19rocblas_complex_numIdES1_PKS1_PS1_EviT_T9_T10_S5_lS7_S5_lS6_T11_S5_li,comdat
	.globl	_ZL29rocblas_internal_gemmt_kernelIlLi16ELi32ELi8ELc78ELc78ELc76ELb0ELb0E19rocblas_complex_numIdES1_PKS1_PS1_EviT_T9_T10_S5_lS7_S5_lS6_T11_S5_li ; -- Begin function _ZL29rocblas_internal_gemmt_kernelIlLi16ELi32ELi8ELc78ELc78ELc76ELb0ELb0E19rocblas_complex_numIdES1_PKS1_PS1_EviT_T9_T10_S5_lS7_S5_lS6_T11_S5_li
	.p2align	8
	.type	_ZL29rocblas_internal_gemmt_kernelIlLi16ELi32ELi8ELc78ELc78ELc76ELb0ELb0E19rocblas_complex_numIdES1_PKS1_PS1_EviT_T9_T10_S5_lS7_S5_lS6_T11_S5_li,@function
_ZL29rocblas_internal_gemmt_kernelIlLi16ELi32ELi8ELc78ELc78ELc76ELb0ELb0E19rocblas_complex_numIdES1_PKS1_PS1_EviT_T9_T10_S5_lS7_S5_lS6_T11_S5_li: ; @_ZL29rocblas_internal_gemmt_kernelIlLi16ELi32ELi8ELc78ELc78ELc76ELb0ELb0E19rocblas_complex_numIdES1_PKS1_PS1_EviT_T9_T10_S5_lS7_S5_lS6_T11_S5_li
; %bb.0:
	s_clause 0x1
	s_load_dwordx8 s[36:43], s[4:5], 0x48
	s_load_dwordx16 s[12:27], s[4:5], 0x8
	s_waitcnt lgkmcnt(0)
	v_cmp_eq_f64_e64 s0, s[38:39], 1.0
	v_cmp_eq_f64_e64 s9, s[40:41], 0
	s_and_b32 s0, s0, s9
	s_andn2_b32 vcc_lo, exec_lo, s0
	s_mov_b32 s0, -1
	s_cbranch_vccnz .LBB279_3
; %bb.1:
	s_cmp_lg_u64 s[12:13], 0
	s_cbranch_scc0 .LBB279_33
; %bb.2:
	v_cmp_neq_f64_e64 s0, s[14:15], 0
	v_cmp_neq_f64_e64 s1, s[16:17], 0
	s_or_b32 s0, s0, s1
.LBB279_3:
	s_and_b32 vcc_lo, exec_lo, s0
	s_cbranch_vccz .LBB279_34
; %bb.4:
	v_cmp_eq_f64_e64 s0, s[14:15], 0
	v_cmp_eq_f64_e64 s1, s[16:17], 0
	s_clause 0x1
	s_load_dwordx4 s[28:31], s[4:5], 0x68
	s_load_dword s4, s[4:5], 0x0
	v_cmp_lt_i64_e64 s2, s[12:13], 1
	v_mov_b32_e32 v20, 0
	v_mov_b32_e32 v22, 0
	;; [unrolled: 1-line block ×16, first 2 shown]
	s_lshl_b32 s5, s6, 5
	s_lshl_b32 s6, s7, 5
	s_and_b32 s0, s0, s1
	s_or_b32 s0, s0, s2
	s_and_b32 vcc_lo, exec_lo, s0
	s_cbranch_vccnz .LBB279_17
; %bb.5:
	v_lshl_add_u32 v3, v1, 4, v0
	s_mul_i32 s1, s37, s8
	s_mul_hi_u32 s2, s36, s8
	s_mul_i32 s0, s36, s8
	s_add_i32 s1, s2, s1
	v_lshrrev_b32_e32 v8, 3, v3
	v_and_b32_e32 v6, 31, v3
	v_and_b32_e32 v24, 7, v0
	s_lshl_b64 s[0:1], s[0:1], 4
	v_lshrrev_b32_e32 v25, 5, v3
	v_add_nc_u32_e32 v9, s6, v8
	v_or_b32_e32 v2, s5, v6
	s_mul_i32 s3, s23, s8
	s_mul_hi_u32 s7, s22, s8
	s_add_u32 s10, s24, s0
	v_ashrrev_i32_e32 v4, 31, v9
	v_mul_lo_u32 v7, s27, v9
	v_ashrrev_i32_e32 v3, 31, v2
	s_mul_i32 s2, s22, s8
	s_addc_u32 s11, s25, s1
	v_mul_lo_u32 v10, s26, v4
	v_mad_u64_u32 v[4:5], null, s26, v9, 0
	s_add_i32 s3, s7, s3
	v_lshlrev_b32_e32 v12, 4, v24
	s_lshl_b64 s[0:1], s[2:3], 4
	v_lshlrev_b32_e32 v11, 4, v6
	s_add_u32 s2, s18, s0
	s_waitcnt lgkmcnt(0)
	v_cmp_gt_i32_e64 s0, s4, v2
	v_add3_u32 v5, v5, v10, v7
	v_lshlrev_b64 v[6:7], 4, v[2:3]
	v_cmp_le_i32_e64 s7, s4, v2
	v_lshl_or_b32 v8, v8, 7, v12
	s_addc_u32 s1, s19, s1
	v_lshlrev_b64 v[2:3], 4, v[4:5]
	v_lshl_or_b32 v26, v25, 9, v11
	v_add_co_u32 v27, vcc_lo, s2, v6
	v_add_co_ci_u32_e64 v28, null, s1, v7, vcc_lo
	v_cmp_gt_i32_e32 vcc_lo, s4, v9
	v_add_co_u32 v30, s1, s10, v2
	v_add_nc_u32_e32 v29, 0x1000, v8
	v_mov_b32_e32 v8, 0
	v_mov_b32_e32 v10, 0
	;; [unrolled: 1-line block ×8, first 2 shown]
	v_add_co_ci_u32_e64 v31, null, s11, v3, s1
	v_lshlrev_b32_e32 v32, 4, v0
	v_lshl_add_u32 v33, v1, 7, 0x1000
	v_mov_b32_e32 v9, 0
	v_mov_b32_e32 v11, 0
	;; [unrolled: 1-line block ×9, first 2 shown]
	s_mov_b64 s[2:3], 0
	s_xor_b32 s1, vcc_lo, -1
                                        ; implicit-def: $vgpr6_vgpr7
	s_branch .LBB279_7
.LBB279_6:                              ;   in Loop: Header=BB279_7 Depth=1
	s_or_b32 exec_lo, exec_lo, s10
	s_waitcnt lgkmcnt(0)
	s_barrier
	buffer_gl0_inv
	ds_read_b128 v[34:37], v33
	ds_read_b128 v[38:41], v33 offset:16
	ds_read_b128 v[42:45], v33 offset:32
	;; [unrolled: 1-line block ×3, first 2 shown]
	ds_read_b128 v[50:53], v32
	s_add_u32 s2, s2, 8
	s_addc_u32 s3, s3, 0
	v_cmp_gt_i64_e64 s10, s[12:13], s[2:3]
	s_and_b32 vcc_lo, exec_lo, s10
	s_waitcnt lgkmcnt(0)
	v_mul_f64 v[4:5], v[36:37], v[52:53]
	v_mul_f64 v[54:55], v[34:35], v[52:53]
	v_fma_f64 v[4:5], v[34:35], v[50:51], -v[4:5]
	v_fma_f64 v[54:55], v[36:37], v[50:51], v[54:55]
	v_add_f64 v[4:5], v[20:21], v[4:5]
	v_add_f64 v[54:55], v[54:55], v[22:23]
	ds_read_b128 v[20:23], v32 offset:256
	s_waitcnt lgkmcnt(0)
	v_mul_f64 v[56:57], v[36:37], v[22:23]
	v_fma_f64 v[56:57], v[34:35], v[20:21], -v[56:57]
	v_mul_f64 v[34:35], v[34:35], v[22:23]
	v_fma_f64 v[34:35], v[36:37], v[20:21], v[34:35]
	v_add_f64 v[36:37], v[16:17], v[56:57]
	v_add_f64 v[34:35], v[34:35], v[18:19]
	ds_read_b128 v[16:19], v33 offset:2048
	s_waitcnt lgkmcnt(0)
	v_mul_f64 v[56:57], v[18:19], v[52:53]
	v_mul_f64 v[52:53], v[16:17], v[52:53]
	v_fma_f64 v[56:57], v[16:17], v[50:51], -v[56:57]
	v_fma_f64 v[50:51], v[18:19], v[50:51], v[52:53]
	v_add_f64 v[52:53], v[12:13], v[56:57]
	v_add_f64 v[50:51], v[50:51], v[14:15]
	v_mul_f64 v[12:13], v[18:19], v[22:23]
	v_mul_f64 v[14:15], v[16:17], v[22:23]
	v_fma_f64 v[12:13], v[16:17], v[20:21], -v[12:13]
	v_fma_f64 v[14:15], v[18:19], v[20:21], v[14:15]
	v_add_f64 v[20:21], v[10:11], v[12:13]
	v_add_f64 v[22:23], v[14:15], v[8:9]
	ds_read_b128 v[8:11], v32 offset:512
	s_waitcnt lgkmcnt(0)
	v_mul_f64 v[12:13], v[40:41], v[10:11]
	v_mul_f64 v[14:15], v[38:39], v[10:11]
	v_fma_f64 v[12:13], v[38:39], v[8:9], -v[12:13]
	v_fma_f64 v[14:15], v[40:41], v[8:9], v[14:15]
	v_add_f64 v[4:5], v[4:5], v[12:13]
	v_add_f64 v[54:55], v[14:15], v[54:55]
	ds_read_b128 v[12:15], v32 offset:768
	s_waitcnt lgkmcnt(0)
	v_mul_f64 v[16:17], v[40:41], v[14:15]
	v_mul_f64 v[18:19], v[38:39], v[14:15]
	v_fma_f64 v[16:17], v[38:39], v[12:13], -v[16:17]
	v_fma_f64 v[18:19], v[40:41], v[12:13], v[18:19]
	v_add_f64 v[36:37], v[36:37], v[16:17]
	v_add_f64 v[34:35], v[18:19], v[34:35]
	ds_read_b128 v[16:19], v33 offset:2064
	s_waitcnt lgkmcnt(0)
	v_mul_f64 v[38:39], v[18:19], v[10:11]
	v_mul_f64 v[10:11], v[16:17], v[10:11]
	v_fma_f64 v[38:39], v[16:17], v[8:9], -v[38:39]
	v_fma_f64 v[8:9], v[18:19], v[8:9], v[10:11]
	v_mul_f64 v[10:11], v[16:17], v[14:15]
	v_add_f64 v[38:39], v[52:53], v[38:39]
	v_add_f64 v[40:41], v[8:9], v[50:51]
	v_mul_f64 v[8:9], v[18:19], v[14:15]
	v_fma_f64 v[10:11], v[18:19], v[12:13], v[10:11]
	v_fma_f64 v[8:9], v[16:17], v[12:13], -v[8:9]
	v_add_f64 v[22:23], v[10:11], v[22:23]
	v_add_f64 v[20:21], v[20:21], v[8:9]
	ds_read_b128 v[8:11], v32 offset:1024
	s_waitcnt lgkmcnt(0)
	v_mul_f64 v[12:13], v[44:45], v[10:11]
	v_mul_f64 v[14:15], v[42:43], v[10:11]
	v_fma_f64 v[12:13], v[42:43], v[8:9], -v[12:13]
	v_fma_f64 v[14:15], v[44:45], v[8:9], v[14:15]
	v_add_f64 v[4:5], v[4:5], v[12:13]
	v_add_f64 v[50:51], v[14:15], v[54:55]
	ds_read_b128 v[12:15], v32 offset:1280
	s_waitcnt lgkmcnt(0)
	v_mul_f64 v[16:17], v[44:45], v[14:15]
	v_mul_f64 v[18:19], v[42:43], v[14:15]
	v_fma_f64 v[16:17], v[42:43], v[12:13], -v[16:17]
	v_fma_f64 v[18:19], v[44:45], v[12:13], v[18:19]
	;; [unrolled: 8-line block ×3, first 2 shown]
	v_mul_f64 v[10:11], v[16:17], v[14:15]
	v_add_f64 v[38:39], v[38:39], v[42:43]
	v_add_f64 v[40:41], v[8:9], v[40:41]
	v_mul_f64 v[8:9], v[18:19], v[14:15]
	v_fma_f64 v[10:11], v[18:19], v[12:13], v[10:11]
	v_fma_f64 v[8:9], v[16:17], v[12:13], -v[8:9]
	v_add_f64 v[22:23], v[10:11], v[22:23]
	v_add_f64 v[20:21], v[20:21], v[8:9]
	ds_read_b128 v[8:11], v32 offset:1536
	s_waitcnt lgkmcnt(0)
	v_mul_f64 v[12:13], v[48:49], v[10:11]
	v_mul_f64 v[14:15], v[46:47], v[10:11]
	v_fma_f64 v[12:13], v[46:47], v[8:9], -v[12:13]
	v_fma_f64 v[14:15], v[48:49], v[8:9], v[14:15]
	v_add_f64 v[4:5], v[4:5], v[12:13]
	v_add_f64 v[42:43], v[14:15], v[50:51]
	ds_read_b128 v[12:15], v32 offset:1792
	s_waitcnt lgkmcnt(0)
	v_mul_f64 v[16:17], v[48:49], v[14:15]
	v_mul_f64 v[18:19], v[46:47], v[14:15]
	v_fma_f64 v[16:17], v[46:47], v[12:13], -v[16:17]
	v_fma_f64 v[18:19], v[48:49], v[12:13], v[18:19]
	;; [unrolled: 8-line block ×3, first 2 shown]
	v_mul_f64 v[10:11], v[16:17], v[14:15]
	v_add_f64 v[38:39], v[38:39], v[44:45]
	v_add_f64 v[40:41], v[8:9], v[40:41]
	v_mul_f64 v[8:9], v[18:19], v[14:15]
	v_fma_f64 v[10:11], v[18:19], v[12:13], v[10:11]
	v_fma_f64 v[8:9], v[16:17], v[12:13], -v[8:9]
	v_add_f64 v[22:23], v[10:11], v[22:23]
	v_add_f64 v[20:21], v[20:21], v[8:9]
	ds_read_b128 v[8:11], v33 offset:64
	ds_read_b128 v[12:15], v32 offset:2048
	s_waitcnt lgkmcnt(0)
	v_mul_f64 v[16:17], v[10:11], v[14:15]
	v_mul_f64 v[18:19], v[8:9], v[14:15]
	v_fma_f64 v[16:17], v[8:9], v[12:13], -v[16:17]
	v_fma_f64 v[18:19], v[10:11], v[12:13], v[18:19]
	v_add_f64 v[4:5], v[4:5], v[16:17]
	v_add_f64 v[42:43], v[18:19], v[42:43]
	ds_read_b128 v[16:19], v32 offset:2304
	s_waitcnt lgkmcnt(0)
	v_mul_f64 v[44:45], v[10:11], v[18:19]
	v_fma_f64 v[44:45], v[8:9], v[16:17], -v[44:45]
	v_mul_f64 v[8:9], v[8:9], v[18:19]
	v_add_f64 v[36:37], v[36:37], v[44:45]
	v_fma_f64 v[8:9], v[10:11], v[16:17], v[8:9]
	v_add_f64 v[34:35], v[8:9], v[34:35]
	ds_read_b128 v[8:11], v33 offset:2112
	s_waitcnt lgkmcnt(0)
	v_mul_f64 v[44:45], v[10:11], v[14:15]
	v_mul_f64 v[14:15], v[8:9], v[14:15]
	v_fma_f64 v[44:45], v[8:9], v[12:13], -v[44:45]
	v_fma_f64 v[12:13], v[10:11], v[12:13], v[14:15]
	v_add_f64 v[38:39], v[38:39], v[44:45]
	v_add_f64 v[40:41], v[12:13], v[40:41]
	v_mul_f64 v[12:13], v[10:11], v[18:19]
	v_fma_f64 v[12:13], v[8:9], v[16:17], -v[12:13]
	v_mul_f64 v[8:9], v[8:9], v[18:19]
	v_add_f64 v[20:21], v[20:21], v[12:13]
	v_fma_f64 v[8:9], v[10:11], v[16:17], v[8:9]
	v_add_f64 v[22:23], v[8:9], v[22:23]
	ds_read_b128 v[8:11], v33 offset:80
	ds_read_b128 v[12:15], v32 offset:2560
	s_waitcnt lgkmcnt(0)
	v_mul_f64 v[16:17], v[10:11], v[14:15]
	v_mul_f64 v[18:19], v[8:9], v[14:15]
	v_fma_f64 v[16:17], v[8:9], v[12:13], -v[16:17]
	v_fma_f64 v[18:19], v[10:11], v[12:13], v[18:19]
	v_add_f64 v[4:5], v[4:5], v[16:17]
	v_add_f64 v[42:43], v[18:19], v[42:43]
	ds_read_b128 v[16:19], v32 offset:2816
	s_waitcnt lgkmcnt(0)
	v_mul_f64 v[44:45], v[10:11], v[18:19]
	v_fma_f64 v[44:45], v[8:9], v[16:17], -v[44:45]
	v_mul_f64 v[8:9], v[8:9], v[18:19]
	v_add_f64 v[36:37], v[36:37], v[44:45]
	v_fma_f64 v[8:9], v[10:11], v[16:17], v[8:9]
	v_add_f64 v[34:35], v[8:9], v[34:35]
	ds_read_b128 v[8:11], v33 offset:2128
	s_waitcnt lgkmcnt(0)
	v_mul_f64 v[44:45], v[10:11], v[14:15]
	v_mul_f64 v[14:15], v[8:9], v[14:15]
	v_fma_f64 v[44:45], v[8:9], v[12:13], -v[44:45]
	v_fma_f64 v[12:13], v[10:11], v[12:13], v[14:15]
	v_add_f64 v[38:39], v[38:39], v[44:45]
	v_add_f64 v[40:41], v[12:13], v[40:41]
	v_mul_f64 v[12:13], v[10:11], v[18:19]
	v_fma_f64 v[12:13], v[8:9], v[16:17], -v[12:13]
	v_mul_f64 v[8:9], v[8:9], v[18:19]
	v_add_f64 v[20:21], v[20:21], v[12:13]
	v_fma_f64 v[8:9], v[10:11], v[16:17], v[8:9]
	;; [unrolled: 31-line block ×3, first 2 shown]
	v_add_f64 v[50:51], v[8:9], v[22:23]
	ds_read_b128 v[8:11], v33 offset:112
	ds_read_b128 v[12:15], v32 offset:3584
	;; [unrolled: 1-line block ×3, first 2 shown]
	s_waitcnt lgkmcnt(1)
	v_mul_f64 v[16:17], v[10:11], v[14:15]
	v_mul_f64 v[18:19], v[8:9], v[14:15]
	v_fma_f64 v[16:17], v[8:9], v[12:13], -v[16:17]
	v_fma_f64 v[18:19], v[10:11], v[12:13], v[18:19]
	v_add_f64 v[20:21], v[4:5], v[16:17]
	s_waitcnt lgkmcnt(0)
	v_mul_f64 v[4:5], v[10:11], v[36:37]
	v_add_f64 v[22:23], v[18:19], v[42:43]
	v_fma_f64 v[4:5], v[8:9], v[34:35], -v[4:5]
	v_mul_f64 v[8:9], v[8:9], v[36:37]
	v_add_f64 v[16:17], v[44:45], v[4:5]
	v_fma_f64 v[8:9], v[10:11], v[34:35], v[8:9]
	v_add_f64 v[18:19], v[8:9], v[46:47]
	ds_read_b128 v[8:11], v33 offset:2160
	s_waitcnt lgkmcnt(0)
	s_barrier
	buffer_gl0_inv
	v_mul_f64 v[4:5], v[10:11], v[14:15]
	v_mul_f64 v[14:15], v[8:9], v[14:15]
	v_fma_f64 v[4:5], v[8:9], v[12:13], -v[4:5]
	v_fma_f64 v[14:15], v[10:11], v[12:13], v[14:15]
	v_add_f64 v[12:13], v[38:39], v[4:5]
	v_mul_f64 v[4:5], v[10:11], v[36:37]
	v_add_f64 v[14:15], v[14:15], v[40:41]
	v_fma_f64 v[4:5], v[8:9], v[34:35], -v[4:5]
	v_mul_f64 v[8:9], v[8:9], v[36:37]
	v_fma_f64 v[8:9], v[10:11], v[34:35], v[8:9]
	v_add_f64 v[10:11], v[48:49], v[4:5]
	v_add_f64 v[8:9], v[8:9], v[50:51]
	s_cbranch_vccz .LBB279_17
.LBB279_7:                              ; =>This Inner Loop Header: Depth=1
	s_mov_b32 s18, s7
	s_mov_b32 s10, 0
	s_and_saveexec_b32 s11, s0
	s_cbranch_execnz .LBB279_15
; %bb.8:                                ;   in Loop: Header=BB279_7 Depth=1
	s_or_b32 exec_lo, exec_lo, s11
	s_and_saveexec_b32 s11, s18
	s_xor_b32 s11, exec_lo, s11
	s_cbranch_execnz .LBB279_16
.LBB279_9:                              ;   in Loop: Header=BB279_7 Depth=1
	s_or_b32 exec_lo, exec_lo, s11
	s_and_saveexec_b32 s11, s10
	s_cbranch_execz .LBB279_11
.LBB279_10:                             ;   in Loop: Header=BB279_7 Depth=1
	v_mul_lo_u32 v2, s21, v6
	v_mul_lo_u32 v34, s20, v7
	v_mad_u64_u32 v[4:5], null, s20, v6, 0
	v_add3_u32 v5, v5, v34, v2
	v_lshlrev_b64 v[4:5], 4, v[4:5]
	v_add_co_u32 v4, vcc_lo, v27, v4
	v_add_co_ci_u32_e64 v5, null, v28, v5, vcc_lo
	global_load_dwordx4 v[34:37], v[4:5], off
	s_waitcnt vmcnt(0)
	ds_write2_b64 v26, v[34:35], v[36:37] offset1:1
.LBB279_11:                             ;   in Loop: Header=BB279_7 Depth=1
	s_or_b32 exec_lo, exec_lo, s11
	v_add_nc_u32_e32 v2, s2, v24
	v_cmp_le_u64_e32 vcc_lo, s[12:13], v[2:3]
	s_or_b32 s10, vcc_lo, s1
	s_and_saveexec_b32 s11, s10
	s_xor_b32 s10, exec_lo, s11
	s_cbranch_execz .LBB279_13
; %bb.12:                               ;   in Loop: Header=BB279_7 Depth=1
	v_mov_b32_e32 v2, v3
	v_mov_b32_e32 v4, v3
	;; [unrolled: 1-line block ×3, first 2 shown]
	ds_write_b128 v29, v[2:5]
.LBB279_13:                             ;   in Loop: Header=BB279_7 Depth=1
	s_andn2_saveexec_b32 s10, s10
	s_cbranch_execz .LBB279_6
; %bb.14:                               ;   in Loop: Header=BB279_7 Depth=1
	v_lshlrev_b64 v[4:5], 4, v[2:3]
	v_add_co_u32 v4, vcc_lo, v30, v4
	v_add_co_ci_u32_e64 v5, null, v31, v5, vcc_lo
	global_load_dwordx4 v[34:37], v[4:5], off
	s_waitcnt vmcnt(0)
	ds_write2_b64 v29, v[34:35], v[36:37] offset1:1
	s_branch .LBB279_6
.LBB279_15:                             ;   in Loop: Header=BB279_7 Depth=1
	v_add_nc_u32_e32 v2, s2, v25
	v_mov_b32_e32 v7, v3
	s_andn2_b32 s18, s7, exec_lo
	s_mov_b32 s10, exec_lo
	v_cmp_le_u64_e32 vcc_lo, s[12:13], v[2:3]
	v_mov_b32_e32 v6, v2
	s_and_b32 s19, vcc_lo, exec_lo
	s_or_b32 s18, s18, s19
	s_or_b32 exec_lo, exec_lo, s11
	s_and_saveexec_b32 s11, s18
	s_xor_b32 s11, exec_lo, s11
	s_cbranch_execz .LBB279_9
.LBB279_16:                             ;   in Loop: Header=BB279_7 Depth=1
	v_mov_b32_e32 v2, v3
	v_mov_b32_e32 v4, v3
	;; [unrolled: 1-line block ×3, first 2 shown]
	s_andn2_b32 s10, s10, exec_lo
	ds_write_b128 v26, v[2:5]
	s_or_b32 exec_lo, exec_lo, s11
	s_and_saveexec_b32 s11, s10
	s_cbranch_execnz .LBB279_10
	s_branch .LBB279_11
.LBB279_17:
	v_add_nc_u32_e32 v25, s6, v1
	v_cmp_neq_f64_e64 s2, s[38:39], 0
	s_waitcnt lgkmcnt(0)
	s_mul_i32 s1, s31, s8
	s_mul_hi_u32 s3, s30, s8
	s_mul_i32 s0, s30, s8
	v_ashrrev_i32_e32 v3, 31, v25
	v_mul_lo_u32 v5, s29, v25
	v_mad_u64_u32 v[1:2], null, s28, v25, 0
	s_add_i32 s1, s3, s1
	v_mul_lo_u32 v3, s28, v3
	v_add_nc_u32_e32 v4, s5, v0
	s_lshl_b64 s[6:7], s[0:1], 4
	s_add_u32 s3, s42, s6
	s_addc_u32 s5, s43, s7
	s_xor_b32 s6, s9, -1
	v_cmp_le_i32_e32 vcc_lo, v25, v4
	v_add3_u32 v2, v2, v3, v5
	v_cmp_gt_i32_e64 s0, s4, v4
	v_ashrrev_i32_e32 v5, 31, v4
	s_or_b32 s2, s2, s6
	v_lshlrev_b64 v[0:1], 4, v[1:2]
	v_cndmask_b32_e64 v24, 0, 1, s2
	s_and_b32 s6, vcc_lo, s0
	v_add_co_u32 v26, s1, s3, v0
	v_add_co_ci_u32_e64 v27, null, s5, v1, s1
	s_and_saveexec_b32 s1, s6
	s_cbranch_execz .LBB279_21
; %bb.18:
	v_mul_f64 v[0:1], s[16:17], v[22:23]
	v_mul_f64 v[2:3], s[14:15], v[22:23]
	v_lshlrev_b64 v[6:7], 4, v[4:5]
	v_add_co_u32 v6, vcc_lo, v26, v6
	v_add_co_ci_u32_e64 v7, null, v27, v7, vcc_lo
	s_andn2_b32 vcc_lo, exec_lo, s2
	v_fma_f64 v[0:1], s[14:15], v[20:21], -v[0:1]
	v_fma_f64 v[2:3], s[16:17], v[20:21], v[2:3]
	s_cbranch_vccnz .LBB279_20
; %bb.19:
	global_load_dwordx4 v[20:23], v[6:7], off
	s_waitcnt vmcnt(0)
	v_mul_f64 v[28:29], s[40:41], v[22:23]
	v_mul_f64 v[22:23], s[38:39], v[22:23]
	v_fma_f64 v[28:29], s[38:39], v[20:21], -v[28:29]
	v_fma_f64 v[20:21], s[40:41], v[20:21], v[22:23]
	v_add_f64 v[0:1], v[0:1], v[28:29]
	v_add_f64 v[2:3], v[2:3], v[20:21]
.LBB279_20:
	global_store_dwordx4 v[6:7], v[0:3], off
.LBB279_21:
	s_or_b32 exec_lo, exec_lo, s1
	v_add_nc_u32_e32 v6, 16, v4
	v_cmp_le_i32_e32 vcc_lo, v25, v6
	v_cmp_gt_i32_e64 s1, s4, v6
	v_ashrrev_i32_e32 v7, 31, v6
	s_and_b32 s2, vcc_lo, s1
	s_and_saveexec_b32 s4, s2
	s_cbranch_execz .LBB279_25
; %bb.22:
	v_mul_f64 v[0:1], s[16:17], v[18:19]
	v_mul_f64 v[2:3], s[14:15], v[18:19]
	v_cmp_ne_u32_e32 vcc_lo, 1, v24
	s_and_b32 vcc_lo, exec_lo, vcc_lo
	v_fma_f64 v[0:1], s[14:15], v[16:17], -v[0:1]
	v_fma_f64 v[2:3], s[16:17], v[16:17], v[2:3]
	v_lshlrev_b64 v[16:17], 4, v[6:7]
	v_add_co_u32 v16, s2, v26, v16
	v_add_co_ci_u32_e64 v17, null, v27, v17, s2
	s_cbranch_vccnz .LBB279_24
; %bb.23:
	global_load_dwordx4 v[18:21], v[16:17], off
	s_waitcnt vmcnt(0)
	v_mul_f64 v[22:23], s[40:41], v[20:21]
	v_mul_f64 v[20:21], s[38:39], v[20:21]
	v_fma_f64 v[22:23], s[38:39], v[18:19], -v[22:23]
	v_fma_f64 v[18:19], s[40:41], v[18:19], v[20:21]
	v_add_f64 v[0:1], v[0:1], v[22:23]
	v_add_f64 v[2:3], v[2:3], v[18:19]
.LBB279_24:
	global_store_dwordx4 v[16:17], v[0:3], off
.LBB279_25:
	s_or_b32 exec_lo, exec_lo, s4
	v_add_nc_u32_e32 v18, 16, v25
	v_ashrrev_i32_e32 v2, 31, v18
	v_mul_lo_u32 v3, s29, v18
	v_mad_u64_u32 v[0:1], null, s28, v18, 0
	v_cmp_le_i32_e32 vcc_lo, v18, v4
	v_mul_lo_u32 v2, s28, v2
	s_and_b32 s0, vcc_lo, s0
	v_add3_u32 v1, v1, v2, v3
	v_lshlrev_b64 v[0:1], 4, v[0:1]
	v_add_co_u32 v16, s2, s3, v0
	v_add_co_ci_u32_e64 v17, null, s5, v1, s2
	s_and_saveexec_b32 s2, s0
	s_cbranch_execz .LBB279_29
; %bb.26:
	v_mul_f64 v[0:1], s[16:17], v[14:15]
	v_mul_f64 v[2:3], s[14:15], v[14:15]
	v_lshlrev_b64 v[4:5], 4, v[4:5]
	v_cmp_ne_u32_e32 vcc_lo, 1, v24
	s_and_b32 vcc_lo, exec_lo, vcc_lo
	v_add_co_u32 v4, s0, v16, v4
	v_add_co_ci_u32_e64 v5, null, v17, v5, s0
	v_fma_f64 v[0:1], s[14:15], v[12:13], -v[0:1]
	v_fma_f64 v[2:3], s[16:17], v[12:13], v[2:3]
	s_cbranch_vccnz .LBB279_28
; %bb.27:
	global_load_dwordx4 v[12:15], v[4:5], off
	s_waitcnt vmcnt(0)
	v_mul_f64 v[19:20], s[40:41], v[14:15]
	v_mul_f64 v[14:15], s[38:39], v[14:15]
	v_fma_f64 v[19:20], s[38:39], v[12:13], -v[19:20]
	v_fma_f64 v[12:13], s[40:41], v[12:13], v[14:15]
	v_add_f64 v[0:1], v[0:1], v[19:20]
	v_add_f64 v[2:3], v[2:3], v[12:13]
.LBB279_28:
	global_store_dwordx4 v[4:5], v[0:3], off
.LBB279_29:
	s_or_b32 exec_lo, exec_lo, s2
	v_cmp_le_i32_e32 vcc_lo, v18, v6
	s_and_b32 s0, vcc_lo, s1
	s_and_saveexec_b32 s1, s0
	s_cbranch_execz .LBB279_34
; %bb.30:
	v_mul_f64 v[0:1], s[16:17], v[8:9]
	v_mul_f64 v[2:3], s[14:15], v[8:9]
	v_lshlrev_b64 v[4:5], 4, v[6:7]
	v_cmp_ne_u32_e32 vcc_lo, 1, v24
	s_and_b32 vcc_lo, exec_lo, vcc_lo
	v_add_co_u32 v4, s0, v16, v4
	v_add_co_ci_u32_e64 v5, null, v17, v5, s0
	v_fma_f64 v[0:1], s[14:15], v[10:11], -v[0:1]
	v_fma_f64 v[2:3], s[16:17], v[10:11], v[2:3]
	s_cbranch_vccnz .LBB279_32
; %bb.31:
	global_load_dwordx4 v[6:9], v[4:5], off
	s_waitcnt vmcnt(0)
	v_mul_f64 v[10:11], s[40:41], v[8:9]
	v_mul_f64 v[8:9], s[38:39], v[8:9]
	v_fma_f64 v[10:11], s[38:39], v[6:7], -v[10:11]
	v_fma_f64 v[6:7], s[40:41], v[6:7], v[8:9]
	v_add_f64 v[0:1], v[0:1], v[10:11]
	v_add_f64 v[2:3], v[2:3], v[6:7]
.LBB279_32:
	global_store_dwordx4 v[4:5], v[0:3], off
	s_endpgm
.LBB279_33:
.LBB279_34:
	s_endpgm
	.section	.rodata,"a",@progbits
	.p2align	6, 0x0
	.amdhsa_kernel _ZL29rocblas_internal_gemmt_kernelIlLi16ELi32ELi8ELc78ELc78ELc76ELb0ELb0E19rocblas_complex_numIdES1_PKS1_PS1_EviT_T9_T10_S5_lS7_S5_lS6_T11_S5_li
		.amdhsa_group_segment_fixed_size 8192
		.amdhsa_private_segment_fixed_size 0
		.amdhsa_kernarg_size 124
		.amdhsa_user_sgpr_count 6
		.amdhsa_user_sgpr_private_segment_buffer 1
		.amdhsa_user_sgpr_dispatch_ptr 0
		.amdhsa_user_sgpr_queue_ptr 0
		.amdhsa_user_sgpr_kernarg_segment_ptr 1
		.amdhsa_user_sgpr_dispatch_id 0
		.amdhsa_user_sgpr_flat_scratch_init 0
		.amdhsa_user_sgpr_private_segment_size 0
		.amdhsa_wavefront_size32 1
		.amdhsa_uses_dynamic_stack 0
		.amdhsa_system_sgpr_private_segment_wavefront_offset 0
		.amdhsa_system_sgpr_workgroup_id_x 1
		.amdhsa_system_sgpr_workgroup_id_y 1
		.amdhsa_system_sgpr_workgroup_id_z 1
		.amdhsa_system_sgpr_workgroup_info 0
		.amdhsa_system_vgpr_workitem_id 1
		.amdhsa_next_free_vgpr 58
		.amdhsa_next_free_sgpr 44
		.amdhsa_reserve_vcc 1
		.amdhsa_reserve_flat_scratch 0
		.amdhsa_float_round_mode_32 0
		.amdhsa_float_round_mode_16_64 0
		.amdhsa_float_denorm_mode_32 3
		.amdhsa_float_denorm_mode_16_64 3
		.amdhsa_dx10_clamp 1
		.amdhsa_ieee_mode 1
		.amdhsa_fp16_overflow 0
		.amdhsa_workgroup_processor_mode 1
		.amdhsa_memory_ordered 1
		.amdhsa_forward_progress 1
		.amdhsa_shared_vgpr_count 0
		.amdhsa_exception_fp_ieee_invalid_op 0
		.amdhsa_exception_fp_denorm_src 0
		.amdhsa_exception_fp_ieee_div_zero 0
		.amdhsa_exception_fp_ieee_overflow 0
		.amdhsa_exception_fp_ieee_underflow 0
		.amdhsa_exception_fp_ieee_inexact 0
		.amdhsa_exception_int_div_zero 0
	.end_amdhsa_kernel
	.section	.text._ZL29rocblas_internal_gemmt_kernelIlLi16ELi32ELi8ELc78ELc78ELc76ELb0ELb0E19rocblas_complex_numIdES1_PKS1_PS1_EviT_T9_T10_S5_lS7_S5_lS6_T11_S5_li,"axG",@progbits,_ZL29rocblas_internal_gemmt_kernelIlLi16ELi32ELi8ELc78ELc78ELc76ELb0ELb0E19rocblas_complex_numIdES1_PKS1_PS1_EviT_T9_T10_S5_lS7_S5_lS6_T11_S5_li,comdat
.Lfunc_end279:
	.size	_ZL29rocblas_internal_gemmt_kernelIlLi16ELi32ELi8ELc78ELc78ELc76ELb0ELb0E19rocblas_complex_numIdES1_PKS1_PS1_EviT_T9_T10_S5_lS7_S5_lS6_T11_S5_li, .Lfunc_end279-_ZL29rocblas_internal_gemmt_kernelIlLi16ELi32ELi8ELc78ELc78ELc76ELb0ELb0E19rocblas_complex_numIdES1_PKS1_PS1_EviT_T9_T10_S5_lS7_S5_lS6_T11_S5_li
                                        ; -- End function
	.set _ZL29rocblas_internal_gemmt_kernelIlLi16ELi32ELi8ELc78ELc78ELc76ELb0ELb0E19rocblas_complex_numIdES1_PKS1_PS1_EviT_T9_T10_S5_lS7_S5_lS6_T11_S5_li.num_vgpr, 58
	.set _ZL29rocblas_internal_gemmt_kernelIlLi16ELi32ELi8ELc78ELc78ELc76ELb0ELb0E19rocblas_complex_numIdES1_PKS1_PS1_EviT_T9_T10_S5_lS7_S5_lS6_T11_S5_li.num_agpr, 0
	.set _ZL29rocblas_internal_gemmt_kernelIlLi16ELi32ELi8ELc78ELc78ELc76ELb0ELb0E19rocblas_complex_numIdES1_PKS1_PS1_EviT_T9_T10_S5_lS7_S5_lS6_T11_S5_li.numbered_sgpr, 44
	.set _ZL29rocblas_internal_gemmt_kernelIlLi16ELi32ELi8ELc78ELc78ELc76ELb0ELb0E19rocblas_complex_numIdES1_PKS1_PS1_EviT_T9_T10_S5_lS7_S5_lS6_T11_S5_li.num_named_barrier, 0
	.set _ZL29rocblas_internal_gemmt_kernelIlLi16ELi32ELi8ELc78ELc78ELc76ELb0ELb0E19rocblas_complex_numIdES1_PKS1_PS1_EviT_T9_T10_S5_lS7_S5_lS6_T11_S5_li.private_seg_size, 0
	.set _ZL29rocblas_internal_gemmt_kernelIlLi16ELi32ELi8ELc78ELc78ELc76ELb0ELb0E19rocblas_complex_numIdES1_PKS1_PS1_EviT_T9_T10_S5_lS7_S5_lS6_T11_S5_li.uses_vcc, 1
	.set _ZL29rocblas_internal_gemmt_kernelIlLi16ELi32ELi8ELc78ELc78ELc76ELb0ELb0E19rocblas_complex_numIdES1_PKS1_PS1_EviT_T9_T10_S5_lS7_S5_lS6_T11_S5_li.uses_flat_scratch, 0
	.set _ZL29rocblas_internal_gemmt_kernelIlLi16ELi32ELi8ELc78ELc78ELc76ELb0ELb0E19rocblas_complex_numIdES1_PKS1_PS1_EviT_T9_T10_S5_lS7_S5_lS6_T11_S5_li.has_dyn_sized_stack, 0
	.set _ZL29rocblas_internal_gemmt_kernelIlLi16ELi32ELi8ELc78ELc78ELc76ELb0ELb0E19rocblas_complex_numIdES1_PKS1_PS1_EviT_T9_T10_S5_lS7_S5_lS6_T11_S5_li.has_recursion, 0
	.set _ZL29rocblas_internal_gemmt_kernelIlLi16ELi32ELi8ELc78ELc78ELc76ELb0ELb0E19rocblas_complex_numIdES1_PKS1_PS1_EviT_T9_T10_S5_lS7_S5_lS6_T11_S5_li.has_indirect_call, 0
	.section	.AMDGPU.csdata,"",@progbits
; Kernel info:
; codeLenInByte = 3648
; TotalNumSgprs: 46
; NumVgprs: 58
; ScratchSize: 0
; MemoryBound: 0
; FloatMode: 240
; IeeeMode: 1
; LDSByteSize: 8192 bytes/workgroup (compile time only)
; SGPRBlocks: 0
; VGPRBlocks: 7
; NumSGPRsForWavesPerEU: 46
; NumVGPRsForWavesPerEU: 58
; Occupancy: 16
; WaveLimiterHint : 0
; COMPUTE_PGM_RSRC2:SCRATCH_EN: 0
; COMPUTE_PGM_RSRC2:USER_SGPR: 6
; COMPUTE_PGM_RSRC2:TRAP_HANDLER: 0
; COMPUTE_PGM_RSRC2:TGID_X_EN: 1
; COMPUTE_PGM_RSRC2:TGID_Y_EN: 1
; COMPUTE_PGM_RSRC2:TGID_Z_EN: 1
; COMPUTE_PGM_RSRC2:TIDIG_COMP_CNT: 1
	.section	.text._ZL29rocblas_internal_gemmt_kernelIlLi16ELi32ELi8ELc78ELc84ELc76ELb0ELb0E19rocblas_complex_numIdES1_PKS1_PS1_EviT_T9_T10_S5_lS7_S5_lS6_T11_S5_li,"axG",@progbits,_ZL29rocblas_internal_gemmt_kernelIlLi16ELi32ELi8ELc78ELc84ELc76ELb0ELb0E19rocblas_complex_numIdES1_PKS1_PS1_EviT_T9_T10_S5_lS7_S5_lS6_T11_S5_li,comdat
	.globl	_ZL29rocblas_internal_gemmt_kernelIlLi16ELi32ELi8ELc78ELc84ELc76ELb0ELb0E19rocblas_complex_numIdES1_PKS1_PS1_EviT_T9_T10_S5_lS7_S5_lS6_T11_S5_li ; -- Begin function _ZL29rocblas_internal_gemmt_kernelIlLi16ELi32ELi8ELc78ELc84ELc76ELb0ELb0E19rocblas_complex_numIdES1_PKS1_PS1_EviT_T9_T10_S5_lS7_S5_lS6_T11_S5_li
	.p2align	8
	.type	_ZL29rocblas_internal_gemmt_kernelIlLi16ELi32ELi8ELc78ELc84ELc76ELb0ELb0E19rocblas_complex_numIdES1_PKS1_PS1_EviT_T9_T10_S5_lS7_S5_lS6_T11_S5_li,@function
_ZL29rocblas_internal_gemmt_kernelIlLi16ELi32ELi8ELc78ELc84ELc76ELb0ELb0E19rocblas_complex_numIdES1_PKS1_PS1_EviT_T9_T10_S5_lS7_S5_lS6_T11_S5_li: ; @_ZL29rocblas_internal_gemmt_kernelIlLi16ELi32ELi8ELc78ELc84ELc76ELb0ELb0E19rocblas_complex_numIdES1_PKS1_PS1_EviT_T9_T10_S5_lS7_S5_lS6_T11_S5_li
; %bb.0:
	s_clause 0x1
	s_load_dwordx8 s[36:43], s[4:5], 0x48
	s_load_dwordx16 s[12:27], s[4:5], 0x8
	s_waitcnt lgkmcnt(0)
	v_cmp_eq_f64_e64 s0, s[38:39], 1.0
	v_cmp_eq_f64_e64 s9, s[40:41], 0
	s_and_b32 s0, s0, s9
	s_andn2_b32 vcc_lo, exec_lo, s0
	s_mov_b32 s0, -1
	s_cbranch_vccnz .LBB280_3
; %bb.1:
	s_cmp_lg_u64 s[12:13], 0
	s_cbranch_scc0 .LBB280_33
; %bb.2:
	v_cmp_neq_f64_e64 s0, s[14:15], 0
	v_cmp_neq_f64_e64 s1, s[16:17], 0
	s_or_b32 s0, s0, s1
.LBB280_3:
	s_and_b32 vcc_lo, exec_lo, s0
	s_cbranch_vccz .LBB280_34
; %bb.4:
	v_cmp_eq_f64_e64 s0, s[14:15], 0
	v_cmp_eq_f64_e64 s1, s[16:17], 0
	s_clause 0x1
	s_load_dwordx4 s[28:31], s[4:5], 0x68
	s_load_dword s4, s[4:5], 0x0
	v_cmp_lt_i64_e64 s2, s[12:13], 1
	v_mov_b32_e32 v20, 0
	v_mov_b32_e32 v22, 0
	;; [unrolled: 1-line block ×16, first 2 shown]
	s_lshl_b32 s5, s6, 5
	s_lshl_b32 s6, s7, 5
	s_and_b32 s0, s0, s1
	s_or_b32 s0, s0, s2
	s_and_b32 vcc_lo, exec_lo, s0
	s_cbranch_vccnz .LBB280_17
; %bb.5:
	v_lshl_add_u32 v2, v1, 4, v0
	s_mul_i32 s0, s37, s8
	s_mul_hi_u32 s1, s36, s8
	v_and_b32_e32 v24, 7, v0
	s_add_i32 s1, s1, s0
	v_and_b32_e32 v5, 31, v2
	v_lshrrev_b32_e32 v8, 3, v2
	v_lshrrev_b32_e32 v25, 5, v2
	s_mul_i32 s0, s36, s8
	s_mul_hi_u32 s3, s22, s8
	v_or_b32_e32 v2, s5, v5
	v_add_nc_u32_e32 v4, s6, v8
	s_lshl_b64 s[0:1], s[0:1], 4
	v_lshlrev_b32_e32 v9, 4, v5
	s_add_u32 s2, s24, s0
	v_ashrrev_i32_e32 v3, 31, v2
	s_mul_i32 s0, s23, s8
	v_ashrrev_i32_e32 v5, 31, v4
	s_addc_u32 s10, s25, s1
	s_add_i32 s1, s3, s0
	s_mul_i32 s0, s22, s8
	v_lshlrev_b32_e32 v10, 4, v24
	s_lshl_b64 s[0:1], s[0:1], 4
	v_lshlrev_b64 v[6:7], 4, v[2:3]
	s_add_u32 s3, s18, s0
	s_waitcnt lgkmcnt(0)
	v_cmp_gt_i32_e64 s0, s4, v2
	v_cmp_le_i32_e64 s7, s4, v2
	v_lshlrev_b64 v[2:3], 4, v[4:5]
	v_lshl_or_b32 v8, v8, 7, v10
	s_addc_u32 s1, s19, s1
	v_add_co_u32 v27, vcc_lo, s3, v6
	v_add_co_ci_u32_e64 v28, null, s1, v7, vcc_lo
	v_cmp_gt_i32_e32 vcc_lo, s4, v4
	v_add_co_u32 v30, s1, s2, v2
	v_lshl_or_b32 v26, v25, 9, v9
	v_add_nc_u32_e32 v29, 0x1000, v8
	v_mov_b32_e32 v8, 0
	v_mov_b32_e32 v10, 0
	;; [unrolled: 1-line block ×8, first 2 shown]
	v_add_co_ci_u32_e64 v31, null, s10, v3, s1
	v_lshlrev_b32_e32 v32, 4, v0
	v_lshl_add_u32 v33, v1, 7, 0x1000
	v_mov_b32_e32 v9, 0
	v_mov_b32_e32 v11, 0
	;; [unrolled: 1-line block ×9, first 2 shown]
	s_mov_b64 s[2:3], 0
	s_xor_b32 s1, vcc_lo, -1
                                        ; implicit-def: $vgpr6_vgpr7
	s_branch .LBB280_7
.LBB280_6:                              ;   in Loop: Header=BB280_7 Depth=1
	s_or_b32 exec_lo, exec_lo, s10
	s_waitcnt lgkmcnt(0)
	s_barrier
	buffer_gl0_inv
	ds_read_b128 v[34:37], v33
	ds_read_b128 v[38:41], v33 offset:16
	ds_read_b128 v[42:45], v33 offset:32
	;; [unrolled: 1-line block ×3, first 2 shown]
	ds_read_b128 v[50:53], v32
	s_add_u32 s2, s2, 8
	s_addc_u32 s3, s3, 0
	v_cmp_gt_i64_e64 s10, s[12:13], s[2:3]
	s_and_b32 vcc_lo, exec_lo, s10
	s_waitcnt lgkmcnt(0)
	v_mul_f64 v[4:5], v[36:37], v[52:53]
	v_mul_f64 v[54:55], v[34:35], v[52:53]
	v_fma_f64 v[4:5], v[34:35], v[50:51], -v[4:5]
	v_fma_f64 v[54:55], v[36:37], v[50:51], v[54:55]
	v_add_f64 v[4:5], v[20:21], v[4:5]
	v_add_f64 v[54:55], v[54:55], v[22:23]
	ds_read_b128 v[20:23], v32 offset:256
	s_waitcnt lgkmcnt(0)
	v_mul_f64 v[56:57], v[36:37], v[22:23]
	v_fma_f64 v[56:57], v[34:35], v[20:21], -v[56:57]
	v_mul_f64 v[34:35], v[34:35], v[22:23]
	v_fma_f64 v[34:35], v[36:37], v[20:21], v[34:35]
	v_add_f64 v[36:37], v[16:17], v[56:57]
	v_add_f64 v[34:35], v[34:35], v[18:19]
	ds_read_b128 v[16:19], v33 offset:2048
	s_waitcnt lgkmcnt(0)
	v_mul_f64 v[56:57], v[18:19], v[52:53]
	v_mul_f64 v[52:53], v[16:17], v[52:53]
	v_fma_f64 v[56:57], v[16:17], v[50:51], -v[56:57]
	v_fma_f64 v[50:51], v[18:19], v[50:51], v[52:53]
	v_add_f64 v[52:53], v[12:13], v[56:57]
	v_add_f64 v[50:51], v[50:51], v[14:15]
	v_mul_f64 v[12:13], v[18:19], v[22:23]
	v_mul_f64 v[14:15], v[16:17], v[22:23]
	v_fma_f64 v[12:13], v[16:17], v[20:21], -v[12:13]
	v_fma_f64 v[14:15], v[18:19], v[20:21], v[14:15]
	v_add_f64 v[20:21], v[10:11], v[12:13]
	v_add_f64 v[22:23], v[14:15], v[8:9]
	ds_read_b128 v[8:11], v32 offset:512
	s_waitcnt lgkmcnt(0)
	v_mul_f64 v[12:13], v[40:41], v[10:11]
	v_mul_f64 v[14:15], v[38:39], v[10:11]
	v_fma_f64 v[12:13], v[38:39], v[8:9], -v[12:13]
	v_fma_f64 v[14:15], v[40:41], v[8:9], v[14:15]
	v_add_f64 v[4:5], v[4:5], v[12:13]
	v_add_f64 v[54:55], v[14:15], v[54:55]
	ds_read_b128 v[12:15], v32 offset:768
	s_waitcnt lgkmcnt(0)
	;; [unrolled: 8-line block ×3, first 2 shown]
	v_mul_f64 v[38:39], v[18:19], v[10:11]
	v_mul_f64 v[10:11], v[16:17], v[10:11]
	v_fma_f64 v[38:39], v[16:17], v[8:9], -v[38:39]
	v_fma_f64 v[8:9], v[18:19], v[8:9], v[10:11]
	v_mul_f64 v[10:11], v[16:17], v[14:15]
	v_add_f64 v[38:39], v[52:53], v[38:39]
	v_add_f64 v[40:41], v[8:9], v[50:51]
	v_mul_f64 v[8:9], v[18:19], v[14:15]
	v_fma_f64 v[10:11], v[18:19], v[12:13], v[10:11]
	v_fma_f64 v[8:9], v[16:17], v[12:13], -v[8:9]
	v_add_f64 v[22:23], v[10:11], v[22:23]
	v_add_f64 v[20:21], v[20:21], v[8:9]
	ds_read_b128 v[8:11], v32 offset:1024
	s_waitcnt lgkmcnt(0)
	v_mul_f64 v[12:13], v[44:45], v[10:11]
	v_mul_f64 v[14:15], v[42:43], v[10:11]
	v_fma_f64 v[12:13], v[42:43], v[8:9], -v[12:13]
	v_fma_f64 v[14:15], v[44:45], v[8:9], v[14:15]
	v_add_f64 v[4:5], v[4:5], v[12:13]
	v_add_f64 v[50:51], v[14:15], v[54:55]
	ds_read_b128 v[12:15], v32 offset:1280
	s_waitcnt lgkmcnt(0)
	v_mul_f64 v[16:17], v[44:45], v[14:15]
	v_mul_f64 v[18:19], v[42:43], v[14:15]
	v_fma_f64 v[16:17], v[42:43], v[12:13], -v[16:17]
	v_fma_f64 v[18:19], v[44:45], v[12:13], v[18:19]
	v_add_f64 v[36:37], v[36:37], v[16:17]
	v_add_f64 v[34:35], v[18:19], v[34:35]
	ds_read_b128 v[16:19], v33 offset:2080
	s_waitcnt lgkmcnt(0)
	v_mul_f64 v[42:43], v[18:19], v[10:11]
	v_mul_f64 v[10:11], v[16:17], v[10:11]
	v_fma_f64 v[42:43], v[16:17], v[8:9], -v[42:43]
	v_fma_f64 v[8:9], v[18:19], v[8:9], v[10:11]
	v_mul_f64 v[10:11], v[16:17], v[14:15]
	v_add_f64 v[38:39], v[38:39], v[42:43]
	v_add_f64 v[40:41], v[8:9], v[40:41]
	v_mul_f64 v[8:9], v[18:19], v[14:15]
	v_fma_f64 v[10:11], v[18:19], v[12:13], v[10:11]
	v_fma_f64 v[8:9], v[16:17], v[12:13], -v[8:9]
	v_add_f64 v[22:23], v[10:11], v[22:23]
	v_add_f64 v[20:21], v[20:21], v[8:9]
	ds_read_b128 v[8:11], v32 offset:1536
	s_waitcnt lgkmcnt(0)
	v_mul_f64 v[12:13], v[48:49], v[10:11]
	v_mul_f64 v[14:15], v[46:47], v[10:11]
	v_fma_f64 v[12:13], v[46:47], v[8:9], -v[12:13]
	v_fma_f64 v[14:15], v[48:49], v[8:9], v[14:15]
	v_add_f64 v[4:5], v[4:5], v[12:13]
	v_add_f64 v[42:43], v[14:15], v[50:51]
	ds_read_b128 v[12:15], v32 offset:1792
	s_waitcnt lgkmcnt(0)
	v_mul_f64 v[16:17], v[48:49], v[14:15]
	v_mul_f64 v[18:19], v[46:47], v[14:15]
	v_fma_f64 v[16:17], v[46:47], v[12:13], -v[16:17]
	v_fma_f64 v[18:19], v[48:49], v[12:13], v[18:19]
	;; [unrolled: 8-line block ×3, first 2 shown]
	v_mul_f64 v[10:11], v[16:17], v[14:15]
	v_add_f64 v[38:39], v[38:39], v[44:45]
	v_add_f64 v[40:41], v[8:9], v[40:41]
	v_mul_f64 v[8:9], v[18:19], v[14:15]
	v_fma_f64 v[10:11], v[18:19], v[12:13], v[10:11]
	v_fma_f64 v[8:9], v[16:17], v[12:13], -v[8:9]
	v_add_f64 v[22:23], v[10:11], v[22:23]
	v_add_f64 v[20:21], v[20:21], v[8:9]
	ds_read_b128 v[8:11], v33 offset:64
	ds_read_b128 v[12:15], v32 offset:2048
	s_waitcnt lgkmcnt(0)
	v_mul_f64 v[16:17], v[10:11], v[14:15]
	v_mul_f64 v[18:19], v[8:9], v[14:15]
	v_fma_f64 v[16:17], v[8:9], v[12:13], -v[16:17]
	v_fma_f64 v[18:19], v[10:11], v[12:13], v[18:19]
	v_add_f64 v[4:5], v[4:5], v[16:17]
	v_add_f64 v[42:43], v[18:19], v[42:43]
	ds_read_b128 v[16:19], v32 offset:2304
	s_waitcnt lgkmcnt(0)
	v_mul_f64 v[44:45], v[10:11], v[18:19]
	v_fma_f64 v[44:45], v[8:9], v[16:17], -v[44:45]
	v_mul_f64 v[8:9], v[8:9], v[18:19]
	v_add_f64 v[36:37], v[36:37], v[44:45]
	v_fma_f64 v[8:9], v[10:11], v[16:17], v[8:9]
	v_add_f64 v[34:35], v[8:9], v[34:35]
	ds_read_b128 v[8:11], v33 offset:2112
	s_waitcnt lgkmcnt(0)
	v_mul_f64 v[44:45], v[10:11], v[14:15]
	v_mul_f64 v[14:15], v[8:9], v[14:15]
	v_fma_f64 v[44:45], v[8:9], v[12:13], -v[44:45]
	v_fma_f64 v[12:13], v[10:11], v[12:13], v[14:15]
	v_add_f64 v[38:39], v[38:39], v[44:45]
	v_add_f64 v[40:41], v[12:13], v[40:41]
	v_mul_f64 v[12:13], v[10:11], v[18:19]
	v_fma_f64 v[12:13], v[8:9], v[16:17], -v[12:13]
	v_mul_f64 v[8:9], v[8:9], v[18:19]
	v_add_f64 v[20:21], v[20:21], v[12:13]
	v_fma_f64 v[8:9], v[10:11], v[16:17], v[8:9]
	v_add_f64 v[22:23], v[8:9], v[22:23]
	ds_read_b128 v[8:11], v33 offset:80
	ds_read_b128 v[12:15], v32 offset:2560
	s_waitcnt lgkmcnt(0)
	v_mul_f64 v[16:17], v[10:11], v[14:15]
	v_mul_f64 v[18:19], v[8:9], v[14:15]
	v_fma_f64 v[16:17], v[8:9], v[12:13], -v[16:17]
	v_fma_f64 v[18:19], v[10:11], v[12:13], v[18:19]
	v_add_f64 v[4:5], v[4:5], v[16:17]
	v_add_f64 v[42:43], v[18:19], v[42:43]
	ds_read_b128 v[16:19], v32 offset:2816
	s_waitcnt lgkmcnt(0)
	v_mul_f64 v[44:45], v[10:11], v[18:19]
	v_fma_f64 v[44:45], v[8:9], v[16:17], -v[44:45]
	v_mul_f64 v[8:9], v[8:9], v[18:19]
	v_add_f64 v[36:37], v[36:37], v[44:45]
	v_fma_f64 v[8:9], v[10:11], v[16:17], v[8:9]
	v_add_f64 v[34:35], v[8:9], v[34:35]
	ds_read_b128 v[8:11], v33 offset:2128
	s_waitcnt lgkmcnt(0)
	v_mul_f64 v[44:45], v[10:11], v[14:15]
	v_mul_f64 v[14:15], v[8:9], v[14:15]
	v_fma_f64 v[44:45], v[8:9], v[12:13], -v[44:45]
	v_fma_f64 v[12:13], v[10:11], v[12:13], v[14:15]
	v_add_f64 v[38:39], v[38:39], v[44:45]
	v_add_f64 v[40:41], v[12:13], v[40:41]
	v_mul_f64 v[12:13], v[10:11], v[18:19]
	v_fma_f64 v[12:13], v[8:9], v[16:17], -v[12:13]
	v_mul_f64 v[8:9], v[8:9], v[18:19]
	v_add_f64 v[20:21], v[20:21], v[12:13]
	v_fma_f64 v[8:9], v[10:11], v[16:17], v[8:9]
	;; [unrolled: 31-line block ×3, first 2 shown]
	v_add_f64 v[50:51], v[8:9], v[22:23]
	ds_read_b128 v[8:11], v33 offset:112
	ds_read_b128 v[12:15], v32 offset:3584
	;; [unrolled: 1-line block ×3, first 2 shown]
	s_waitcnt lgkmcnt(1)
	v_mul_f64 v[16:17], v[10:11], v[14:15]
	v_mul_f64 v[18:19], v[8:9], v[14:15]
	v_fma_f64 v[16:17], v[8:9], v[12:13], -v[16:17]
	v_fma_f64 v[18:19], v[10:11], v[12:13], v[18:19]
	v_add_f64 v[20:21], v[4:5], v[16:17]
	s_waitcnt lgkmcnt(0)
	v_mul_f64 v[4:5], v[10:11], v[36:37]
	v_add_f64 v[22:23], v[18:19], v[42:43]
	v_fma_f64 v[4:5], v[8:9], v[34:35], -v[4:5]
	v_mul_f64 v[8:9], v[8:9], v[36:37]
	v_add_f64 v[16:17], v[44:45], v[4:5]
	v_fma_f64 v[8:9], v[10:11], v[34:35], v[8:9]
	v_add_f64 v[18:19], v[8:9], v[46:47]
	ds_read_b128 v[8:11], v33 offset:2160
	s_waitcnt lgkmcnt(0)
	s_barrier
	buffer_gl0_inv
	v_mul_f64 v[4:5], v[10:11], v[14:15]
	v_mul_f64 v[14:15], v[8:9], v[14:15]
	v_fma_f64 v[4:5], v[8:9], v[12:13], -v[4:5]
	v_fma_f64 v[14:15], v[10:11], v[12:13], v[14:15]
	v_add_f64 v[12:13], v[38:39], v[4:5]
	v_mul_f64 v[4:5], v[10:11], v[36:37]
	v_add_f64 v[14:15], v[14:15], v[40:41]
	v_fma_f64 v[4:5], v[8:9], v[34:35], -v[4:5]
	v_mul_f64 v[8:9], v[8:9], v[36:37]
	v_fma_f64 v[8:9], v[10:11], v[34:35], v[8:9]
	v_add_f64 v[10:11], v[48:49], v[4:5]
	v_add_f64 v[8:9], v[8:9], v[50:51]
	s_cbranch_vccz .LBB280_17
.LBB280_7:                              ; =>This Inner Loop Header: Depth=1
	s_mov_b32 s18, s7
	s_mov_b32 s10, 0
	s_and_saveexec_b32 s11, s0
	s_cbranch_execnz .LBB280_15
; %bb.8:                                ;   in Loop: Header=BB280_7 Depth=1
	s_or_b32 exec_lo, exec_lo, s11
	s_and_saveexec_b32 s11, s18
	s_xor_b32 s11, exec_lo, s11
	s_cbranch_execnz .LBB280_16
.LBB280_9:                              ;   in Loop: Header=BB280_7 Depth=1
	s_or_b32 exec_lo, exec_lo, s11
	s_and_saveexec_b32 s11, s10
	s_cbranch_execz .LBB280_11
.LBB280_10:                             ;   in Loop: Header=BB280_7 Depth=1
	v_mul_lo_u32 v2, s21, v6
	v_mul_lo_u32 v34, s20, v7
	v_mad_u64_u32 v[4:5], null, s20, v6, 0
	v_add3_u32 v5, v5, v34, v2
	v_lshlrev_b64 v[4:5], 4, v[4:5]
	v_add_co_u32 v4, vcc_lo, v27, v4
	v_add_co_ci_u32_e64 v5, null, v28, v5, vcc_lo
	global_load_dwordx4 v[34:37], v[4:5], off
	s_waitcnt vmcnt(0)
	ds_write2_b64 v26, v[34:35], v[36:37] offset1:1
.LBB280_11:                             ;   in Loop: Header=BB280_7 Depth=1
	s_or_b32 exec_lo, exec_lo, s11
	v_add_nc_u32_e32 v2, s2, v24
	v_cmp_le_u64_e32 vcc_lo, s[12:13], v[2:3]
	s_or_b32 s10, vcc_lo, s1
	s_and_saveexec_b32 s11, s10
	s_xor_b32 s10, exec_lo, s11
	s_cbranch_execz .LBB280_13
; %bb.12:                               ;   in Loop: Header=BB280_7 Depth=1
	v_mov_b32_e32 v2, v3
	v_mov_b32_e32 v4, v3
	;; [unrolled: 1-line block ×3, first 2 shown]
	ds_write_b128 v29, v[2:5]
.LBB280_13:                             ;   in Loop: Header=BB280_7 Depth=1
	s_andn2_saveexec_b32 s10, s10
	s_cbranch_execz .LBB280_6
; %bb.14:                               ;   in Loop: Header=BB280_7 Depth=1
	v_mad_u64_u32 v[4:5], null, s26, v2, 0
	v_mad_u64_u32 v[34:35], null, s27, v2, v[5:6]
	v_mov_b32_e32 v5, v34
	v_lshlrev_b64 v[4:5], 4, v[4:5]
	v_add_co_u32 v4, vcc_lo, v30, v4
	v_add_co_ci_u32_e64 v5, null, v31, v5, vcc_lo
	global_load_dwordx4 v[34:37], v[4:5], off
	s_waitcnt vmcnt(0)
	ds_write2_b64 v29, v[34:35], v[36:37] offset1:1
	s_branch .LBB280_6
.LBB280_15:                             ;   in Loop: Header=BB280_7 Depth=1
	v_add_nc_u32_e32 v2, s2, v25
	v_mov_b32_e32 v7, v3
	s_andn2_b32 s18, s7, exec_lo
	s_mov_b32 s10, exec_lo
	v_cmp_le_u64_e32 vcc_lo, s[12:13], v[2:3]
	v_mov_b32_e32 v6, v2
	s_and_b32 s19, vcc_lo, exec_lo
	s_or_b32 s18, s18, s19
	s_or_b32 exec_lo, exec_lo, s11
	s_and_saveexec_b32 s11, s18
	s_xor_b32 s11, exec_lo, s11
	s_cbranch_execz .LBB280_9
.LBB280_16:                             ;   in Loop: Header=BB280_7 Depth=1
	v_mov_b32_e32 v2, v3
	v_mov_b32_e32 v4, v3
	;; [unrolled: 1-line block ×3, first 2 shown]
	s_andn2_b32 s10, s10, exec_lo
	ds_write_b128 v26, v[2:5]
	s_or_b32 exec_lo, exec_lo, s11
	s_and_saveexec_b32 s11, s10
	s_cbranch_execnz .LBB280_10
	s_branch .LBB280_11
.LBB280_17:
	v_add_nc_u32_e32 v25, s6, v1
	v_cmp_neq_f64_e64 s2, s[38:39], 0
	s_waitcnt lgkmcnt(0)
	s_mul_i32 s1, s31, s8
	s_mul_hi_u32 s3, s30, s8
	s_mul_i32 s0, s30, s8
	v_ashrrev_i32_e32 v3, 31, v25
	v_mul_lo_u32 v5, s29, v25
	v_mad_u64_u32 v[1:2], null, s28, v25, 0
	s_add_i32 s1, s3, s1
	v_mul_lo_u32 v3, s28, v3
	v_add_nc_u32_e32 v4, s5, v0
	s_lshl_b64 s[6:7], s[0:1], 4
	s_add_u32 s3, s42, s6
	s_addc_u32 s5, s43, s7
	s_xor_b32 s6, s9, -1
	v_cmp_le_i32_e32 vcc_lo, v25, v4
	v_add3_u32 v2, v2, v3, v5
	v_cmp_gt_i32_e64 s0, s4, v4
	v_ashrrev_i32_e32 v5, 31, v4
	s_or_b32 s2, s2, s6
	v_lshlrev_b64 v[0:1], 4, v[1:2]
	v_cndmask_b32_e64 v24, 0, 1, s2
	s_and_b32 s6, vcc_lo, s0
	v_add_co_u32 v26, s1, s3, v0
	v_add_co_ci_u32_e64 v27, null, s5, v1, s1
	s_and_saveexec_b32 s1, s6
	s_cbranch_execz .LBB280_21
; %bb.18:
	v_mul_f64 v[0:1], s[16:17], v[22:23]
	v_mul_f64 v[2:3], s[14:15], v[22:23]
	v_lshlrev_b64 v[6:7], 4, v[4:5]
	v_add_co_u32 v6, vcc_lo, v26, v6
	v_add_co_ci_u32_e64 v7, null, v27, v7, vcc_lo
	s_andn2_b32 vcc_lo, exec_lo, s2
	v_fma_f64 v[0:1], s[14:15], v[20:21], -v[0:1]
	v_fma_f64 v[2:3], s[16:17], v[20:21], v[2:3]
	s_cbranch_vccnz .LBB280_20
; %bb.19:
	global_load_dwordx4 v[20:23], v[6:7], off
	s_waitcnt vmcnt(0)
	v_mul_f64 v[28:29], s[40:41], v[22:23]
	v_mul_f64 v[22:23], s[38:39], v[22:23]
	v_fma_f64 v[28:29], s[38:39], v[20:21], -v[28:29]
	v_fma_f64 v[20:21], s[40:41], v[20:21], v[22:23]
	v_add_f64 v[0:1], v[0:1], v[28:29]
	v_add_f64 v[2:3], v[2:3], v[20:21]
.LBB280_20:
	global_store_dwordx4 v[6:7], v[0:3], off
.LBB280_21:
	s_or_b32 exec_lo, exec_lo, s1
	v_add_nc_u32_e32 v6, 16, v4
	v_cmp_le_i32_e32 vcc_lo, v25, v6
	v_cmp_gt_i32_e64 s1, s4, v6
	v_ashrrev_i32_e32 v7, 31, v6
	s_and_b32 s2, vcc_lo, s1
	s_and_saveexec_b32 s4, s2
	s_cbranch_execz .LBB280_25
; %bb.22:
	v_mul_f64 v[0:1], s[16:17], v[18:19]
	v_mul_f64 v[2:3], s[14:15], v[18:19]
	v_cmp_ne_u32_e32 vcc_lo, 1, v24
	s_and_b32 vcc_lo, exec_lo, vcc_lo
	v_fma_f64 v[0:1], s[14:15], v[16:17], -v[0:1]
	v_fma_f64 v[2:3], s[16:17], v[16:17], v[2:3]
	v_lshlrev_b64 v[16:17], 4, v[6:7]
	v_add_co_u32 v16, s2, v26, v16
	v_add_co_ci_u32_e64 v17, null, v27, v17, s2
	s_cbranch_vccnz .LBB280_24
; %bb.23:
	global_load_dwordx4 v[18:21], v[16:17], off
	s_waitcnt vmcnt(0)
	v_mul_f64 v[22:23], s[40:41], v[20:21]
	v_mul_f64 v[20:21], s[38:39], v[20:21]
	v_fma_f64 v[22:23], s[38:39], v[18:19], -v[22:23]
	v_fma_f64 v[18:19], s[40:41], v[18:19], v[20:21]
	v_add_f64 v[0:1], v[0:1], v[22:23]
	v_add_f64 v[2:3], v[2:3], v[18:19]
.LBB280_24:
	global_store_dwordx4 v[16:17], v[0:3], off
.LBB280_25:
	s_or_b32 exec_lo, exec_lo, s4
	v_add_nc_u32_e32 v18, 16, v25
	v_ashrrev_i32_e32 v2, 31, v18
	v_mul_lo_u32 v3, s29, v18
	v_mad_u64_u32 v[0:1], null, s28, v18, 0
	v_cmp_le_i32_e32 vcc_lo, v18, v4
	v_mul_lo_u32 v2, s28, v2
	s_and_b32 s0, vcc_lo, s0
	v_add3_u32 v1, v1, v2, v3
	v_lshlrev_b64 v[0:1], 4, v[0:1]
	v_add_co_u32 v16, s2, s3, v0
	v_add_co_ci_u32_e64 v17, null, s5, v1, s2
	s_and_saveexec_b32 s2, s0
	s_cbranch_execz .LBB280_29
; %bb.26:
	v_mul_f64 v[0:1], s[16:17], v[14:15]
	v_mul_f64 v[2:3], s[14:15], v[14:15]
	v_lshlrev_b64 v[4:5], 4, v[4:5]
	v_cmp_ne_u32_e32 vcc_lo, 1, v24
	s_and_b32 vcc_lo, exec_lo, vcc_lo
	v_add_co_u32 v4, s0, v16, v4
	v_add_co_ci_u32_e64 v5, null, v17, v5, s0
	v_fma_f64 v[0:1], s[14:15], v[12:13], -v[0:1]
	v_fma_f64 v[2:3], s[16:17], v[12:13], v[2:3]
	s_cbranch_vccnz .LBB280_28
; %bb.27:
	global_load_dwordx4 v[12:15], v[4:5], off
	s_waitcnt vmcnt(0)
	v_mul_f64 v[19:20], s[40:41], v[14:15]
	v_mul_f64 v[14:15], s[38:39], v[14:15]
	v_fma_f64 v[19:20], s[38:39], v[12:13], -v[19:20]
	v_fma_f64 v[12:13], s[40:41], v[12:13], v[14:15]
	v_add_f64 v[0:1], v[0:1], v[19:20]
	v_add_f64 v[2:3], v[2:3], v[12:13]
.LBB280_28:
	global_store_dwordx4 v[4:5], v[0:3], off
.LBB280_29:
	s_or_b32 exec_lo, exec_lo, s2
	v_cmp_le_i32_e32 vcc_lo, v18, v6
	s_and_b32 s0, vcc_lo, s1
	s_and_saveexec_b32 s1, s0
	s_cbranch_execz .LBB280_34
; %bb.30:
	v_mul_f64 v[0:1], s[16:17], v[8:9]
	v_mul_f64 v[2:3], s[14:15], v[8:9]
	v_lshlrev_b64 v[4:5], 4, v[6:7]
	v_cmp_ne_u32_e32 vcc_lo, 1, v24
	s_and_b32 vcc_lo, exec_lo, vcc_lo
	v_add_co_u32 v4, s0, v16, v4
	v_add_co_ci_u32_e64 v5, null, v17, v5, s0
	v_fma_f64 v[0:1], s[14:15], v[10:11], -v[0:1]
	v_fma_f64 v[2:3], s[16:17], v[10:11], v[2:3]
	s_cbranch_vccnz .LBB280_32
; %bb.31:
	global_load_dwordx4 v[6:9], v[4:5], off
	s_waitcnt vmcnt(0)
	v_mul_f64 v[10:11], s[40:41], v[8:9]
	v_mul_f64 v[8:9], s[38:39], v[8:9]
	v_fma_f64 v[10:11], s[38:39], v[6:7], -v[10:11]
	v_fma_f64 v[6:7], s[40:41], v[6:7], v[8:9]
	v_add_f64 v[0:1], v[0:1], v[10:11]
	v_add_f64 v[2:3], v[2:3], v[6:7]
.LBB280_32:
	global_store_dwordx4 v[4:5], v[0:3], off
	s_endpgm
.LBB280_33:
.LBB280_34:
	s_endpgm
	.section	.rodata,"a",@progbits
	.p2align	6, 0x0
	.amdhsa_kernel _ZL29rocblas_internal_gemmt_kernelIlLi16ELi32ELi8ELc78ELc84ELc76ELb0ELb0E19rocblas_complex_numIdES1_PKS1_PS1_EviT_T9_T10_S5_lS7_S5_lS6_T11_S5_li
		.amdhsa_group_segment_fixed_size 8192
		.amdhsa_private_segment_fixed_size 0
		.amdhsa_kernarg_size 124
		.amdhsa_user_sgpr_count 6
		.amdhsa_user_sgpr_private_segment_buffer 1
		.amdhsa_user_sgpr_dispatch_ptr 0
		.amdhsa_user_sgpr_queue_ptr 0
		.amdhsa_user_sgpr_kernarg_segment_ptr 1
		.amdhsa_user_sgpr_dispatch_id 0
		.amdhsa_user_sgpr_flat_scratch_init 0
		.amdhsa_user_sgpr_private_segment_size 0
		.amdhsa_wavefront_size32 1
		.amdhsa_uses_dynamic_stack 0
		.amdhsa_system_sgpr_private_segment_wavefront_offset 0
		.amdhsa_system_sgpr_workgroup_id_x 1
		.amdhsa_system_sgpr_workgroup_id_y 1
		.amdhsa_system_sgpr_workgroup_id_z 1
		.amdhsa_system_sgpr_workgroup_info 0
		.amdhsa_system_vgpr_workitem_id 1
		.amdhsa_next_free_vgpr 58
		.amdhsa_next_free_sgpr 44
		.amdhsa_reserve_vcc 1
		.amdhsa_reserve_flat_scratch 0
		.amdhsa_float_round_mode_32 0
		.amdhsa_float_round_mode_16_64 0
		.amdhsa_float_denorm_mode_32 3
		.amdhsa_float_denorm_mode_16_64 3
		.amdhsa_dx10_clamp 1
		.amdhsa_ieee_mode 1
		.amdhsa_fp16_overflow 0
		.amdhsa_workgroup_processor_mode 1
		.amdhsa_memory_ordered 1
		.amdhsa_forward_progress 1
		.amdhsa_shared_vgpr_count 0
		.amdhsa_exception_fp_ieee_invalid_op 0
		.amdhsa_exception_fp_denorm_src 0
		.amdhsa_exception_fp_ieee_div_zero 0
		.amdhsa_exception_fp_ieee_overflow 0
		.amdhsa_exception_fp_ieee_underflow 0
		.amdhsa_exception_fp_ieee_inexact 0
		.amdhsa_exception_int_div_zero 0
	.end_amdhsa_kernel
	.section	.text._ZL29rocblas_internal_gemmt_kernelIlLi16ELi32ELi8ELc78ELc84ELc76ELb0ELb0E19rocblas_complex_numIdES1_PKS1_PS1_EviT_T9_T10_S5_lS7_S5_lS6_T11_S5_li,"axG",@progbits,_ZL29rocblas_internal_gemmt_kernelIlLi16ELi32ELi8ELc78ELc84ELc76ELb0ELb0E19rocblas_complex_numIdES1_PKS1_PS1_EviT_T9_T10_S5_lS7_S5_lS6_T11_S5_li,comdat
.Lfunc_end280:
	.size	_ZL29rocblas_internal_gemmt_kernelIlLi16ELi32ELi8ELc78ELc84ELc76ELb0ELb0E19rocblas_complex_numIdES1_PKS1_PS1_EviT_T9_T10_S5_lS7_S5_lS6_T11_S5_li, .Lfunc_end280-_ZL29rocblas_internal_gemmt_kernelIlLi16ELi32ELi8ELc78ELc84ELc76ELb0ELb0E19rocblas_complex_numIdES1_PKS1_PS1_EviT_T9_T10_S5_lS7_S5_lS6_T11_S5_li
                                        ; -- End function
	.set _ZL29rocblas_internal_gemmt_kernelIlLi16ELi32ELi8ELc78ELc84ELc76ELb0ELb0E19rocblas_complex_numIdES1_PKS1_PS1_EviT_T9_T10_S5_lS7_S5_lS6_T11_S5_li.num_vgpr, 58
	.set _ZL29rocblas_internal_gemmt_kernelIlLi16ELi32ELi8ELc78ELc84ELc76ELb0ELb0E19rocblas_complex_numIdES1_PKS1_PS1_EviT_T9_T10_S5_lS7_S5_lS6_T11_S5_li.num_agpr, 0
	.set _ZL29rocblas_internal_gemmt_kernelIlLi16ELi32ELi8ELc78ELc84ELc76ELb0ELb0E19rocblas_complex_numIdES1_PKS1_PS1_EviT_T9_T10_S5_lS7_S5_lS6_T11_S5_li.numbered_sgpr, 44
	.set _ZL29rocblas_internal_gemmt_kernelIlLi16ELi32ELi8ELc78ELc84ELc76ELb0ELb0E19rocblas_complex_numIdES1_PKS1_PS1_EviT_T9_T10_S5_lS7_S5_lS6_T11_S5_li.num_named_barrier, 0
	.set _ZL29rocblas_internal_gemmt_kernelIlLi16ELi32ELi8ELc78ELc84ELc76ELb0ELb0E19rocblas_complex_numIdES1_PKS1_PS1_EviT_T9_T10_S5_lS7_S5_lS6_T11_S5_li.private_seg_size, 0
	.set _ZL29rocblas_internal_gemmt_kernelIlLi16ELi32ELi8ELc78ELc84ELc76ELb0ELb0E19rocblas_complex_numIdES1_PKS1_PS1_EviT_T9_T10_S5_lS7_S5_lS6_T11_S5_li.uses_vcc, 1
	.set _ZL29rocblas_internal_gemmt_kernelIlLi16ELi32ELi8ELc78ELc84ELc76ELb0ELb0E19rocblas_complex_numIdES1_PKS1_PS1_EviT_T9_T10_S5_lS7_S5_lS6_T11_S5_li.uses_flat_scratch, 0
	.set _ZL29rocblas_internal_gemmt_kernelIlLi16ELi32ELi8ELc78ELc84ELc76ELb0ELb0E19rocblas_complex_numIdES1_PKS1_PS1_EviT_T9_T10_S5_lS7_S5_lS6_T11_S5_li.has_dyn_sized_stack, 0
	.set _ZL29rocblas_internal_gemmt_kernelIlLi16ELi32ELi8ELc78ELc84ELc76ELb0ELb0E19rocblas_complex_numIdES1_PKS1_PS1_EviT_T9_T10_S5_lS7_S5_lS6_T11_S5_li.has_recursion, 0
	.set _ZL29rocblas_internal_gemmt_kernelIlLi16ELi32ELi8ELc78ELc84ELc76ELb0ELb0E19rocblas_complex_numIdES1_PKS1_PS1_EviT_T9_T10_S5_lS7_S5_lS6_T11_S5_li.has_indirect_call, 0
	.section	.AMDGPU.csdata,"",@progbits
; Kernel info:
; codeLenInByte = 3636
; TotalNumSgprs: 46
; NumVgprs: 58
; ScratchSize: 0
; MemoryBound: 0
; FloatMode: 240
; IeeeMode: 1
; LDSByteSize: 8192 bytes/workgroup (compile time only)
; SGPRBlocks: 0
; VGPRBlocks: 7
; NumSGPRsForWavesPerEU: 46
; NumVGPRsForWavesPerEU: 58
; Occupancy: 16
; WaveLimiterHint : 0
; COMPUTE_PGM_RSRC2:SCRATCH_EN: 0
; COMPUTE_PGM_RSRC2:USER_SGPR: 6
; COMPUTE_PGM_RSRC2:TRAP_HANDLER: 0
; COMPUTE_PGM_RSRC2:TGID_X_EN: 1
; COMPUTE_PGM_RSRC2:TGID_Y_EN: 1
; COMPUTE_PGM_RSRC2:TGID_Z_EN: 1
; COMPUTE_PGM_RSRC2:TIDIG_COMP_CNT: 1
	.section	.text._ZL29rocblas_internal_gemmt_kernelIlLi16ELi32ELi8ELc78ELc67ELc76ELb0ELb1E19rocblas_complex_numIdES1_PKS1_PS1_EviT_T9_T10_S5_lS7_S5_lS6_T11_S5_li,"axG",@progbits,_ZL29rocblas_internal_gemmt_kernelIlLi16ELi32ELi8ELc78ELc67ELc76ELb0ELb1E19rocblas_complex_numIdES1_PKS1_PS1_EviT_T9_T10_S5_lS7_S5_lS6_T11_S5_li,comdat
	.globl	_ZL29rocblas_internal_gemmt_kernelIlLi16ELi32ELi8ELc78ELc67ELc76ELb0ELb1E19rocblas_complex_numIdES1_PKS1_PS1_EviT_T9_T10_S5_lS7_S5_lS6_T11_S5_li ; -- Begin function _ZL29rocblas_internal_gemmt_kernelIlLi16ELi32ELi8ELc78ELc67ELc76ELb0ELb1E19rocblas_complex_numIdES1_PKS1_PS1_EviT_T9_T10_S5_lS7_S5_lS6_T11_S5_li
	.p2align	8
	.type	_ZL29rocblas_internal_gemmt_kernelIlLi16ELi32ELi8ELc78ELc67ELc76ELb0ELb1E19rocblas_complex_numIdES1_PKS1_PS1_EviT_T9_T10_S5_lS7_S5_lS6_T11_S5_li,@function
_ZL29rocblas_internal_gemmt_kernelIlLi16ELi32ELi8ELc78ELc67ELc76ELb0ELb1E19rocblas_complex_numIdES1_PKS1_PS1_EviT_T9_T10_S5_lS7_S5_lS6_T11_S5_li: ; @_ZL29rocblas_internal_gemmt_kernelIlLi16ELi32ELi8ELc78ELc67ELc76ELb0ELb1E19rocblas_complex_numIdES1_PKS1_PS1_EviT_T9_T10_S5_lS7_S5_lS6_T11_S5_li
; %bb.0:
	s_clause 0x1
	s_load_dwordx8 s[36:43], s[4:5], 0x48
	s_load_dwordx16 s[12:27], s[4:5], 0x8
	s_waitcnt lgkmcnt(0)
	v_cmp_eq_f64_e64 s0, s[38:39], 1.0
	v_cmp_eq_f64_e64 s9, s[40:41], 0
	s_and_b32 s0, s0, s9
	s_andn2_b32 vcc_lo, exec_lo, s0
	s_mov_b32 s0, -1
	s_cbranch_vccnz .LBB281_3
; %bb.1:
	s_cmp_lg_u64 s[12:13], 0
	s_cbranch_scc0 .LBB281_31
; %bb.2:
	v_cmp_neq_f64_e64 s0, s[14:15], 0
	v_cmp_neq_f64_e64 s1, s[16:17], 0
	s_or_b32 s0, s0, s1
.LBB281_3:
	s_and_b32 vcc_lo, exec_lo, s0
	s_cbranch_vccz .LBB281_32
; %bb.4:
	v_cmp_eq_f64_e64 s0, s[14:15], 0
	v_cmp_eq_f64_e64 s1, s[16:17], 0
	s_clause 0x1
	s_load_dwordx4 s[28:31], s[4:5], 0x68
	s_load_dword s4, s[4:5], 0x0
	v_cmp_lt_i64_e64 s2, s[12:13], 1
	v_mov_b32_e32 v22, 0
	v_mov_b32_e32 v24, 0
	;; [unrolled: 1-line block ×16, first 2 shown]
	s_lshl_b32 s5, s6, 5
	s_lshl_b32 s6, s7, 5
	s_and_b32 s0, s0, s1
	s_or_b32 s0, s0, s2
	s_and_b32 vcc_lo, exec_lo, s0
	s_cbranch_vccnz .LBB281_15
; %bb.5:
	v_lshl_add_u32 v2, v1, 4, v0
	s_mul_i32 s0, s37, s8
	s_mul_hi_u32 s1, s36, s8
	v_and_b32_e32 v26, 7, v0
	s_add_i32 s1, s1, s0
	v_and_b32_e32 v5, 31, v2
	v_lshrrev_b32_e32 v8, 3, v2
	v_lshrrev_b32_e32 v27, 5, v2
	s_mul_i32 s0, s36, s8
	s_mul_hi_u32 s3, s22, s8
	v_or_b32_e32 v2, s5, v5
	v_add_nc_u32_e32 v4, s6, v8
	s_lshl_b64 s[0:1], s[0:1], 4
	v_lshlrev_b32_e32 v9, 4, v5
	s_add_u32 s2, s24, s0
	v_ashrrev_i32_e32 v3, 31, v2
	s_mul_i32 s0, s23, s8
	v_ashrrev_i32_e32 v5, 31, v4
	s_addc_u32 s10, s25, s1
	s_add_i32 s1, s3, s0
	s_mul_i32 s0, s22, s8
	v_lshlrev_b32_e32 v10, 4, v26
	s_lshl_b64 s[0:1], s[0:1], 4
	v_lshlrev_b64 v[6:7], 4, v[2:3]
	s_add_u32 s3, s18, s0
	s_waitcnt lgkmcnt(0)
	v_cmp_gt_i32_e64 s0, s4, v2
	v_cmp_le_i32_e64 s7, s4, v2
	v_lshlrev_b64 v[2:3], 4, v[4:5]
	v_lshl_or_b32 v8, v8, 7, v10
	s_addc_u32 s1, s19, s1
	v_add_co_u32 v29, vcc_lo, s3, v6
	v_add_co_ci_u32_e64 v30, null, s1, v7, vcc_lo
	v_add_co_u32 v32, vcc_lo, s2, v2
	v_mov_b32_e32 v10, 0
	v_mov_b32_e32 v12, 0
	;; [unrolled: 1-line block ×8, first 2 shown]
	v_lshl_or_b32 v28, v27, 9, v9
	v_cmp_gt_i32_e64 s1, s4, v4
	v_add_nc_u32_e32 v31, 0x1000, v8
	v_add_co_ci_u32_e64 v33, null, s10, v3, vcc_lo
	v_lshlrev_b32_e32 v34, 4, v0
	v_lshl_add_u32 v35, v1, 7, 0x1000
	v_mov_b32_e32 v11, 0
	v_mov_b32_e32 v13, 0
	;; [unrolled: 1-line block ×9, first 2 shown]
	s_mov_b64 s[2:3], 0
                                        ; implicit-def: $vgpr8_vgpr9
	s_branch .LBB281_7
.LBB281_6:                              ;   in Loop: Header=BB281_7 Depth=1
	s_or_b32 exec_lo, exec_lo, s10
	ds_write_b128 v31, v[4:7]
	s_waitcnt lgkmcnt(0)
	s_barrier
	buffer_gl0_inv
	ds_read_b128 v[4:7], v35
	ds_read_b128 v[36:39], v34
	ds_read_b128 v[40:43], v34 offset:256
	ds_read_b128 v[44:47], v35 offset:2048
	;; [unrolled: 1-line block ×11, first 2 shown]
	s_add_u32 s2, s2, 8
	s_addc_u32 s3, s3, 0
	v_cmp_gt_i64_e64 s10, s[12:13], s[2:3]
	s_waitcnt lgkmcnt(11)
	v_mul_f64 v[84:85], v[6:7], v[38:39]
	v_mul_f64 v[86:87], v[4:5], v[38:39]
	s_waitcnt lgkmcnt(10)
	v_mul_f64 v[88:89], v[6:7], v[42:43]
	v_mul_f64 v[90:91], v[4:5], v[42:43]
	;; [unrolled: 3-line block ×3, first 2 shown]
	v_mul_f64 v[94:95], v[46:47], v[42:43]
	v_mul_f64 v[42:43], v[44:45], v[42:43]
	s_waitcnt lgkmcnt(7)
	v_mul_f64 v[96:97], v[50:51], v[54:55]
	v_mul_f64 v[98:99], v[48:49], v[54:55]
	s_waitcnt lgkmcnt(6)
	v_mul_f64 v[100:101], v[50:51], v[58:59]
	s_waitcnt lgkmcnt(5)
	v_mul_f64 v[104:105], v[62:63], v[54:55]
	v_mul_f64 v[54:55], v[60:61], v[54:55]
	;; [unrolled: 1-line block ×5, first 2 shown]
	s_waitcnt lgkmcnt(3)
	v_mul_f64 v[108:109], v[70:71], v[66:67]
	v_mul_f64 v[110:111], v[68:69], v[66:67]
	s_and_b32 vcc_lo, exec_lo, s10
	v_fma_f64 v[84:85], v[4:5], v[36:37], -v[84:85]
	v_fma_f64 v[86:87], v[6:7], v[36:37], v[86:87]
	v_fma_f64 v[88:89], v[4:5], v[40:41], -v[88:89]
	v_fma_f64 v[90:91], v[6:7], v[40:41], v[90:91]
	;; [unrolled: 2-line block ×3, first 2 shown]
	v_fma_f64 v[94:95], v[44:45], v[40:41], -v[94:95]
	ds_read_b128 v[4:7], v34 offset:1536
	s_waitcnt lgkmcnt(3)
	v_mul_f64 v[112:113], v[70:71], v[74:75]
	v_mul_f64 v[114:115], v[68:69], v[74:75]
	v_fma_f64 v[118:119], v[46:47], v[40:41], v[42:43]
	v_fma_f64 v[96:97], v[48:49], v[52:53], -v[96:97]
	v_fma_f64 v[98:99], v[50:51], v[52:53], v[98:99]
	v_fma_f64 v[48:49], v[48:49], v[56:57], -v[100:101]
	s_waitcnt lgkmcnt(2)
	v_mul_f64 v[44:45], v[78:79], v[66:67]
	v_fma_f64 v[100:101], v[60:61], v[52:53], -v[104:105]
	v_fma_f64 v[52:53], v[62:63], v[52:53], v[54:55]
	v_mul_f64 v[46:47], v[76:77], v[66:67]
	v_mul_f64 v[54:55], v[78:79], v[74:75]
	;; [unrolled: 1-line block ×3, first 2 shown]
	v_fma_f64 v[50:51], v[50:51], v[56:57], v[102:103]
	v_fma_f64 v[60:61], v[60:61], v[56:57], -v[106:107]
	v_fma_f64 v[56:57], v[62:63], v[56:57], v[58:59]
	v_fma_f64 v[58:59], v[68:69], v[64:65], -v[108:109]
	v_fma_f64 v[62:63], v[70:71], v[64:65], v[110:111]
	v_add_f64 v[84:85], v[22:23], v[84:85]
	v_add_f64 v[86:87], v[86:87], v[24:25]
	;; [unrolled: 1-line block ×5, first 2 shown]
	v_fma_f64 v[68:69], v[68:69], v[72:73], -v[112:113]
	v_fma_f64 v[70:71], v[70:71], v[72:73], v[114:115]
	v_add_f64 v[106:107], v[116:117], v[16:17]
	ds_read_b128 v[36:39], v34 offset:1792
	ds_read_b128 v[40:43], v35 offset:2096
	s_waitcnt lgkmcnt(2)
	v_mul_f64 v[74:75], v[82:83], v[6:7]
	v_mul_f64 v[102:103], v[80:81], v[6:7]
	v_fma_f64 v[110:111], v[76:77], v[64:65], -v[44:45]
	ds_read_b128 v[14:17], v35 offset:64
	v_fma_f64 v[64:65], v[78:79], v[64:65], v[46:47]
	v_fma_f64 v[76:77], v[76:77], v[72:73], -v[54:55]
	v_fma_f64 v[66:67], v[78:79], v[72:73], v[66:67]
	v_add_f64 v[54:55], v[12:13], v[94:95]
	v_add_f64 v[72:73], v[118:119], v[10:11]
	ds_read_b128 v[18:21], v34 offset:2048
	ds_read_b128 v[22:25], v34 offset:2304
	;; [unrolled: 1-line block ×4, first 2 shown]
	v_add_f64 v[84:85], v[84:85], v[96:97]
	v_add_f64 v[86:87], v[98:99], v[86:87]
	;; [unrolled: 1-line block ×5, first 2 shown]
	s_waitcnt lgkmcnt(6)
	v_mul_f64 v[104:105], v[82:83], v[38:39]
	v_mul_f64 v[108:109], v[80:81], v[38:39]
	s_waitcnt lgkmcnt(5)
	v_mul_f64 v[112:113], v[42:43], v[6:7]
	v_mul_f64 v[6:7], v[40:41], v[6:7]
	v_add_f64 v[52:53], v[52:53], v[106:107]
	v_mul_f64 v[94:95], v[42:43], v[38:39]
	v_mul_f64 v[38:39], v[40:41], v[38:39]
	v_fma_f64 v[74:75], v[80:81], v[4:5], -v[74:75]
	v_fma_f64 v[78:79], v[82:83], v[4:5], v[102:103]
	ds_read_b128 v[48:51], v35 offset:2128
	s_waitcnt lgkmcnt(4)
	v_mul_f64 v[100:101], v[16:17], v[20:21]
	v_mul_f64 v[102:103], v[14:15], v[20:21]
	v_add_f64 v[60:61], v[54:55], v[60:61]
	v_add_f64 v[56:57], v[56:57], v[72:73]
	s_waitcnt lgkmcnt(3)
	v_mul_f64 v[106:107], v[14:15], v[24:25]
	s_waitcnt lgkmcnt(2)
	v_mul_f64 v[72:73], v[46:47], v[20:21]
	v_mul_f64 v[20:21], v[44:45], v[20:21]
	v_add_f64 v[58:59], v[84:85], v[58:59]
	v_add_f64 v[62:63], v[62:63], v[86:87]
	;; [unrolled: 1-line block ×5, first 2 shown]
	v_fma_f64 v[80:81], v[80:81], v[36:37], -v[104:105]
	v_fma_f64 v[82:83], v[82:83], v[36:37], v[108:109]
	v_fma_f64 v[96:97], v[40:41], v[4:5], -v[112:113]
	v_fma_f64 v[98:99], v[42:43], v[4:5], v[6:7]
	v_mul_f64 v[104:105], v[16:17], v[24:25]
	v_add_f64 v[64:65], v[64:65], v[52:53]
	v_mul_f64 v[86:87], v[46:47], v[24:25]
	v_mul_f64 v[24:25], v[44:45], v[24:25]
	v_fma_f64 v[40:41], v[40:41], v[36:37], -v[94:95]
	v_fma_f64 v[42:43], v[42:43], v[36:37], v[38:39]
	ds_read_b128 v[4:7], v35 offset:80
	ds_read_b128 v[52:55], v34 offset:2816
	v_add_f64 v[60:61], v[60:61], v[76:77]
	v_add_f64 v[56:57], v[66:67], v[56:57]
	v_fma_f64 v[90:91], v[14:15], v[18:19], -v[100:101]
	v_fma_f64 v[92:93], v[16:17], v[18:19], v[102:103]
	v_fma_f64 v[100:101], v[16:17], v[22:23], v[106:107]
	v_fma_f64 v[66:67], v[44:45], v[18:19], -v[72:73]
	v_add_f64 v[58:59], v[58:59], v[74:75]
	v_add_f64 v[62:63], v[78:79], v[62:63]
	v_fma_f64 v[72:73], v[46:47], v[18:19], v[20:21]
	v_add_f64 v[68:69], v[68:69], v[80:81]
	v_add_f64 v[70:71], v[82:83], v[70:71]
	;; [unrolled: 1-line block ×3, first 2 shown]
	s_waitcnt lgkmcnt(2)
	v_mul_f64 v[82:83], v[50:51], v[12:13]
	v_fma_f64 v[94:95], v[14:15], v[22:23], -v[104:105]
	v_add_f64 v[64:65], v[98:99], v[64:65]
	v_fma_f64 v[44:45], v[44:45], v[22:23], -v[86:87]
	v_fma_f64 v[46:47], v[46:47], v[22:23], v[24:25]
	s_waitcnt lgkmcnt(1)
	v_mul_f64 v[88:89], v[6:7], v[12:13]
	v_mul_f64 v[76:77], v[4:5], v[12:13]
	s_waitcnt lgkmcnt(0)
	v_mul_f64 v[78:79], v[6:7], v[54:55]
	v_mul_f64 v[80:81], v[4:5], v[54:55]
	;; [unrolled: 1-line block ×5, first 2 shown]
	v_add_f64 v[40:41], v[60:61], v[40:41]
	v_add_f64 v[42:43], v[42:43], v[56:57]
	ds_read_b128 v[14:17], v35 offset:96
	ds_read_b128 v[18:21], v34 offset:3072
	;; [unrolled: 1-line block ×4, first 2 shown]
	v_add_f64 v[56:57], v[58:59], v[90:91]
	v_add_f64 v[58:59], v[92:93], v[62:63]
	;; [unrolled: 1-line block ×3, first 2 shown]
	v_fma_f64 v[82:83], v[48:49], v[10:11], -v[82:83]
	v_add_f64 v[62:63], v[68:69], v[94:95]
	v_add_f64 v[68:69], v[100:101], v[70:71]
	;; [unrolled: 1-line block ×3, first 2 shown]
	v_fma_f64 v[60:61], v[4:5], v[10:11], -v[88:89]
	v_fma_f64 v[70:71], v[6:7], v[10:11], v[76:77]
	v_fma_f64 v[72:73], v[4:5], v[52:53], -v[78:79]
	v_fma_f64 v[74:75], v[6:7], v[52:53], v[80:81]
	ds_read_b128 v[4:7], v35 offset:112
	v_fma_f64 v[88:89], v[50:51], v[10:11], v[12:13]
	s_waitcnt lgkmcnt(3)
	v_mul_f64 v[76:77], v[16:17], v[20:21]
	v_mul_f64 v[78:79], v[14:15], v[20:21]
	s_waitcnt lgkmcnt(2)
	v_mul_f64 v[80:81], v[16:17], v[38:39]
	v_mul_f64 v[86:87], v[14:15], v[38:39]
	v_fma_f64 v[48:49], v[48:49], v[52:53], -v[84:85]
	v_fma_f64 v[50:51], v[50:51], v[52:53], v[54:55]
	v_add_f64 v[52:53], v[40:41], v[44:45]
	v_add_f64 v[46:47], v[46:47], v[42:43]
	s_waitcnt lgkmcnt(1)
	v_mul_f64 v[54:55], v[24:25], v[20:21]
	v_mul_f64 v[20:21], v[22:23], v[20:21]
	;; [unrolled: 1-line block ×4, first 2 shown]
	ds_read_b128 v[10:13], v35 offset:2160
	ds_read_b128 v[38:41], v34 offset:3584
	;; [unrolled: 1-line block ×3, first 2 shown]
	v_add_f64 v[66:67], v[66:67], v[82:83]
	s_waitcnt lgkmcnt(0)
	v_add_f64 v[56:57], v[56:57], v[60:61]
	v_add_f64 v[58:59], v[70:71], v[58:59]
	;; [unrolled: 1-line block ×4, first 2 shown]
	s_barrier
	v_add_f64 v[64:65], v[88:89], v[64:65]
	v_fma_f64 v[60:61], v[14:15], v[18:19], -v[76:77]
	v_fma_f64 v[70:71], v[16:17], v[18:19], v[78:79]
	v_fma_f64 v[14:15], v[14:15], v[36:37], -v[80:81]
	v_fma_f64 v[16:17], v[16:17], v[36:37], v[86:87]
	buffer_gl0_inv
	v_add_f64 v[48:49], v[52:53], v[48:49]
	v_add_f64 v[46:47], v[50:51], v[46:47]
	v_fma_f64 v[50:51], v[22:23], v[18:19], -v[54:55]
	v_fma_f64 v[18:19], v[24:25], v[18:19], v[20:21]
	v_fma_f64 v[20:21], v[22:23], v[36:37], -v[84:85]
	v_fma_f64 v[22:23], v[24:25], v[36:37], v[90:91]
	v_mul_f64 v[24:25], v[6:7], v[40:41]
	v_mul_f64 v[36:37], v[4:5], v[40:41]
	v_mul_f64 v[52:53], v[6:7], v[44:45]
	v_mul_f64 v[54:55], v[4:5], v[44:45]
	v_mul_f64 v[72:73], v[12:13], v[40:41]
	v_mul_f64 v[40:41], v[10:11], v[40:41]
	v_mul_f64 v[74:75], v[12:13], v[44:45]
	v_mul_f64 v[44:45], v[10:11], v[44:45]
	v_add_f64 v[56:57], v[56:57], v[60:61]
	v_add_f64 v[58:59], v[70:71], v[58:59]
	v_add_f64 v[14:15], v[62:63], v[14:15]
	v_add_f64 v[16:17], v[16:17], v[68:69]
	v_add_f64 v[50:51], v[66:67], v[50:51]
	v_add_f64 v[60:61], v[18:19], v[64:65]
	v_add_f64 v[48:49], v[48:49], v[20:21]
	v_add_f64 v[46:47], v[22:23], v[46:47]
	v_fma_f64 v[18:19], v[4:5], v[38:39], -v[24:25]
	v_fma_f64 v[20:21], v[6:7], v[38:39], v[36:37]
	v_fma_f64 v[4:5], v[4:5], v[42:43], -v[52:53]
	v_fma_f64 v[6:7], v[6:7], v[42:43], v[54:55]
	;; [unrolled: 2-line block ×4, first 2 shown]
	v_add_f64 v[22:23], v[56:57], v[18:19]
	v_add_f64 v[24:25], v[20:21], v[58:59]
	;; [unrolled: 1-line block ×8, first 2 shown]
	s_cbranch_vccz .LBB281_15
.LBB281_7:                              ; =>This Inner Loop Header: Depth=1
	s_mov_b32 s18, s7
	s_mov_b32 s10, 0
	s_and_saveexec_b32 s11, s0
	s_cbranch_execnz .LBB281_13
; %bb.8:                                ;   in Loop: Header=BB281_7 Depth=1
	s_or_b32 exec_lo, exec_lo, s11
	s_and_saveexec_b32 s11, s18
	s_xor_b32 s11, exec_lo, s11
	s_cbranch_execnz .LBB281_14
.LBB281_9:                              ;   in Loop: Header=BB281_7 Depth=1
	s_or_b32 exec_lo, exec_lo, s11
	s_and_saveexec_b32 s11, s10
	s_cbranch_execz .LBB281_11
.LBB281_10:                             ;   in Loop: Header=BB281_7 Depth=1
	v_mul_lo_u32 v2, s21, v8
	v_mul_lo_u32 v6, s20, v9
	v_mad_u64_u32 v[4:5], null, s20, v8, 0
	v_add3_u32 v5, v5, v6, v2
	v_lshlrev_b64 v[4:5], 4, v[4:5]
	v_add_co_u32 v4, vcc_lo, v29, v4
	v_add_co_ci_u32_e64 v5, null, v30, v5, vcc_lo
	global_load_dwordx4 v[4:7], v[4:5], off
	s_waitcnt vmcnt(0)
	ds_write2_b64 v28, v[4:5], v[6:7] offset1:1
.LBB281_11:                             ;   in Loop: Header=BB281_7 Depth=1
	s_or_b32 exec_lo, exec_lo, s11
	v_add_nc_u32_e32 v2, s2, v26
	v_mov_b32_e32 v4, 0
	v_mov_b32_e32 v6, 0
	;; [unrolled: 1-line block ×4, first 2 shown]
	v_cmp_gt_u64_e32 vcc_lo, s[12:13], v[2:3]
	s_and_b32 s11, vcc_lo, s1
	s_and_saveexec_b32 s10, s11
	s_cbranch_execz .LBB281_6
; %bb.12:                               ;   in Loop: Header=BB281_7 Depth=1
	v_mad_u64_u32 v[4:5], null, s26, v2, 0
	v_mad_u64_u32 v[5:6], null, s27, v2, v[5:6]
	v_lshlrev_b64 v[4:5], 4, v[4:5]
	v_add_co_u32 v4, vcc_lo, v32, v4
	v_add_co_ci_u32_e64 v5, null, v33, v5, vcc_lo
	global_load_dwordx4 v[4:7], v[4:5], off
	s_waitcnt vmcnt(0)
	v_xor_b32_e32 v7, 0x80000000, v7
	s_branch .LBB281_6
.LBB281_13:                             ;   in Loop: Header=BB281_7 Depth=1
	v_add_nc_u32_e32 v2, s2, v27
	v_mov_b32_e32 v9, v3
	s_andn2_b32 s18, s7, exec_lo
	s_mov_b32 s10, exec_lo
	v_cmp_le_u64_e32 vcc_lo, s[12:13], v[2:3]
	v_mov_b32_e32 v8, v2
	s_and_b32 s19, vcc_lo, exec_lo
	s_or_b32 s18, s18, s19
	s_or_b32 exec_lo, exec_lo, s11
	s_and_saveexec_b32 s11, s18
	s_xor_b32 s11, exec_lo, s11
	s_cbranch_execz .LBB281_9
.LBB281_14:                             ;   in Loop: Header=BB281_7 Depth=1
	v_mov_b32_e32 v2, v3
	v_mov_b32_e32 v4, v3
	;; [unrolled: 1-line block ×3, first 2 shown]
	s_andn2_b32 s10, s10, exec_lo
	ds_write_b128 v28, v[2:5]
	s_or_b32 exec_lo, exec_lo, s11
	s_and_saveexec_b32 s11, s10
	s_cbranch_execnz .LBB281_10
	s_branch .LBB281_11
.LBB281_15:
	v_add_nc_u32_e32 v27, s6, v1
	v_cmp_neq_f64_e64 s2, s[38:39], 0
	s_waitcnt lgkmcnt(0)
	s_mul_i32 s1, s31, s8
	s_mul_hi_u32 s3, s30, s8
	s_mul_i32 s0, s30, s8
	v_ashrrev_i32_e32 v3, 31, v27
	v_mul_lo_u32 v5, s29, v27
	v_mad_u64_u32 v[1:2], null, s28, v27, 0
	s_add_i32 s1, s3, s1
	v_mul_lo_u32 v3, s28, v3
	v_add_nc_u32_e32 v4, s5, v0
	s_lshl_b64 s[6:7], s[0:1], 4
	s_add_u32 s3, s42, s6
	s_addc_u32 s5, s43, s7
	s_xor_b32 s6, s9, -1
	v_cmp_le_i32_e32 vcc_lo, v27, v4
	v_add3_u32 v2, v2, v3, v5
	v_cmp_gt_i32_e64 s0, s4, v4
	v_ashrrev_i32_e32 v5, 31, v4
	s_or_b32 s2, s2, s6
	v_lshlrev_b64 v[0:1], 4, v[1:2]
	v_cndmask_b32_e64 v26, 0, 1, s2
	s_and_b32 s6, vcc_lo, s0
	v_add_co_u32 v8, s1, s3, v0
	v_add_co_ci_u32_e64 v9, null, s5, v1, s1
	s_and_saveexec_b32 s1, s6
	s_cbranch_execz .LBB281_19
; %bb.16:
	v_mul_f64 v[0:1], s[16:17], v[24:25]
	v_mul_f64 v[2:3], s[14:15], v[24:25]
	v_lshlrev_b64 v[6:7], 4, v[4:5]
	v_add_co_u32 v6, vcc_lo, v8, v6
	v_add_co_ci_u32_e64 v7, null, v9, v7, vcc_lo
	s_andn2_b32 vcc_lo, exec_lo, s2
	v_fma_f64 v[0:1], s[14:15], v[22:23], -v[0:1]
	v_fma_f64 v[2:3], s[16:17], v[22:23], v[2:3]
	s_cbranch_vccnz .LBB281_18
; %bb.17:
	global_load_dwordx4 v[22:25], v[6:7], off
	s_waitcnt vmcnt(0)
	v_mul_f64 v[28:29], s[40:41], v[24:25]
	v_mul_f64 v[24:25], s[38:39], v[24:25]
	v_fma_f64 v[28:29], s[38:39], v[22:23], -v[28:29]
	v_fma_f64 v[22:23], s[40:41], v[22:23], v[24:25]
	v_add_f64 v[0:1], v[0:1], v[28:29]
	v_add_f64 v[2:3], v[2:3], v[22:23]
.LBB281_18:
	global_store_dwordx4 v[6:7], v[0:3], off
.LBB281_19:
	s_or_b32 exec_lo, exec_lo, s1
	v_add_nc_u32_e32 v6, 16, v4
	v_cmp_le_i32_e32 vcc_lo, v27, v6
	v_cmp_gt_i32_e64 s1, s4, v6
	v_ashrrev_i32_e32 v7, 31, v6
	s_and_b32 s2, vcc_lo, s1
	s_and_saveexec_b32 s4, s2
	s_cbranch_execz .LBB281_23
; %bb.20:
	v_mul_f64 v[0:1], s[16:17], v[20:21]
	v_mul_f64 v[2:3], s[14:15], v[20:21]
	v_cmp_ne_u32_e32 vcc_lo, 1, v26
	s_and_b32 vcc_lo, exec_lo, vcc_lo
	v_fma_f64 v[0:1], s[14:15], v[18:19], -v[0:1]
	v_fma_f64 v[2:3], s[16:17], v[18:19], v[2:3]
	v_lshlrev_b64 v[18:19], 4, v[6:7]
	v_add_co_u32 v8, s2, v8, v18
	v_add_co_ci_u32_e64 v9, null, v9, v19, s2
	s_cbranch_vccnz .LBB281_22
; %bb.21:
	global_load_dwordx4 v[18:21], v[8:9], off
	s_waitcnt vmcnt(0)
	v_mul_f64 v[22:23], s[40:41], v[20:21]
	v_mul_f64 v[20:21], s[38:39], v[20:21]
	v_fma_f64 v[22:23], s[38:39], v[18:19], -v[22:23]
	v_fma_f64 v[18:19], s[40:41], v[18:19], v[20:21]
	v_add_f64 v[0:1], v[0:1], v[22:23]
	v_add_f64 v[2:3], v[2:3], v[18:19]
.LBB281_22:
	global_store_dwordx4 v[8:9], v[0:3], off
.LBB281_23:
	s_or_b32 exec_lo, exec_lo, s4
	v_add_nc_u32_e32 v18, 16, v27
	v_ashrrev_i32_e32 v2, 31, v18
	v_mul_lo_u32 v3, s29, v18
	v_mad_u64_u32 v[0:1], null, s28, v18, 0
	v_cmp_le_i32_e32 vcc_lo, v18, v4
	v_mul_lo_u32 v2, s28, v2
	s_and_b32 s0, vcc_lo, s0
	v_add3_u32 v1, v1, v2, v3
	v_lshlrev_b64 v[0:1], 4, v[0:1]
	v_add_co_u32 v8, s2, s3, v0
	v_add_co_ci_u32_e64 v9, null, s5, v1, s2
	s_and_saveexec_b32 s2, s0
	s_cbranch_execz .LBB281_27
; %bb.24:
	v_mul_f64 v[0:1], s[16:17], v[16:17]
	v_mul_f64 v[2:3], s[14:15], v[16:17]
	v_lshlrev_b64 v[4:5], 4, v[4:5]
	v_cmp_ne_u32_e32 vcc_lo, 1, v26
	s_and_b32 vcc_lo, exec_lo, vcc_lo
	v_add_co_u32 v4, s0, v8, v4
	v_add_co_ci_u32_e64 v5, null, v9, v5, s0
	v_fma_f64 v[0:1], s[14:15], v[14:15], -v[0:1]
	v_fma_f64 v[2:3], s[16:17], v[14:15], v[2:3]
	s_cbranch_vccnz .LBB281_26
; %bb.25:
	global_load_dwordx4 v[14:17], v[4:5], off
	s_waitcnt vmcnt(0)
	v_mul_f64 v[19:20], s[40:41], v[16:17]
	v_mul_f64 v[16:17], s[38:39], v[16:17]
	v_fma_f64 v[19:20], s[38:39], v[14:15], -v[19:20]
	v_fma_f64 v[14:15], s[40:41], v[14:15], v[16:17]
	v_add_f64 v[0:1], v[0:1], v[19:20]
	v_add_f64 v[2:3], v[2:3], v[14:15]
.LBB281_26:
	global_store_dwordx4 v[4:5], v[0:3], off
.LBB281_27:
	s_or_b32 exec_lo, exec_lo, s2
	v_cmp_le_i32_e32 vcc_lo, v18, v6
	s_and_b32 s0, vcc_lo, s1
	s_and_saveexec_b32 s1, s0
	s_cbranch_execz .LBB281_32
; %bb.28:
	v_mul_f64 v[0:1], s[16:17], v[10:11]
	v_mul_f64 v[2:3], s[14:15], v[10:11]
	v_lshlrev_b64 v[4:5], 4, v[6:7]
	v_cmp_ne_u32_e32 vcc_lo, 1, v26
	s_and_b32 vcc_lo, exec_lo, vcc_lo
	v_add_co_u32 v4, s0, v8, v4
	v_add_co_ci_u32_e64 v5, null, v9, v5, s0
	v_fma_f64 v[0:1], s[14:15], v[12:13], -v[0:1]
	v_fma_f64 v[2:3], s[16:17], v[12:13], v[2:3]
	s_cbranch_vccnz .LBB281_30
; %bb.29:
	global_load_dwordx4 v[6:9], v[4:5], off
	s_waitcnt vmcnt(0)
	v_mul_f64 v[10:11], s[40:41], v[8:9]
	v_mul_f64 v[8:9], s[38:39], v[8:9]
	v_fma_f64 v[10:11], s[38:39], v[6:7], -v[10:11]
	v_fma_f64 v[6:7], s[40:41], v[6:7], v[8:9]
	v_add_f64 v[0:1], v[0:1], v[10:11]
	v_add_f64 v[2:3], v[2:3], v[6:7]
.LBB281_30:
	global_store_dwordx4 v[4:5], v[0:3], off
	s_endpgm
.LBB281_31:
.LBB281_32:
	s_endpgm
	.section	.rodata,"a",@progbits
	.p2align	6, 0x0
	.amdhsa_kernel _ZL29rocblas_internal_gemmt_kernelIlLi16ELi32ELi8ELc78ELc67ELc76ELb0ELb1E19rocblas_complex_numIdES1_PKS1_PS1_EviT_T9_T10_S5_lS7_S5_lS6_T11_S5_li
		.amdhsa_group_segment_fixed_size 8192
		.amdhsa_private_segment_fixed_size 0
		.amdhsa_kernarg_size 124
		.amdhsa_user_sgpr_count 6
		.amdhsa_user_sgpr_private_segment_buffer 1
		.amdhsa_user_sgpr_dispatch_ptr 0
		.amdhsa_user_sgpr_queue_ptr 0
		.amdhsa_user_sgpr_kernarg_segment_ptr 1
		.amdhsa_user_sgpr_dispatch_id 0
		.amdhsa_user_sgpr_flat_scratch_init 0
		.amdhsa_user_sgpr_private_segment_size 0
		.amdhsa_wavefront_size32 1
		.amdhsa_uses_dynamic_stack 0
		.amdhsa_system_sgpr_private_segment_wavefront_offset 0
		.amdhsa_system_sgpr_workgroup_id_x 1
		.amdhsa_system_sgpr_workgroup_id_y 1
		.amdhsa_system_sgpr_workgroup_id_z 1
		.amdhsa_system_sgpr_workgroup_info 0
		.amdhsa_system_vgpr_workitem_id 1
		.amdhsa_next_free_vgpr 120
		.amdhsa_next_free_sgpr 44
		.amdhsa_reserve_vcc 1
		.amdhsa_reserve_flat_scratch 0
		.amdhsa_float_round_mode_32 0
		.amdhsa_float_round_mode_16_64 0
		.amdhsa_float_denorm_mode_32 3
		.amdhsa_float_denorm_mode_16_64 3
		.amdhsa_dx10_clamp 1
		.amdhsa_ieee_mode 1
		.amdhsa_fp16_overflow 0
		.amdhsa_workgroup_processor_mode 1
		.amdhsa_memory_ordered 1
		.amdhsa_forward_progress 1
		.amdhsa_shared_vgpr_count 0
		.amdhsa_exception_fp_ieee_invalid_op 0
		.amdhsa_exception_fp_denorm_src 0
		.amdhsa_exception_fp_ieee_div_zero 0
		.amdhsa_exception_fp_ieee_overflow 0
		.amdhsa_exception_fp_ieee_underflow 0
		.amdhsa_exception_fp_ieee_inexact 0
		.amdhsa_exception_int_div_zero 0
	.end_amdhsa_kernel
	.section	.text._ZL29rocblas_internal_gemmt_kernelIlLi16ELi32ELi8ELc78ELc67ELc76ELb0ELb1E19rocblas_complex_numIdES1_PKS1_PS1_EviT_T9_T10_S5_lS7_S5_lS6_T11_S5_li,"axG",@progbits,_ZL29rocblas_internal_gemmt_kernelIlLi16ELi32ELi8ELc78ELc67ELc76ELb0ELb1E19rocblas_complex_numIdES1_PKS1_PS1_EviT_T9_T10_S5_lS7_S5_lS6_T11_S5_li,comdat
.Lfunc_end281:
	.size	_ZL29rocblas_internal_gemmt_kernelIlLi16ELi32ELi8ELc78ELc67ELc76ELb0ELb1E19rocblas_complex_numIdES1_PKS1_PS1_EviT_T9_T10_S5_lS7_S5_lS6_T11_S5_li, .Lfunc_end281-_ZL29rocblas_internal_gemmt_kernelIlLi16ELi32ELi8ELc78ELc67ELc76ELb0ELb1E19rocblas_complex_numIdES1_PKS1_PS1_EviT_T9_T10_S5_lS7_S5_lS6_T11_S5_li
                                        ; -- End function
	.set _ZL29rocblas_internal_gemmt_kernelIlLi16ELi32ELi8ELc78ELc67ELc76ELb0ELb1E19rocblas_complex_numIdES1_PKS1_PS1_EviT_T9_T10_S5_lS7_S5_lS6_T11_S5_li.num_vgpr, 120
	.set _ZL29rocblas_internal_gemmt_kernelIlLi16ELi32ELi8ELc78ELc67ELc76ELb0ELb1E19rocblas_complex_numIdES1_PKS1_PS1_EviT_T9_T10_S5_lS7_S5_lS6_T11_S5_li.num_agpr, 0
	.set _ZL29rocblas_internal_gemmt_kernelIlLi16ELi32ELi8ELc78ELc67ELc76ELb0ELb1E19rocblas_complex_numIdES1_PKS1_PS1_EviT_T9_T10_S5_lS7_S5_lS6_T11_S5_li.numbered_sgpr, 44
	.set _ZL29rocblas_internal_gemmt_kernelIlLi16ELi32ELi8ELc78ELc67ELc76ELb0ELb1E19rocblas_complex_numIdES1_PKS1_PS1_EviT_T9_T10_S5_lS7_S5_lS6_T11_S5_li.num_named_barrier, 0
	.set _ZL29rocblas_internal_gemmt_kernelIlLi16ELi32ELi8ELc78ELc67ELc76ELb0ELb1E19rocblas_complex_numIdES1_PKS1_PS1_EviT_T9_T10_S5_lS7_S5_lS6_T11_S5_li.private_seg_size, 0
	.set _ZL29rocblas_internal_gemmt_kernelIlLi16ELi32ELi8ELc78ELc67ELc76ELb0ELb1E19rocblas_complex_numIdES1_PKS1_PS1_EviT_T9_T10_S5_lS7_S5_lS6_T11_S5_li.uses_vcc, 1
	.set _ZL29rocblas_internal_gemmt_kernelIlLi16ELi32ELi8ELc78ELc67ELc76ELb0ELb1E19rocblas_complex_numIdES1_PKS1_PS1_EviT_T9_T10_S5_lS7_S5_lS6_T11_S5_li.uses_flat_scratch, 0
	.set _ZL29rocblas_internal_gemmt_kernelIlLi16ELi32ELi8ELc78ELc67ELc76ELb0ELb1E19rocblas_complex_numIdES1_PKS1_PS1_EviT_T9_T10_S5_lS7_S5_lS6_T11_S5_li.has_dyn_sized_stack, 0
	.set _ZL29rocblas_internal_gemmt_kernelIlLi16ELi32ELi8ELc78ELc67ELc76ELb0ELb1E19rocblas_complex_numIdES1_PKS1_PS1_EviT_T9_T10_S5_lS7_S5_lS6_T11_S5_li.has_recursion, 0
	.set _ZL29rocblas_internal_gemmt_kernelIlLi16ELi32ELi8ELc78ELc67ELc76ELb0ELb1E19rocblas_complex_numIdES1_PKS1_PS1_EviT_T9_T10_S5_lS7_S5_lS6_T11_S5_li.has_indirect_call, 0
	.section	.AMDGPU.csdata,"",@progbits
; Kernel info:
; codeLenInByte = 3616
; TotalNumSgprs: 46
; NumVgprs: 120
; ScratchSize: 0
; MemoryBound: 1
; FloatMode: 240
; IeeeMode: 1
; LDSByteSize: 8192 bytes/workgroup (compile time only)
; SGPRBlocks: 0
; VGPRBlocks: 14
; NumSGPRsForWavesPerEU: 46
; NumVGPRsForWavesPerEU: 120
; Occupancy: 8
; WaveLimiterHint : 0
; COMPUTE_PGM_RSRC2:SCRATCH_EN: 0
; COMPUTE_PGM_RSRC2:USER_SGPR: 6
; COMPUTE_PGM_RSRC2:TRAP_HANDLER: 0
; COMPUTE_PGM_RSRC2:TGID_X_EN: 1
; COMPUTE_PGM_RSRC2:TGID_Y_EN: 1
; COMPUTE_PGM_RSRC2:TGID_Z_EN: 1
; COMPUTE_PGM_RSRC2:TIDIG_COMP_CNT: 1
	.section	.text._ZL29rocblas_internal_gemmt_kernelIlLi16ELi32ELi8ELc84ELc78ELc76ELb0ELb0E19rocblas_complex_numIdES1_PKS1_PS1_EviT_T9_T10_S5_lS7_S5_lS6_T11_S5_li,"axG",@progbits,_ZL29rocblas_internal_gemmt_kernelIlLi16ELi32ELi8ELc84ELc78ELc76ELb0ELb0E19rocblas_complex_numIdES1_PKS1_PS1_EviT_T9_T10_S5_lS7_S5_lS6_T11_S5_li,comdat
	.globl	_ZL29rocblas_internal_gemmt_kernelIlLi16ELi32ELi8ELc84ELc78ELc76ELb0ELb0E19rocblas_complex_numIdES1_PKS1_PS1_EviT_T9_T10_S5_lS7_S5_lS6_T11_S5_li ; -- Begin function _ZL29rocblas_internal_gemmt_kernelIlLi16ELi32ELi8ELc84ELc78ELc76ELb0ELb0E19rocblas_complex_numIdES1_PKS1_PS1_EviT_T9_T10_S5_lS7_S5_lS6_T11_S5_li
	.p2align	8
	.type	_ZL29rocblas_internal_gemmt_kernelIlLi16ELi32ELi8ELc84ELc78ELc76ELb0ELb0E19rocblas_complex_numIdES1_PKS1_PS1_EviT_T9_T10_S5_lS7_S5_lS6_T11_S5_li,@function
_ZL29rocblas_internal_gemmt_kernelIlLi16ELi32ELi8ELc84ELc78ELc76ELb0ELb0E19rocblas_complex_numIdES1_PKS1_PS1_EviT_T9_T10_S5_lS7_S5_lS6_T11_S5_li: ; @_ZL29rocblas_internal_gemmt_kernelIlLi16ELi32ELi8ELc84ELc78ELc76ELb0ELb0E19rocblas_complex_numIdES1_PKS1_PS1_EviT_T9_T10_S5_lS7_S5_lS6_T11_S5_li
; %bb.0:
	s_clause 0x1
	s_load_dwordx8 s[36:43], s[4:5], 0x48
	s_load_dwordx16 s[12:27], s[4:5], 0x8
	s_waitcnt lgkmcnt(0)
	v_cmp_eq_f64_e64 s0, s[38:39], 1.0
	v_cmp_eq_f64_e64 s9, s[40:41], 0
	s_and_b32 s0, s0, s9
	s_andn2_b32 vcc_lo, exec_lo, s0
	s_mov_b32 s0, -1
	s_cbranch_vccnz .LBB282_3
; %bb.1:
	s_cmp_lg_u64 s[12:13], 0
	s_cbranch_scc0 .LBB282_33
; %bb.2:
	v_cmp_neq_f64_e64 s0, s[14:15], 0
	v_cmp_neq_f64_e64 s1, s[16:17], 0
	s_or_b32 s0, s0, s1
.LBB282_3:
	s_and_b32 vcc_lo, exec_lo, s0
	s_cbranch_vccz .LBB282_34
; %bb.4:
	v_cmp_eq_f64_e64 s0, s[14:15], 0
	v_cmp_eq_f64_e64 s1, s[16:17], 0
	s_clause 0x1
	s_load_dwordx4 s[28:31], s[4:5], 0x68
	s_load_dword s4, s[4:5], 0x0
	v_cmp_lt_i64_e64 s2, s[12:13], 1
	v_mov_b32_e32 v20, 0
	v_mov_b32_e32 v22, 0
	;; [unrolled: 1-line block ×16, first 2 shown]
	s_lshl_b32 s5, s6, 5
	s_lshl_b32 s6, s7, 5
	s_and_b32 s0, s0, s1
	s_or_b32 s0, s0, s2
	s_and_b32 vcc_lo, exec_lo, s0
	s_cbranch_vccnz .LBB282_17
; %bb.5:
	v_lshl_add_u32 v6, v1, 4, v0
	s_mul_i32 s1, s37, s8
	s_mul_hi_u32 s2, s36, s8
	s_mul_i32 s0, s36, s8
	s_add_i32 s1, s2, s1
	v_lshrrev_b32_e32 v7, 3, v6
	v_and_b32_e32 v8, 31, v6
	s_lshl_b64 s[0:1], s[0:1], 4
	s_mul_hi_u32 s3, s22, s8
	s_add_u32 s2, s24, s0
	v_add_nc_u32_e32 v9, s6, v7
	v_or_b32_e32 v10, s5, v8
	s_mul_i32 s0, s23, s8
	s_addc_u32 s10, s25, s1
	s_add_i32 s1, s3, s0
	v_ashrrev_i32_e32 v4, 31, v9
	s_mul_i32 s0, s22, s8
	v_mul_lo_u32 v11, s21, v10
	v_mad_u64_u32 v[2:3], null, s20, v10, 0
	s_lshl_b64 s[0:1], s[0:1], 4
	v_mul_lo_u32 v12, s26, v4
	v_mul_lo_u32 v13, s27, v9
	v_mad_u64_u32 v[4:5], null, s26, v9, 0
	s_add_u32 s3, s18, s0
	s_addc_u32 s1, s19, s1
	s_ashr_i32 s0, s5, 31
	v_and_b32_e32 v24, 7, v0
	s_mul_i32 s0, s20, s0
	v_lshrrev_b32_e32 v25, 5, v6
	v_add3_u32 v3, v3, s0, v11
	v_add3_u32 v5, v5, v12, v13
	v_lshlrev_b32_e32 v6, 4, v8
	v_lshlrev_b32_e32 v8, 4, v24
	s_waitcnt lgkmcnt(0)
	v_cmp_gt_i32_e64 s0, s4, v10
	v_lshlrev_b64 v[2:3], 4, v[2:3]
	v_lshlrev_b64 v[4:5], 4, v[4:5]
	v_lshl_or_b32 v26, v25, 9, v6
	v_lshl_or_b32 v6, v7, 7, v8
	v_cmp_le_i32_e64 s7, s4, v10
	v_mov_b32_e32 v10, 0
	v_add_co_u32 v27, vcc_lo, s3, v2
	v_add_co_ci_u32_e64 v28, null, s1, v3, vcc_lo
	v_cmp_gt_i32_e32 vcc_lo, s4, v9
	v_add_co_u32 v30, s1, s2, v4
	v_mov_b32_e32 v8, 0
	v_mov_b32_e32 v14, 0
	;; [unrolled: 1-line block ×7, first 2 shown]
	v_add_nc_u32_e32 v29, 0x1000, v6
	v_add_co_ci_u32_e64 v31, null, s10, v5, s1
	v_lshlrev_b32_e32 v32, 4, v0
	v_lshl_add_u32 v33, v1, 7, 0x1000
	v_mov_b32_e32 v9, 0
	v_mov_b32_e32 v11, 0
	;; [unrolled: 1-line block ×9, first 2 shown]
	s_mov_b64 s[2:3], 0
	s_xor_b32 s1, vcc_lo, -1
                                        ; implicit-def: $vgpr6_vgpr7
	s_branch .LBB282_7
.LBB282_6:                              ;   in Loop: Header=BB282_7 Depth=1
	s_or_b32 exec_lo, exec_lo, s10
	s_waitcnt lgkmcnt(0)
	s_barrier
	buffer_gl0_inv
	ds_read_b128 v[34:37], v33
	ds_read_b128 v[38:41], v33 offset:16
	ds_read_b128 v[42:45], v33 offset:32
	;; [unrolled: 1-line block ×3, first 2 shown]
	ds_read_b128 v[50:53], v32
	s_add_u32 s2, s2, 8
	s_addc_u32 s3, s3, 0
	v_cmp_gt_i64_e64 s10, s[12:13], s[2:3]
	s_and_b32 vcc_lo, exec_lo, s10
	s_waitcnt lgkmcnt(0)
	v_mul_f64 v[4:5], v[36:37], v[52:53]
	v_mul_f64 v[54:55], v[34:35], v[52:53]
	v_fma_f64 v[4:5], v[34:35], v[50:51], -v[4:5]
	v_fma_f64 v[54:55], v[36:37], v[50:51], v[54:55]
	v_add_f64 v[4:5], v[20:21], v[4:5]
	v_add_f64 v[54:55], v[54:55], v[22:23]
	ds_read_b128 v[20:23], v32 offset:256
	s_waitcnt lgkmcnt(0)
	v_mul_f64 v[56:57], v[36:37], v[22:23]
	v_fma_f64 v[56:57], v[34:35], v[20:21], -v[56:57]
	v_mul_f64 v[34:35], v[34:35], v[22:23]
	v_fma_f64 v[34:35], v[36:37], v[20:21], v[34:35]
	v_add_f64 v[36:37], v[16:17], v[56:57]
	v_add_f64 v[34:35], v[34:35], v[18:19]
	ds_read_b128 v[16:19], v33 offset:2048
	s_waitcnt lgkmcnt(0)
	v_mul_f64 v[56:57], v[18:19], v[52:53]
	v_mul_f64 v[52:53], v[16:17], v[52:53]
	v_fma_f64 v[56:57], v[16:17], v[50:51], -v[56:57]
	v_fma_f64 v[50:51], v[18:19], v[50:51], v[52:53]
	v_add_f64 v[52:53], v[12:13], v[56:57]
	v_add_f64 v[50:51], v[50:51], v[14:15]
	v_mul_f64 v[12:13], v[18:19], v[22:23]
	v_mul_f64 v[14:15], v[16:17], v[22:23]
	v_fma_f64 v[12:13], v[16:17], v[20:21], -v[12:13]
	v_fma_f64 v[14:15], v[18:19], v[20:21], v[14:15]
	v_add_f64 v[20:21], v[10:11], v[12:13]
	v_add_f64 v[22:23], v[14:15], v[8:9]
	ds_read_b128 v[8:11], v32 offset:512
	s_waitcnt lgkmcnt(0)
	v_mul_f64 v[12:13], v[40:41], v[10:11]
	v_mul_f64 v[14:15], v[38:39], v[10:11]
	v_fma_f64 v[12:13], v[38:39], v[8:9], -v[12:13]
	v_fma_f64 v[14:15], v[40:41], v[8:9], v[14:15]
	v_add_f64 v[4:5], v[4:5], v[12:13]
	v_add_f64 v[54:55], v[14:15], v[54:55]
	ds_read_b128 v[12:15], v32 offset:768
	s_waitcnt lgkmcnt(0)
	;; [unrolled: 8-line block ×3, first 2 shown]
	v_mul_f64 v[38:39], v[18:19], v[10:11]
	v_mul_f64 v[10:11], v[16:17], v[10:11]
	v_fma_f64 v[38:39], v[16:17], v[8:9], -v[38:39]
	v_fma_f64 v[8:9], v[18:19], v[8:9], v[10:11]
	v_mul_f64 v[10:11], v[16:17], v[14:15]
	v_add_f64 v[38:39], v[52:53], v[38:39]
	v_add_f64 v[40:41], v[8:9], v[50:51]
	v_mul_f64 v[8:9], v[18:19], v[14:15]
	v_fma_f64 v[10:11], v[18:19], v[12:13], v[10:11]
	v_fma_f64 v[8:9], v[16:17], v[12:13], -v[8:9]
	v_add_f64 v[22:23], v[10:11], v[22:23]
	v_add_f64 v[20:21], v[20:21], v[8:9]
	ds_read_b128 v[8:11], v32 offset:1024
	s_waitcnt lgkmcnt(0)
	v_mul_f64 v[12:13], v[44:45], v[10:11]
	v_mul_f64 v[14:15], v[42:43], v[10:11]
	v_fma_f64 v[12:13], v[42:43], v[8:9], -v[12:13]
	v_fma_f64 v[14:15], v[44:45], v[8:9], v[14:15]
	v_add_f64 v[4:5], v[4:5], v[12:13]
	v_add_f64 v[50:51], v[14:15], v[54:55]
	ds_read_b128 v[12:15], v32 offset:1280
	s_waitcnt lgkmcnt(0)
	v_mul_f64 v[16:17], v[44:45], v[14:15]
	v_mul_f64 v[18:19], v[42:43], v[14:15]
	v_fma_f64 v[16:17], v[42:43], v[12:13], -v[16:17]
	v_fma_f64 v[18:19], v[44:45], v[12:13], v[18:19]
	;; [unrolled: 8-line block ×3, first 2 shown]
	v_mul_f64 v[10:11], v[16:17], v[14:15]
	v_add_f64 v[38:39], v[38:39], v[42:43]
	v_add_f64 v[40:41], v[8:9], v[40:41]
	v_mul_f64 v[8:9], v[18:19], v[14:15]
	v_fma_f64 v[10:11], v[18:19], v[12:13], v[10:11]
	v_fma_f64 v[8:9], v[16:17], v[12:13], -v[8:9]
	v_add_f64 v[22:23], v[10:11], v[22:23]
	v_add_f64 v[20:21], v[20:21], v[8:9]
	ds_read_b128 v[8:11], v32 offset:1536
	s_waitcnt lgkmcnt(0)
	v_mul_f64 v[12:13], v[48:49], v[10:11]
	v_mul_f64 v[14:15], v[46:47], v[10:11]
	v_fma_f64 v[12:13], v[46:47], v[8:9], -v[12:13]
	v_fma_f64 v[14:15], v[48:49], v[8:9], v[14:15]
	v_add_f64 v[4:5], v[4:5], v[12:13]
	v_add_f64 v[42:43], v[14:15], v[50:51]
	ds_read_b128 v[12:15], v32 offset:1792
	s_waitcnt lgkmcnt(0)
	v_mul_f64 v[16:17], v[48:49], v[14:15]
	v_mul_f64 v[18:19], v[46:47], v[14:15]
	v_fma_f64 v[16:17], v[46:47], v[12:13], -v[16:17]
	v_fma_f64 v[18:19], v[48:49], v[12:13], v[18:19]
	;; [unrolled: 8-line block ×3, first 2 shown]
	v_mul_f64 v[10:11], v[16:17], v[14:15]
	v_add_f64 v[38:39], v[38:39], v[44:45]
	v_add_f64 v[40:41], v[8:9], v[40:41]
	v_mul_f64 v[8:9], v[18:19], v[14:15]
	v_fma_f64 v[10:11], v[18:19], v[12:13], v[10:11]
	v_fma_f64 v[8:9], v[16:17], v[12:13], -v[8:9]
	v_add_f64 v[22:23], v[10:11], v[22:23]
	v_add_f64 v[20:21], v[20:21], v[8:9]
	ds_read_b128 v[8:11], v33 offset:64
	ds_read_b128 v[12:15], v32 offset:2048
	s_waitcnt lgkmcnt(0)
	v_mul_f64 v[16:17], v[10:11], v[14:15]
	v_mul_f64 v[18:19], v[8:9], v[14:15]
	v_fma_f64 v[16:17], v[8:9], v[12:13], -v[16:17]
	v_fma_f64 v[18:19], v[10:11], v[12:13], v[18:19]
	v_add_f64 v[4:5], v[4:5], v[16:17]
	v_add_f64 v[42:43], v[18:19], v[42:43]
	ds_read_b128 v[16:19], v32 offset:2304
	s_waitcnt lgkmcnt(0)
	v_mul_f64 v[44:45], v[10:11], v[18:19]
	v_fma_f64 v[44:45], v[8:9], v[16:17], -v[44:45]
	v_mul_f64 v[8:9], v[8:9], v[18:19]
	v_add_f64 v[36:37], v[36:37], v[44:45]
	v_fma_f64 v[8:9], v[10:11], v[16:17], v[8:9]
	v_add_f64 v[34:35], v[8:9], v[34:35]
	ds_read_b128 v[8:11], v33 offset:2112
	s_waitcnt lgkmcnt(0)
	v_mul_f64 v[44:45], v[10:11], v[14:15]
	v_mul_f64 v[14:15], v[8:9], v[14:15]
	v_fma_f64 v[44:45], v[8:9], v[12:13], -v[44:45]
	v_fma_f64 v[12:13], v[10:11], v[12:13], v[14:15]
	v_add_f64 v[38:39], v[38:39], v[44:45]
	v_add_f64 v[40:41], v[12:13], v[40:41]
	v_mul_f64 v[12:13], v[10:11], v[18:19]
	v_fma_f64 v[12:13], v[8:9], v[16:17], -v[12:13]
	v_mul_f64 v[8:9], v[8:9], v[18:19]
	v_add_f64 v[20:21], v[20:21], v[12:13]
	v_fma_f64 v[8:9], v[10:11], v[16:17], v[8:9]
	v_add_f64 v[22:23], v[8:9], v[22:23]
	ds_read_b128 v[8:11], v33 offset:80
	ds_read_b128 v[12:15], v32 offset:2560
	s_waitcnt lgkmcnt(0)
	v_mul_f64 v[16:17], v[10:11], v[14:15]
	v_mul_f64 v[18:19], v[8:9], v[14:15]
	v_fma_f64 v[16:17], v[8:9], v[12:13], -v[16:17]
	v_fma_f64 v[18:19], v[10:11], v[12:13], v[18:19]
	v_add_f64 v[4:5], v[4:5], v[16:17]
	v_add_f64 v[42:43], v[18:19], v[42:43]
	ds_read_b128 v[16:19], v32 offset:2816
	s_waitcnt lgkmcnt(0)
	v_mul_f64 v[44:45], v[10:11], v[18:19]
	v_fma_f64 v[44:45], v[8:9], v[16:17], -v[44:45]
	v_mul_f64 v[8:9], v[8:9], v[18:19]
	v_add_f64 v[36:37], v[36:37], v[44:45]
	v_fma_f64 v[8:9], v[10:11], v[16:17], v[8:9]
	v_add_f64 v[34:35], v[8:9], v[34:35]
	ds_read_b128 v[8:11], v33 offset:2128
	s_waitcnt lgkmcnt(0)
	v_mul_f64 v[44:45], v[10:11], v[14:15]
	v_mul_f64 v[14:15], v[8:9], v[14:15]
	v_fma_f64 v[44:45], v[8:9], v[12:13], -v[44:45]
	v_fma_f64 v[12:13], v[10:11], v[12:13], v[14:15]
	v_add_f64 v[38:39], v[38:39], v[44:45]
	v_add_f64 v[40:41], v[12:13], v[40:41]
	v_mul_f64 v[12:13], v[10:11], v[18:19]
	v_fma_f64 v[12:13], v[8:9], v[16:17], -v[12:13]
	v_mul_f64 v[8:9], v[8:9], v[18:19]
	v_add_f64 v[20:21], v[20:21], v[12:13]
	v_fma_f64 v[8:9], v[10:11], v[16:17], v[8:9]
	v_add_f64 v[22:23], v[8:9], v[22:23]
	ds_read_b128 v[8:11], v33 offset:96
	ds_read_b128 v[12:15], v32 offset:3072
	s_waitcnt lgkmcnt(0)
	v_mul_f64 v[16:17], v[10:11], v[14:15]
	v_mul_f64 v[18:19], v[8:9], v[14:15]
	v_fma_f64 v[16:17], v[8:9], v[12:13], -v[16:17]
	v_fma_f64 v[18:19], v[10:11], v[12:13], v[18:19]
	v_add_f64 v[4:5], v[4:5], v[16:17]
	v_add_f64 v[42:43], v[18:19], v[42:43]
	ds_read_b128 v[16:19], v32 offset:3328
	s_waitcnt lgkmcnt(0)
	v_mul_f64 v[44:45], v[10:11], v[18:19]
	v_fma_f64 v[44:45], v[8:9], v[16:17], -v[44:45]
	v_mul_f64 v[8:9], v[8:9], v[18:19]
	v_add_f64 v[44:45], v[36:37], v[44:45]
	v_fma_f64 v[8:9], v[10:11], v[16:17], v[8:9]
	v_add_f64 v[46:47], v[8:9], v[34:35]
	ds_read_b128 v[8:11], v33 offset:2144
	s_waitcnt lgkmcnt(0)
	v_mul_f64 v[34:35], v[10:11], v[14:15]
	v_mul_f64 v[14:15], v[8:9], v[14:15]
	v_fma_f64 v[34:35], v[8:9], v[12:13], -v[34:35]
	v_fma_f64 v[12:13], v[10:11], v[12:13], v[14:15]
	v_add_f64 v[38:39], v[38:39], v[34:35]
	v_add_f64 v[40:41], v[12:13], v[40:41]
	v_mul_f64 v[12:13], v[10:11], v[18:19]
	v_fma_f64 v[12:13], v[8:9], v[16:17], -v[12:13]
	v_mul_f64 v[8:9], v[8:9], v[18:19]
	v_add_f64 v[48:49], v[20:21], v[12:13]
	v_fma_f64 v[8:9], v[10:11], v[16:17], v[8:9]
	v_add_f64 v[50:51], v[8:9], v[22:23]
	ds_read_b128 v[8:11], v33 offset:112
	ds_read_b128 v[12:15], v32 offset:3584
	;; [unrolled: 1-line block ×3, first 2 shown]
	s_waitcnt lgkmcnt(1)
	v_mul_f64 v[16:17], v[10:11], v[14:15]
	v_mul_f64 v[18:19], v[8:9], v[14:15]
	v_fma_f64 v[16:17], v[8:9], v[12:13], -v[16:17]
	v_fma_f64 v[18:19], v[10:11], v[12:13], v[18:19]
	v_add_f64 v[20:21], v[4:5], v[16:17]
	s_waitcnt lgkmcnt(0)
	v_mul_f64 v[4:5], v[10:11], v[36:37]
	v_add_f64 v[22:23], v[18:19], v[42:43]
	v_fma_f64 v[4:5], v[8:9], v[34:35], -v[4:5]
	v_mul_f64 v[8:9], v[8:9], v[36:37]
	v_add_f64 v[16:17], v[44:45], v[4:5]
	v_fma_f64 v[8:9], v[10:11], v[34:35], v[8:9]
	v_add_f64 v[18:19], v[8:9], v[46:47]
	ds_read_b128 v[8:11], v33 offset:2160
	s_waitcnt lgkmcnt(0)
	s_barrier
	buffer_gl0_inv
	v_mul_f64 v[4:5], v[10:11], v[14:15]
	v_mul_f64 v[14:15], v[8:9], v[14:15]
	v_fma_f64 v[4:5], v[8:9], v[12:13], -v[4:5]
	v_fma_f64 v[14:15], v[10:11], v[12:13], v[14:15]
	v_add_f64 v[12:13], v[38:39], v[4:5]
	v_mul_f64 v[4:5], v[10:11], v[36:37]
	v_add_f64 v[14:15], v[14:15], v[40:41]
	v_fma_f64 v[4:5], v[8:9], v[34:35], -v[4:5]
	v_mul_f64 v[8:9], v[8:9], v[36:37]
	v_fma_f64 v[8:9], v[10:11], v[34:35], v[8:9]
	v_add_f64 v[10:11], v[48:49], v[4:5]
	v_add_f64 v[8:9], v[8:9], v[50:51]
	s_cbranch_vccz .LBB282_17
.LBB282_7:                              ; =>This Inner Loop Header: Depth=1
	s_mov_b32 s18, s7
	s_mov_b32 s10, 0
	s_and_saveexec_b32 s11, s0
	s_cbranch_execnz .LBB282_15
; %bb.8:                                ;   in Loop: Header=BB282_7 Depth=1
	s_or_b32 exec_lo, exec_lo, s11
	s_and_saveexec_b32 s11, s18
	s_xor_b32 s11, exec_lo, s11
	s_cbranch_execnz .LBB282_16
.LBB282_9:                              ;   in Loop: Header=BB282_7 Depth=1
	s_or_b32 exec_lo, exec_lo, s11
	s_and_saveexec_b32 s11, s10
	s_cbranch_execz .LBB282_11
.LBB282_10:                             ;   in Loop: Header=BB282_7 Depth=1
	v_lshlrev_b64 v[4:5], 4, v[6:7]
	v_add_co_u32 v4, vcc_lo, v27, v4
	v_add_co_ci_u32_e64 v5, null, v28, v5, vcc_lo
	global_load_dwordx4 v[34:37], v[4:5], off
	s_waitcnt vmcnt(0)
	ds_write2_b64 v26, v[34:35], v[36:37] offset1:1
.LBB282_11:                             ;   in Loop: Header=BB282_7 Depth=1
	s_or_b32 exec_lo, exec_lo, s11
	v_add_nc_u32_e32 v2, s2, v24
	v_cmp_le_u64_e32 vcc_lo, s[12:13], v[2:3]
	s_or_b32 s10, vcc_lo, s1
	s_and_saveexec_b32 s11, s10
	s_xor_b32 s10, exec_lo, s11
	s_cbranch_execz .LBB282_13
; %bb.12:                               ;   in Loop: Header=BB282_7 Depth=1
	v_mov_b32_e32 v2, v3
	v_mov_b32_e32 v4, v3
	;; [unrolled: 1-line block ×3, first 2 shown]
	ds_write_b128 v29, v[2:5]
.LBB282_13:                             ;   in Loop: Header=BB282_7 Depth=1
	s_andn2_saveexec_b32 s10, s10
	s_cbranch_execz .LBB282_6
; %bb.14:                               ;   in Loop: Header=BB282_7 Depth=1
	v_lshlrev_b64 v[4:5], 4, v[2:3]
	v_add_co_u32 v4, vcc_lo, v30, v4
	v_add_co_ci_u32_e64 v5, null, v31, v5, vcc_lo
	global_load_dwordx4 v[34:37], v[4:5], off
	s_waitcnt vmcnt(0)
	ds_write2_b64 v29, v[34:35], v[36:37] offset1:1
	s_branch .LBB282_6
.LBB282_15:                             ;   in Loop: Header=BB282_7 Depth=1
	v_add_nc_u32_e32 v2, s2, v25
	v_mov_b32_e32 v7, v3
	s_andn2_b32 s18, s7, exec_lo
	s_mov_b32 s10, exec_lo
	v_cmp_le_u64_e32 vcc_lo, s[12:13], v[2:3]
	v_mov_b32_e32 v6, v2
	s_and_b32 s19, vcc_lo, exec_lo
	s_or_b32 s18, s18, s19
	s_or_b32 exec_lo, exec_lo, s11
	s_and_saveexec_b32 s11, s18
	s_xor_b32 s11, exec_lo, s11
	s_cbranch_execz .LBB282_9
.LBB282_16:                             ;   in Loop: Header=BB282_7 Depth=1
	v_mov_b32_e32 v2, v3
	v_mov_b32_e32 v4, v3
	v_mov_b32_e32 v5, v3
	s_andn2_b32 s10, s10, exec_lo
	ds_write_b128 v26, v[2:5]
	s_or_b32 exec_lo, exec_lo, s11
	s_and_saveexec_b32 s11, s10
	s_cbranch_execnz .LBB282_10
	s_branch .LBB282_11
.LBB282_17:
	v_add_nc_u32_e32 v25, s6, v1
	v_cmp_neq_f64_e64 s2, s[38:39], 0
	s_waitcnt lgkmcnt(0)
	s_mul_i32 s1, s31, s8
	s_mul_hi_u32 s3, s30, s8
	s_mul_i32 s0, s30, s8
	v_ashrrev_i32_e32 v3, 31, v25
	v_mul_lo_u32 v5, s29, v25
	v_mad_u64_u32 v[1:2], null, s28, v25, 0
	s_add_i32 s1, s3, s1
	v_mul_lo_u32 v3, s28, v3
	v_add_nc_u32_e32 v4, s5, v0
	s_lshl_b64 s[6:7], s[0:1], 4
	s_add_u32 s3, s42, s6
	s_addc_u32 s5, s43, s7
	s_xor_b32 s6, s9, -1
	v_cmp_le_i32_e32 vcc_lo, v25, v4
	v_add3_u32 v2, v2, v3, v5
	v_cmp_gt_i32_e64 s0, s4, v4
	v_ashrrev_i32_e32 v5, 31, v4
	s_or_b32 s2, s2, s6
	v_lshlrev_b64 v[0:1], 4, v[1:2]
	v_cndmask_b32_e64 v24, 0, 1, s2
	s_and_b32 s6, vcc_lo, s0
	v_add_co_u32 v26, s1, s3, v0
	v_add_co_ci_u32_e64 v27, null, s5, v1, s1
	s_and_saveexec_b32 s1, s6
	s_cbranch_execz .LBB282_21
; %bb.18:
	v_mul_f64 v[0:1], s[16:17], v[22:23]
	v_mul_f64 v[2:3], s[14:15], v[22:23]
	v_lshlrev_b64 v[6:7], 4, v[4:5]
	v_add_co_u32 v6, vcc_lo, v26, v6
	v_add_co_ci_u32_e64 v7, null, v27, v7, vcc_lo
	s_andn2_b32 vcc_lo, exec_lo, s2
	v_fma_f64 v[0:1], s[14:15], v[20:21], -v[0:1]
	v_fma_f64 v[2:3], s[16:17], v[20:21], v[2:3]
	s_cbranch_vccnz .LBB282_20
; %bb.19:
	global_load_dwordx4 v[20:23], v[6:7], off
	s_waitcnt vmcnt(0)
	v_mul_f64 v[28:29], s[40:41], v[22:23]
	v_mul_f64 v[22:23], s[38:39], v[22:23]
	v_fma_f64 v[28:29], s[38:39], v[20:21], -v[28:29]
	v_fma_f64 v[20:21], s[40:41], v[20:21], v[22:23]
	v_add_f64 v[0:1], v[0:1], v[28:29]
	v_add_f64 v[2:3], v[2:3], v[20:21]
.LBB282_20:
	global_store_dwordx4 v[6:7], v[0:3], off
.LBB282_21:
	s_or_b32 exec_lo, exec_lo, s1
	v_add_nc_u32_e32 v6, 16, v4
	v_cmp_le_i32_e32 vcc_lo, v25, v6
	v_cmp_gt_i32_e64 s1, s4, v6
	v_ashrrev_i32_e32 v7, 31, v6
	s_and_b32 s2, vcc_lo, s1
	s_and_saveexec_b32 s4, s2
	s_cbranch_execz .LBB282_25
; %bb.22:
	v_mul_f64 v[0:1], s[16:17], v[18:19]
	v_mul_f64 v[2:3], s[14:15], v[18:19]
	v_cmp_ne_u32_e32 vcc_lo, 1, v24
	s_and_b32 vcc_lo, exec_lo, vcc_lo
	v_fma_f64 v[0:1], s[14:15], v[16:17], -v[0:1]
	v_fma_f64 v[2:3], s[16:17], v[16:17], v[2:3]
	v_lshlrev_b64 v[16:17], 4, v[6:7]
	v_add_co_u32 v16, s2, v26, v16
	v_add_co_ci_u32_e64 v17, null, v27, v17, s2
	s_cbranch_vccnz .LBB282_24
; %bb.23:
	global_load_dwordx4 v[18:21], v[16:17], off
	s_waitcnt vmcnt(0)
	v_mul_f64 v[22:23], s[40:41], v[20:21]
	v_mul_f64 v[20:21], s[38:39], v[20:21]
	v_fma_f64 v[22:23], s[38:39], v[18:19], -v[22:23]
	v_fma_f64 v[18:19], s[40:41], v[18:19], v[20:21]
	v_add_f64 v[0:1], v[0:1], v[22:23]
	v_add_f64 v[2:3], v[2:3], v[18:19]
.LBB282_24:
	global_store_dwordx4 v[16:17], v[0:3], off
.LBB282_25:
	s_or_b32 exec_lo, exec_lo, s4
	v_add_nc_u32_e32 v18, 16, v25
	v_ashrrev_i32_e32 v2, 31, v18
	v_mul_lo_u32 v3, s29, v18
	v_mad_u64_u32 v[0:1], null, s28, v18, 0
	v_cmp_le_i32_e32 vcc_lo, v18, v4
	v_mul_lo_u32 v2, s28, v2
	s_and_b32 s0, vcc_lo, s0
	v_add3_u32 v1, v1, v2, v3
	v_lshlrev_b64 v[0:1], 4, v[0:1]
	v_add_co_u32 v16, s2, s3, v0
	v_add_co_ci_u32_e64 v17, null, s5, v1, s2
	s_and_saveexec_b32 s2, s0
	s_cbranch_execz .LBB282_29
; %bb.26:
	v_mul_f64 v[0:1], s[16:17], v[14:15]
	v_mul_f64 v[2:3], s[14:15], v[14:15]
	v_lshlrev_b64 v[4:5], 4, v[4:5]
	v_cmp_ne_u32_e32 vcc_lo, 1, v24
	s_and_b32 vcc_lo, exec_lo, vcc_lo
	v_add_co_u32 v4, s0, v16, v4
	v_add_co_ci_u32_e64 v5, null, v17, v5, s0
	v_fma_f64 v[0:1], s[14:15], v[12:13], -v[0:1]
	v_fma_f64 v[2:3], s[16:17], v[12:13], v[2:3]
	s_cbranch_vccnz .LBB282_28
; %bb.27:
	global_load_dwordx4 v[12:15], v[4:5], off
	s_waitcnt vmcnt(0)
	v_mul_f64 v[19:20], s[40:41], v[14:15]
	v_mul_f64 v[14:15], s[38:39], v[14:15]
	v_fma_f64 v[19:20], s[38:39], v[12:13], -v[19:20]
	v_fma_f64 v[12:13], s[40:41], v[12:13], v[14:15]
	v_add_f64 v[0:1], v[0:1], v[19:20]
	v_add_f64 v[2:3], v[2:3], v[12:13]
.LBB282_28:
	global_store_dwordx4 v[4:5], v[0:3], off
.LBB282_29:
	s_or_b32 exec_lo, exec_lo, s2
	v_cmp_le_i32_e32 vcc_lo, v18, v6
	s_and_b32 s0, vcc_lo, s1
	s_and_saveexec_b32 s1, s0
	s_cbranch_execz .LBB282_34
; %bb.30:
	v_mul_f64 v[0:1], s[16:17], v[8:9]
	v_mul_f64 v[2:3], s[14:15], v[8:9]
	v_lshlrev_b64 v[4:5], 4, v[6:7]
	v_cmp_ne_u32_e32 vcc_lo, 1, v24
	s_and_b32 vcc_lo, exec_lo, vcc_lo
	v_add_co_u32 v4, s0, v16, v4
	v_add_co_ci_u32_e64 v5, null, v17, v5, s0
	v_fma_f64 v[0:1], s[14:15], v[10:11], -v[0:1]
	v_fma_f64 v[2:3], s[16:17], v[10:11], v[2:3]
	s_cbranch_vccnz .LBB282_32
; %bb.31:
	global_load_dwordx4 v[6:9], v[4:5], off
	s_waitcnt vmcnt(0)
	v_mul_f64 v[10:11], s[40:41], v[8:9]
	v_mul_f64 v[8:9], s[38:39], v[8:9]
	v_fma_f64 v[10:11], s[38:39], v[6:7], -v[10:11]
	v_fma_f64 v[6:7], s[40:41], v[6:7], v[8:9]
	v_add_f64 v[0:1], v[0:1], v[10:11]
	v_add_f64 v[2:3], v[2:3], v[6:7]
.LBB282_32:
	global_store_dwordx4 v[4:5], v[0:3], off
	s_endpgm
.LBB282_33:
.LBB282_34:
	s_endpgm
	.section	.rodata,"a",@progbits
	.p2align	6, 0x0
	.amdhsa_kernel _ZL29rocblas_internal_gemmt_kernelIlLi16ELi32ELi8ELc84ELc78ELc76ELb0ELb0E19rocblas_complex_numIdES1_PKS1_PS1_EviT_T9_T10_S5_lS7_S5_lS6_T11_S5_li
		.amdhsa_group_segment_fixed_size 8192
		.amdhsa_private_segment_fixed_size 0
		.amdhsa_kernarg_size 124
		.amdhsa_user_sgpr_count 6
		.amdhsa_user_sgpr_private_segment_buffer 1
		.amdhsa_user_sgpr_dispatch_ptr 0
		.amdhsa_user_sgpr_queue_ptr 0
		.amdhsa_user_sgpr_kernarg_segment_ptr 1
		.amdhsa_user_sgpr_dispatch_id 0
		.amdhsa_user_sgpr_flat_scratch_init 0
		.amdhsa_user_sgpr_private_segment_size 0
		.amdhsa_wavefront_size32 1
		.amdhsa_uses_dynamic_stack 0
		.amdhsa_system_sgpr_private_segment_wavefront_offset 0
		.amdhsa_system_sgpr_workgroup_id_x 1
		.amdhsa_system_sgpr_workgroup_id_y 1
		.amdhsa_system_sgpr_workgroup_id_z 1
		.amdhsa_system_sgpr_workgroup_info 0
		.amdhsa_system_vgpr_workitem_id 1
		.amdhsa_next_free_vgpr 58
		.amdhsa_next_free_sgpr 44
		.amdhsa_reserve_vcc 1
		.amdhsa_reserve_flat_scratch 0
		.amdhsa_float_round_mode_32 0
		.amdhsa_float_round_mode_16_64 0
		.amdhsa_float_denorm_mode_32 3
		.amdhsa_float_denorm_mode_16_64 3
		.amdhsa_dx10_clamp 1
		.amdhsa_ieee_mode 1
		.amdhsa_fp16_overflow 0
		.amdhsa_workgroup_processor_mode 1
		.amdhsa_memory_ordered 1
		.amdhsa_forward_progress 1
		.amdhsa_shared_vgpr_count 0
		.amdhsa_exception_fp_ieee_invalid_op 0
		.amdhsa_exception_fp_denorm_src 0
		.amdhsa_exception_fp_ieee_div_zero 0
		.amdhsa_exception_fp_ieee_overflow 0
		.amdhsa_exception_fp_ieee_underflow 0
		.amdhsa_exception_fp_ieee_inexact 0
		.amdhsa_exception_int_div_zero 0
	.end_amdhsa_kernel
	.section	.text._ZL29rocblas_internal_gemmt_kernelIlLi16ELi32ELi8ELc84ELc78ELc76ELb0ELb0E19rocblas_complex_numIdES1_PKS1_PS1_EviT_T9_T10_S5_lS7_S5_lS6_T11_S5_li,"axG",@progbits,_ZL29rocblas_internal_gemmt_kernelIlLi16ELi32ELi8ELc84ELc78ELc76ELb0ELb0E19rocblas_complex_numIdES1_PKS1_PS1_EviT_T9_T10_S5_lS7_S5_lS6_T11_S5_li,comdat
.Lfunc_end282:
	.size	_ZL29rocblas_internal_gemmt_kernelIlLi16ELi32ELi8ELc84ELc78ELc76ELb0ELb0E19rocblas_complex_numIdES1_PKS1_PS1_EviT_T9_T10_S5_lS7_S5_lS6_T11_S5_li, .Lfunc_end282-_ZL29rocblas_internal_gemmt_kernelIlLi16ELi32ELi8ELc84ELc78ELc76ELb0ELb0E19rocblas_complex_numIdES1_PKS1_PS1_EviT_T9_T10_S5_lS7_S5_lS6_T11_S5_li
                                        ; -- End function
	.set _ZL29rocblas_internal_gemmt_kernelIlLi16ELi32ELi8ELc84ELc78ELc76ELb0ELb0E19rocblas_complex_numIdES1_PKS1_PS1_EviT_T9_T10_S5_lS7_S5_lS6_T11_S5_li.num_vgpr, 58
	.set _ZL29rocblas_internal_gemmt_kernelIlLi16ELi32ELi8ELc84ELc78ELc76ELb0ELb0E19rocblas_complex_numIdES1_PKS1_PS1_EviT_T9_T10_S5_lS7_S5_lS6_T11_S5_li.num_agpr, 0
	.set _ZL29rocblas_internal_gemmt_kernelIlLi16ELi32ELi8ELc84ELc78ELc76ELb0ELb0E19rocblas_complex_numIdES1_PKS1_PS1_EviT_T9_T10_S5_lS7_S5_lS6_T11_S5_li.numbered_sgpr, 44
	.set _ZL29rocblas_internal_gemmt_kernelIlLi16ELi32ELi8ELc84ELc78ELc76ELb0ELb0E19rocblas_complex_numIdES1_PKS1_PS1_EviT_T9_T10_S5_lS7_S5_lS6_T11_S5_li.num_named_barrier, 0
	.set _ZL29rocblas_internal_gemmt_kernelIlLi16ELi32ELi8ELc84ELc78ELc76ELb0ELb0E19rocblas_complex_numIdES1_PKS1_PS1_EviT_T9_T10_S5_lS7_S5_lS6_T11_S5_li.private_seg_size, 0
	.set _ZL29rocblas_internal_gemmt_kernelIlLi16ELi32ELi8ELc84ELc78ELc76ELb0ELb0E19rocblas_complex_numIdES1_PKS1_PS1_EviT_T9_T10_S5_lS7_S5_lS6_T11_S5_li.uses_vcc, 1
	.set _ZL29rocblas_internal_gemmt_kernelIlLi16ELi32ELi8ELc84ELc78ELc76ELb0ELb0E19rocblas_complex_numIdES1_PKS1_PS1_EviT_T9_T10_S5_lS7_S5_lS6_T11_S5_li.uses_flat_scratch, 0
	.set _ZL29rocblas_internal_gemmt_kernelIlLi16ELi32ELi8ELc84ELc78ELc76ELb0ELb0E19rocblas_complex_numIdES1_PKS1_PS1_EviT_T9_T10_S5_lS7_S5_lS6_T11_S5_li.has_dyn_sized_stack, 0
	.set _ZL29rocblas_internal_gemmt_kernelIlLi16ELi32ELi8ELc84ELc78ELc76ELb0ELb0E19rocblas_complex_numIdES1_PKS1_PS1_EviT_T9_T10_S5_lS7_S5_lS6_T11_S5_li.has_recursion, 0
	.set _ZL29rocblas_internal_gemmt_kernelIlLi16ELi32ELi8ELc84ELc78ELc76ELb0ELb0E19rocblas_complex_numIdES1_PKS1_PS1_EviT_T9_T10_S5_lS7_S5_lS6_T11_S5_li.has_indirect_call, 0
	.section	.AMDGPU.csdata,"",@progbits
; Kernel info:
; codeLenInByte = 3644
; TotalNumSgprs: 46
; NumVgprs: 58
; ScratchSize: 0
; MemoryBound: 0
; FloatMode: 240
; IeeeMode: 1
; LDSByteSize: 8192 bytes/workgroup (compile time only)
; SGPRBlocks: 0
; VGPRBlocks: 7
; NumSGPRsForWavesPerEU: 46
; NumVGPRsForWavesPerEU: 58
; Occupancy: 16
; WaveLimiterHint : 0
; COMPUTE_PGM_RSRC2:SCRATCH_EN: 0
; COMPUTE_PGM_RSRC2:USER_SGPR: 6
; COMPUTE_PGM_RSRC2:TRAP_HANDLER: 0
; COMPUTE_PGM_RSRC2:TGID_X_EN: 1
; COMPUTE_PGM_RSRC2:TGID_Y_EN: 1
; COMPUTE_PGM_RSRC2:TGID_Z_EN: 1
; COMPUTE_PGM_RSRC2:TIDIG_COMP_CNT: 1
	.section	.text._ZL29rocblas_internal_gemmt_kernelIlLi16ELi32ELi8ELc84ELc84ELc76ELb0ELb0E19rocblas_complex_numIdES1_PKS1_PS1_EviT_T9_T10_S5_lS7_S5_lS6_T11_S5_li,"axG",@progbits,_ZL29rocblas_internal_gemmt_kernelIlLi16ELi32ELi8ELc84ELc84ELc76ELb0ELb0E19rocblas_complex_numIdES1_PKS1_PS1_EviT_T9_T10_S5_lS7_S5_lS6_T11_S5_li,comdat
	.globl	_ZL29rocblas_internal_gemmt_kernelIlLi16ELi32ELi8ELc84ELc84ELc76ELb0ELb0E19rocblas_complex_numIdES1_PKS1_PS1_EviT_T9_T10_S5_lS7_S5_lS6_T11_S5_li ; -- Begin function _ZL29rocblas_internal_gemmt_kernelIlLi16ELi32ELi8ELc84ELc84ELc76ELb0ELb0E19rocblas_complex_numIdES1_PKS1_PS1_EviT_T9_T10_S5_lS7_S5_lS6_T11_S5_li
	.p2align	8
	.type	_ZL29rocblas_internal_gemmt_kernelIlLi16ELi32ELi8ELc84ELc84ELc76ELb0ELb0E19rocblas_complex_numIdES1_PKS1_PS1_EviT_T9_T10_S5_lS7_S5_lS6_T11_S5_li,@function
_ZL29rocblas_internal_gemmt_kernelIlLi16ELi32ELi8ELc84ELc84ELc76ELb0ELb0E19rocblas_complex_numIdES1_PKS1_PS1_EviT_T9_T10_S5_lS7_S5_lS6_T11_S5_li: ; @_ZL29rocblas_internal_gemmt_kernelIlLi16ELi32ELi8ELc84ELc84ELc76ELb0ELb0E19rocblas_complex_numIdES1_PKS1_PS1_EviT_T9_T10_S5_lS7_S5_lS6_T11_S5_li
; %bb.0:
	s_clause 0x1
	s_load_dwordx8 s[36:43], s[4:5], 0x48
	s_load_dwordx16 s[12:27], s[4:5], 0x8
	s_waitcnt lgkmcnt(0)
	v_cmp_eq_f64_e64 s0, s[38:39], 1.0
	v_cmp_eq_f64_e64 s9, s[40:41], 0
	s_and_b32 s0, s0, s9
	s_andn2_b32 vcc_lo, exec_lo, s0
	s_mov_b32 s0, -1
	s_cbranch_vccnz .LBB283_3
; %bb.1:
	s_cmp_lg_u64 s[12:13], 0
	s_cbranch_scc0 .LBB283_33
; %bb.2:
	v_cmp_neq_f64_e64 s0, s[14:15], 0
	v_cmp_neq_f64_e64 s1, s[16:17], 0
	s_or_b32 s0, s0, s1
.LBB283_3:
	s_and_b32 vcc_lo, exec_lo, s0
	s_cbranch_vccz .LBB283_34
; %bb.4:
	v_cmp_eq_f64_e64 s0, s[14:15], 0
	v_cmp_eq_f64_e64 s1, s[16:17], 0
	s_clause 0x1
	s_load_dwordx4 s[28:31], s[4:5], 0x68
	s_load_dword s4, s[4:5], 0x0
	v_cmp_lt_i64_e64 s2, s[12:13], 1
	v_mov_b32_e32 v20, 0
	v_mov_b32_e32 v22, 0
	;; [unrolled: 1-line block ×16, first 2 shown]
	s_lshl_b32 s5, s6, 5
	s_lshl_b32 s6, s7, 5
	s_and_b32 s0, s0, s1
	s_or_b32 s0, s0, s2
	s_and_b32 vcc_lo, exec_lo, s0
	s_cbranch_vccnz .LBB283_17
; %bb.5:
	v_lshl_add_u32 v4, v1, 4, v0
	s_mul_i32 s1, s37, s8
	s_mul_hi_u32 s2, s36, s8
	s_mul_i32 s0, s36, s8
	s_add_i32 s1, s2, s1
	v_and_b32_e32 v5, 31, v4
	s_lshl_b64 s[0:1], s[0:1], 4
	s_mul_i32 s2, s23, s8
	s_mul_hi_u32 s3, s22, s8
	s_add_u32 s10, s24, s0
	v_or_b32_e32 v6, s5, v5
	s_addc_u32 s11, s25, s1
	s_add_i32 s1, s3, s2
	s_mul_i32 s0, s22, s8
	v_lshrrev_b32_e32 v8, 3, v4
	v_mul_lo_u32 v7, s21, v6
	v_mad_u64_u32 v[2:3], null, s20, v6, 0
	s_lshl_b64 s[0:1], s[0:1], 4
	v_lshrrev_b32_e32 v25, 5, v4
	s_add_u32 s2, s18, s0
	s_addc_u32 s1, s19, s1
	s_ashr_i32 s0, s5, 31
	v_add_nc_u32_e32 v4, s6, v8
	s_mul_i32 s0, s20, s0
	v_and_b32_e32 v24, 7, v0
	v_add3_u32 v3, v3, s0, v7
	v_lshlrev_b32_e32 v7, 4, v5
	v_ashrrev_i32_e32 v5, 31, v4
	s_waitcnt lgkmcnt(0)
	v_cmp_gt_i32_e64 s0, s4, v6
	v_lshlrev_b32_e32 v9, 4, v24
	v_lshlrev_b64 v[2:3], 4, v[2:3]
	v_cmp_le_i32_e64 s7, s4, v6
	v_lshlrev_b64 v[5:6], 4, v[4:5]
	v_lshl_or_b32 v26, v25, 9, v7
	v_lshl_or_b32 v7, v8, 7, v9
	v_mov_b32_e32 v8, 0
	v_add_co_u32 v27, vcc_lo, s2, v2
	v_add_co_ci_u32_e64 v28, null, s1, v3, vcc_lo
	v_cmp_gt_i32_e32 vcc_lo, s4, v4
	v_add_co_u32 v30, s1, s10, v5
	v_mov_b32_e32 v10, 0
	v_mov_b32_e32 v14, 0
	;; [unrolled: 1-line block ×7, first 2 shown]
	v_add_nc_u32_e32 v29, 0x1000, v7
	v_add_co_ci_u32_e64 v31, null, s11, v6, s1
	v_lshlrev_b32_e32 v32, 4, v0
	v_lshl_add_u32 v33, v1, 7, 0x1000
	v_mov_b32_e32 v9, 0
	v_mov_b32_e32 v11, 0
	;; [unrolled: 1-line block ×9, first 2 shown]
	s_mov_b64 s[2:3], 0
	s_xor_b32 s1, vcc_lo, -1
                                        ; implicit-def: $vgpr6_vgpr7
	s_branch .LBB283_7
.LBB283_6:                              ;   in Loop: Header=BB283_7 Depth=1
	s_or_b32 exec_lo, exec_lo, s10
	s_waitcnt lgkmcnt(0)
	s_barrier
	buffer_gl0_inv
	ds_read_b128 v[34:37], v33
	ds_read_b128 v[38:41], v33 offset:16
	ds_read_b128 v[42:45], v33 offset:32
	;; [unrolled: 1-line block ×3, first 2 shown]
	ds_read_b128 v[50:53], v32
	s_add_u32 s2, s2, 8
	s_addc_u32 s3, s3, 0
	v_cmp_gt_i64_e64 s10, s[12:13], s[2:3]
	s_and_b32 vcc_lo, exec_lo, s10
	s_waitcnt lgkmcnt(0)
	v_mul_f64 v[4:5], v[36:37], v[52:53]
	v_mul_f64 v[54:55], v[34:35], v[52:53]
	v_fma_f64 v[4:5], v[34:35], v[50:51], -v[4:5]
	v_fma_f64 v[54:55], v[36:37], v[50:51], v[54:55]
	v_add_f64 v[4:5], v[20:21], v[4:5]
	v_add_f64 v[54:55], v[54:55], v[22:23]
	ds_read_b128 v[20:23], v32 offset:256
	s_waitcnt lgkmcnt(0)
	v_mul_f64 v[56:57], v[36:37], v[22:23]
	v_fma_f64 v[56:57], v[34:35], v[20:21], -v[56:57]
	v_mul_f64 v[34:35], v[34:35], v[22:23]
	v_fma_f64 v[34:35], v[36:37], v[20:21], v[34:35]
	v_add_f64 v[36:37], v[16:17], v[56:57]
	v_add_f64 v[34:35], v[34:35], v[18:19]
	ds_read_b128 v[16:19], v33 offset:2048
	s_waitcnt lgkmcnt(0)
	v_mul_f64 v[56:57], v[18:19], v[52:53]
	v_mul_f64 v[52:53], v[16:17], v[52:53]
	v_fma_f64 v[56:57], v[16:17], v[50:51], -v[56:57]
	v_fma_f64 v[50:51], v[18:19], v[50:51], v[52:53]
	v_add_f64 v[52:53], v[12:13], v[56:57]
	v_add_f64 v[50:51], v[50:51], v[14:15]
	v_mul_f64 v[12:13], v[18:19], v[22:23]
	v_mul_f64 v[14:15], v[16:17], v[22:23]
	v_fma_f64 v[12:13], v[16:17], v[20:21], -v[12:13]
	v_fma_f64 v[14:15], v[18:19], v[20:21], v[14:15]
	v_add_f64 v[20:21], v[10:11], v[12:13]
	v_add_f64 v[22:23], v[14:15], v[8:9]
	ds_read_b128 v[8:11], v32 offset:512
	s_waitcnt lgkmcnt(0)
	v_mul_f64 v[12:13], v[40:41], v[10:11]
	v_mul_f64 v[14:15], v[38:39], v[10:11]
	v_fma_f64 v[12:13], v[38:39], v[8:9], -v[12:13]
	v_fma_f64 v[14:15], v[40:41], v[8:9], v[14:15]
	v_add_f64 v[4:5], v[4:5], v[12:13]
	v_add_f64 v[54:55], v[14:15], v[54:55]
	ds_read_b128 v[12:15], v32 offset:768
	s_waitcnt lgkmcnt(0)
	;; [unrolled: 8-line block ×3, first 2 shown]
	v_mul_f64 v[38:39], v[18:19], v[10:11]
	v_mul_f64 v[10:11], v[16:17], v[10:11]
	v_fma_f64 v[38:39], v[16:17], v[8:9], -v[38:39]
	v_fma_f64 v[8:9], v[18:19], v[8:9], v[10:11]
	v_mul_f64 v[10:11], v[16:17], v[14:15]
	v_add_f64 v[38:39], v[52:53], v[38:39]
	v_add_f64 v[40:41], v[8:9], v[50:51]
	v_mul_f64 v[8:9], v[18:19], v[14:15]
	v_fma_f64 v[10:11], v[18:19], v[12:13], v[10:11]
	v_fma_f64 v[8:9], v[16:17], v[12:13], -v[8:9]
	v_add_f64 v[22:23], v[10:11], v[22:23]
	v_add_f64 v[20:21], v[20:21], v[8:9]
	ds_read_b128 v[8:11], v32 offset:1024
	s_waitcnt lgkmcnt(0)
	v_mul_f64 v[12:13], v[44:45], v[10:11]
	v_mul_f64 v[14:15], v[42:43], v[10:11]
	v_fma_f64 v[12:13], v[42:43], v[8:9], -v[12:13]
	v_fma_f64 v[14:15], v[44:45], v[8:9], v[14:15]
	v_add_f64 v[4:5], v[4:5], v[12:13]
	v_add_f64 v[50:51], v[14:15], v[54:55]
	ds_read_b128 v[12:15], v32 offset:1280
	s_waitcnt lgkmcnt(0)
	v_mul_f64 v[16:17], v[44:45], v[14:15]
	v_mul_f64 v[18:19], v[42:43], v[14:15]
	v_fma_f64 v[16:17], v[42:43], v[12:13], -v[16:17]
	v_fma_f64 v[18:19], v[44:45], v[12:13], v[18:19]
	;; [unrolled: 8-line block ×3, first 2 shown]
	v_mul_f64 v[10:11], v[16:17], v[14:15]
	v_add_f64 v[38:39], v[38:39], v[42:43]
	v_add_f64 v[40:41], v[8:9], v[40:41]
	v_mul_f64 v[8:9], v[18:19], v[14:15]
	v_fma_f64 v[10:11], v[18:19], v[12:13], v[10:11]
	v_fma_f64 v[8:9], v[16:17], v[12:13], -v[8:9]
	v_add_f64 v[22:23], v[10:11], v[22:23]
	v_add_f64 v[20:21], v[20:21], v[8:9]
	ds_read_b128 v[8:11], v32 offset:1536
	s_waitcnt lgkmcnt(0)
	v_mul_f64 v[12:13], v[48:49], v[10:11]
	v_mul_f64 v[14:15], v[46:47], v[10:11]
	v_fma_f64 v[12:13], v[46:47], v[8:9], -v[12:13]
	v_fma_f64 v[14:15], v[48:49], v[8:9], v[14:15]
	v_add_f64 v[4:5], v[4:5], v[12:13]
	v_add_f64 v[42:43], v[14:15], v[50:51]
	ds_read_b128 v[12:15], v32 offset:1792
	s_waitcnt lgkmcnt(0)
	v_mul_f64 v[16:17], v[48:49], v[14:15]
	v_mul_f64 v[18:19], v[46:47], v[14:15]
	v_fma_f64 v[16:17], v[46:47], v[12:13], -v[16:17]
	v_fma_f64 v[18:19], v[48:49], v[12:13], v[18:19]
	;; [unrolled: 8-line block ×3, first 2 shown]
	v_mul_f64 v[10:11], v[16:17], v[14:15]
	v_add_f64 v[38:39], v[38:39], v[44:45]
	v_add_f64 v[40:41], v[8:9], v[40:41]
	v_mul_f64 v[8:9], v[18:19], v[14:15]
	v_fma_f64 v[10:11], v[18:19], v[12:13], v[10:11]
	v_fma_f64 v[8:9], v[16:17], v[12:13], -v[8:9]
	v_add_f64 v[22:23], v[10:11], v[22:23]
	v_add_f64 v[20:21], v[20:21], v[8:9]
	ds_read_b128 v[8:11], v33 offset:64
	ds_read_b128 v[12:15], v32 offset:2048
	s_waitcnt lgkmcnt(0)
	v_mul_f64 v[16:17], v[10:11], v[14:15]
	v_mul_f64 v[18:19], v[8:9], v[14:15]
	v_fma_f64 v[16:17], v[8:9], v[12:13], -v[16:17]
	v_fma_f64 v[18:19], v[10:11], v[12:13], v[18:19]
	v_add_f64 v[4:5], v[4:5], v[16:17]
	v_add_f64 v[42:43], v[18:19], v[42:43]
	ds_read_b128 v[16:19], v32 offset:2304
	s_waitcnt lgkmcnt(0)
	v_mul_f64 v[44:45], v[10:11], v[18:19]
	v_fma_f64 v[44:45], v[8:9], v[16:17], -v[44:45]
	v_mul_f64 v[8:9], v[8:9], v[18:19]
	v_add_f64 v[36:37], v[36:37], v[44:45]
	v_fma_f64 v[8:9], v[10:11], v[16:17], v[8:9]
	v_add_f64 v[34:35], v[8:9], v[34:35]
	ds_read_b128 v[8:11], v33 offset:2112
	s_waitcnt lgkmcnt(0)
	v_mul_f64 v[44:45], v[10:11], v[14:15]
	v_mul_f64 v[14:15], v[8:9], v[14:15]
	v_fma_f64 v[44:45], v[8:9], v[12:13], -v[44:45]
	v_fma_f64 v[12:13], v[10:11], v[12:13], v[14:15]
	v_add_f64 v[38:39], v[38:39], v[44:45]
	v_add_f64 v[40:41], v[12:13], v[40:41]
	v_mul_f64 v[12:13], v[10:11], v[18:19]
	v_fma_f64 v[12:13], v[8:9], v[16:17], -v[12:13]
	v_mul_f64 v[8:9], v[8:9], v[18:19]
	v_add_f64 v[20:21], v[20:21], v[12:13]
	v_fma_f64 v[8:9], v[10:11], v[16:17], v[8:9]
	v_add_f64 v[22:23], v[8:9], v[22:23]
	ds_read_b128 v[8:11], v33 offset:80
	ds_read_b128 v[12:15], v32 offset:2560
	s_waitcnt lgkmcnt(0)
	v_mul_f64 v[16:17], v[10:11], v[14:15]
	v_mul_f64 v[18:19], v[8:9], v[14:15]
	v_fma_f64 v[16:17], v[8:9], v[12:13], -v[16:17]
	v_fma_f64 v[18:19], v[10:11], v[12:13], v[18:19]
	v_add_f64 v[4:5], v[4:5], v[16:17]
	v_add_f64 v[42:43], v[18:19], v[42:43]
	ds_read_b128 v[16:19], v32 offset:2816
	s_waitcnt lgkmcnt(0)
	v_mul_f64 v[44:45], v[10:11], v[18:19]
	v_fma_f64 v[44:45], v[8:9], v[16:17], -v[44:45]
	v_mul_f64 v[8:9], v[8:9], v[18:19]
	v_add_f64 v[36:37], v[36:37], v[44:45]
	v_fma_f64 v[8:9], v[10:11], v[16:17], v[8:9]
	v_add_f64 v[34:35], v[8:9], v[34:35]
	ds_read_b128 v[8:11], v33 offset:2128
	s_waitcnt lgkmcnt(0)
	v_mul_f64 v[44:45], v[10:11], v[14:15]
	v_mul_f64 v[14:15], v[8:9], v[14:15]
	v_fma_f64 v[44:45], v[8:9], v[12:13], -v[44:45]
	v_fma_f64 v[12:13], v[10:11], v[12:13], v[14:15]
	v_add_f64 v[38:39], v[38:39], v[44:45]
	v_add_f64 v[40:41], v[12:13], v[40:41]
	v_mul_f64 v[12:13], v[10:11], v[18:19]
	v_fma_f64 v[12:13], v[8:9], v[16:17], -v[12:13]
	v_mul_f64 v[8:9], v[8:9], v[18:19]
	v_add_f64 v[20:21], v[20:21], v[12:13]
	v_fma_f64 v[8:9], v[10:11], v[16:17], v[8:9]
	;; [unrolled: 31-line block ×3, first 2 shown]
	v_add_f64 v[50:51], v[8:9], v[22:23]
	ds_read_b128 v[8:11], v33 offset:112
	ds_read_b128 v[12:15], v32 offset:3584
	;; [unrolled: 1-line block ×3, first 2 shown]
	s_waitcnt lgkmcnt(1)
	v_mul_f64 v[16:17], v[10:11], v[14:15]
	v_mul_f64 v[18:19], v[8:9], v[14:15]
	v_fma_f64 v[16:17], v[8:9], v[12:13], -v[16:17]
	v_fma_f64 v[18:19], v[10:11], v[12:13], v[18:19]
	v_add_f64 v[20:21], v[4:5], v[16:17]
	s_waitcnt lgkmcnt(0)
	v_mul_f64 v[4:5], v[10:11], v[36:37]
	v_add_f64 v[22:23], v[18:19], v[42:43]
	v_fma_f64 v[4:5], v[8:9], v[34:35], -v[4:5]
	v_mul_f64 v[8:9], v[8:9], v[36:37]
	v_add_f64 v[16:17], v[44:45], v[4:5]
	v_fma_f64 v[8:9], v[10:11], v[34:35], v[8:9]
	v_add_f64 v[18:19], v[8:9], v[46:47]
	ds_read_b128 v[8:11], v33 offset:2160
	s_waitcnt lgkmcnt(0)
	s_barrier
	buffer_gl0_inv
	v_mul_f64 v[4:5], v[10:11], v[14:15]
	v_mul_f64 v[14:15], v[8:9], v[14:15]
	v_fma_f64 v[4:5], v[8:9], v[12:13], -v[4:5]
	v_fma_f64 v[14:15], v[10:11], v[12:13], v[14:15]
	v_add_f64 v[12:13], v[38:39], v[4:5]
	v_mul_f64 v[4:5], v[10:11], v[36:37]
	v_add_f64 v[14:15], v[14:15], v[40:41]
	v_fma_f64 v[4:5], v[8:9], v[34:35], -v[4:5]
	v_mul_f64 v[8:9], v[8:9], v[36:37]
	v_fma_f64 v[8:9], v[10:11], v[34:35], v[8:9]
	v_add_f64 v[10:11], v[48:49], v[4:5]
	v_add_f64 v[8:9], v[8:9], v[50:51]
	s_cbranch_vccz .LBB283_17
.LBB283_7:                              ; =>This Inner Loop Header: Depth=1
	s_mov_b32 s18, s7
	s_mov_b32 s10, 0
	s_and_saveexec_b32 s11, s0
	s_cbranch_execnz .LBB283_15
; %bb.8:                                ;   in Loop: Header=BB283_7 Depth=1
	s_or_b32 exec_lo, exec_lo, s11
	s_and_saveexec_b32 s11, s18
	s_xor_b32 s11, exec_lo, s11
	s_cbranch_execnz .LBB283_16
.LBB283_9:                              ;   in Loop: Header=BB283_7 Depth=1
	s_or_b32 exec_lo, exec_lo, s11
	s_and_saveexec_b32 s11, s10
	s_cbranch_execz .LBB283_11
.LBB283_10:                             ;   in Loop: Header=BB283_7 Depth=1
	v_lshlrev_b64 v[4:5], 4, v[6:7]
	v_add_co_u32 v4, vcc_lo, v27, v4
	v_add_co_ci_u32_e64 v5, null, v28, v5, vcc_lo
	global_load_dwordx4 v[34:37], v[4:5], off
	s_waitcnt vmcnt(0)
	ds_write2_b64 v26, v[34:35], v[36:37] offset1:1
.LBB283_11:                             ;   in Loop: Header=BB283_7 Depth=1
	s_or_b32 exec_lo, exec_lo, s11
	v_add_nc_u32_e32 v2, s2, v24
	v_cmp_le_u64_e32 vcc_lo, s[12:13], v[2:3]
	s_or_b32 s10, vcc_lo, s1
	s_and_saveexec_b32 s11, s10
	s_xor_b32 s10, exec_lo, s11
	s_cbranch_execz .LBB283_13
; %bb.12:                               ;   in Loop: Header=BB283_7 Depth=1
	v_mov_b32_e32 v2, v3
	v_mov_b32_e32 v4, v3
	;; [unrolled: 1-line block ×3, first 2 shown]
	ds_write_b128 v29, v[2:5]
.LBB283_13:                             ;   in Loop: Header=BB283_7 Depth=1
	s_andn2_saveexec_b32 s10, s10
	s_cbranch_execz .LBB283_6
; %bb.14:                               ;   in Loop: Header=BB283_7 Depth=1
	v_mad_u64_u32 v[4:5], null, s26, v2, 0
	v_mad_u64_u32 v[34:35], null, s27, v2, v[5:6]
	v_mov_b32_e32 v5, v34
	v_lshlrev_b64 v[4:5], 4, v[4:5]
	v_add_co_u32 v4, vcc_lo, v30, v4
	v_add_co_ci_u32_e64 v5, null, v31, v5, vcc_lo
	global_load_dwordx4 v[34:37], v[4:5], off
	s_waitcnt vmcnt(0)
	ds_write2_b64 v29, v[34:35], v[36:37] offset1:1
	s_branch .LBB283_6
.LBB283_15:                             ;   in Loop: Header=BB283_7 Depth=1
	v_add_nc_u32_e32 v2, s2, v25
	v_mov_b32_e32 v7, v3
	s_andn2_b32 s18, s7, exec_lo
	s_mov_b32 s10, exec_lo
	v_cmp_le_u64_e32 vcc_lo, s[12:13], v[2:3]
	v_mov_b32_e32 v6, v2
	s_and_b32 s19, vcc_lo, exec_lo
	s_or_b32 s18, s18, s19
	s_or_b32 exec_lo, exec_lo, s11
	s_and_saveexec_b32 s11, s18
	s_xor_b32 s11, exec_lo, s11
	s_cbranch_execz .LBB283_9
.LBB283_16:                             ;   in Loop: Header=BB283_7 Depth=1
	v_mov_b32_e32 v2, v3
	v_mov_b32_e32 v4, v3
	;; [unrolled: 1-line block ×3, first 2 shown]
	s_andn2_b32 s10, s10, exec_lo
	ds_write_b128 v26, v[2:5]
	s_or_b32 exec_lo, exec_lo, s11
	s_and_saveexec_b32 s11, s10
	s_cbranch_execnz .LBB283_10
	s_branch .LBB283_11
.LBB283_17:
	v_add_nc_u32_e32 v25, s6, v1
	v_cmp_neq_f64_e64 s2, s[38:39], 0
	s_waitcnt lgkmcnt(0)
	s_mul_i32 s1, s31, s8
	s_mul_hi_u32 s3, s30, s8
	s_mul_i32 s0, s30, s8
	v_ashrrev_i32_e32 v3, 31, v25
	v_mul_lo_u32 v5, s29, v25
	v_mad_u64_u32 v[1:2], null, s28, v25, 0
	s_add_i32 s1, s3, s1
	v_mul_lo_u32 v3, s28, v3
	v_add_nc_u32_e32 v4, s5, v0
	s_lshl_b64 s[6:7], s[0:1], 4
	s_add_u32 s3, s42, s6
	s_addc_u32 s5, s43, s7
	s_xor_b32 s6, s9, -1
	v_cmp_le_i32_e32 vcc_lo, v25, v4
	v_add3_u32 v2, v2, v3, v5
	v_cmp_gt_i32_e64 s0, s4, v4
	v_ashrrev_i32_e32 v5, 31, v4
	s_or_b32 s2, s2, s6
	v_lshlrev_b64 v[0:1], 4, v[1:2]
	v_cndmask_b32_e64 v24, 0, 1, s2
	s_and_b32 s6, vcc_lo, s0
	v_add_co_u32 v26, s1, s3, v0
	v_add_co_ci_u32_e64 v27, null, s5, v1, s1
	s_and_saveexec_b32 s1, s6
	s_cbranch_execz .LBB283_21
; %bb.18:
	v_mul_f64 v[0:1], s[16:17], v[22:23]
	v_mul_f64 v[2:3], s[14:15], v[22:23]
	v_lshlrev_b64 v[6:7], 4, v[4:5]
	v_add_co_u32 v6, vcc_lo, v26, v6
	v_add_co_ci_u32_e64 v7, null, v27, v7, vcc_lo
	s_andn2_b32 vcc_lo, exec_lo, s2
	v_fma_f64 v[0:1], s[14:15], v[20:21], -v[0:1]
	v_fma_f64 v[2:3], s[16:17], v[20:21], v[2:3]
	s_cbranch_vccnz .LBB283_20
; %bb.19:
	global_load_dwordx4 v[20:23], v[6:7], off
	s_waitcnt vmcnt(0)
	v_mul_f64 v[28:29], s[40:41], v[22:23]
	v_mul_f64 v[22:23], s[38:39], v[22:23]
	v_fma_f64 v[28:29], s[38:39], v[20:21], -v[28:29]
	v_fma_f64 v[20:21], s[40:41], v[20:21], v[22:23]
	v_add_f64 v[0:1], v[0:1], v[28:29]
	v_add_f64 v[2:3], v[2:3], v[20:21]
.LBB283_20:
	global_store_dwordx4 v[6:7], v[0:3], off
.LBB283_21:
	s_or_b32 exec_lo, exec_lo, s1
	v_add_nc_u32_e32 v6, 16, v4
	v_cmp_le_i32_e32 vcc_lo, v25, v6
	v_cmp_gt_i32_e64 s1, s4, v6
	v_ashrrev_i32_e32 v7, 31, v6
	s_and_b32 s2, vcc_lo, s1
	s_and_saveexec_b32 s4, s2
	s_cbranch_execz .LBB283_25
; %bb.22:
	v_mul_f64 v[0:1], s[16:17], v[18:19]
	v_mul_f64 v[2:3], s[14:15], v[18:19]
	v_cmp_ne_u32_e32 vcc_lo, 1, v24
	s_and_b32 vcc_lo, exec_lo, vcc_lo
	v_fma_f64 v[0:1], s[14:15], v[16:17], -v[0:1]
	v_fma_f64 v[2:3], s[16:17], v[16:17], v[2:3]
	v_lshlrev_b64 v[16:17], 4, v[6:7]
	v_add_co_u32 v16, s2, v26, v16
	v_add_co_ci_u32_e64 v17, null, v27, v17, s2
	s_cbranch_vccnz .LBB283_24
; %bb.23:
	global_load_dwordx4 v[18:21], v[16:17], off
	s_waitcnt vmcnt(0)
	v_mul_f64 v[22:23], s[40:41], v[20:21]
	v_mul_f64 v[20:21], s[38:39], v[20:21]
	v_fma_f64 v[22:23], s[38:39], v[18:19], -v[22:23]
	v_fma_f64 v[18:19], s[40:41], v[18:19], v[20:21]
	v_add_f64 v[0:1], v[0:1], v[22:23]
	v_add_f64 v[2:3], v[2:3], v[18:19]
.LBB283_24:
	global_store_dwordx4 v[16:17], v[0:3], off
.LBB283_25:
	s_or_b32 exec_lo, exec_lo, s4
	v_add_nc_u32_e32 v18, 16, v25
	v_ashrrev_i32_e32 v2, 31, v18
	v_mul_lo_u32 v3, s29, v18
	v_mad_u64_u32 v[0:1], null, s28, v18, 0
	v_cmp_le_i32_e32 vcc_lo, v18, v4
	v_mul_lo_u32 v2, s28, v2
	s_and_b32 s0, vcc_lo, s0
	v_add3_u32 v1, v1, v2, v3
	v_lshlrev_b64 v[0:1], 4, v[0:1]
	v_add_co_u32 v16, s2, s3, v0
	v_add_co_ci_u32_e64 v17, null, s5, v1, s2
	s_and_saveexec_b32 s2, s0
	s_cbranch_execz .LBB283_29
; %bb.26:
	v_mul_f64 v[0:1], s[16:17], v[14:15]
	v_mul_f64 v[2:3], s[14:15], v[14:15]
	v_lshlrev_b64 v[4:5], 4, v[4:5]
	v_cmp_ne_u32_e32 vcc_lo, 1, v24
	s_and_b32 vcc_lo, exec_lo, vcc_lo
	v_add_co_u32 v4, s0, v16, v4
	v_add_co_ci_u32_e64 v5, null, v17, v5, s0
	v_fma_f64 v[0:1], s[14:15], v[12:13], -v[0:1]
	v_fma_f64 v[2:3], s[16:17], v[12:13], v[2:3]
	s_cbranch_vccnz .LBB283_28
; %bb.27:
	global_load_dwordx4 v[12:15], v[4:5], off
	s_waitcnt vmcnt(0)
	v_mul_f64 v[19:20], s[40:41], v[14:15]
	v_mul_f64 v[14:15], s[38:39], v[14:15]
	v_fma_f64 v[19:20], s[38:39], v[12:13], -v[19:20]
	v_fma_f64 v[12:13], s[40:41], v[12:13], v[14:15]
	v_add_f64 v[0:1], v[0:1], v[19:20]
	v_add_f64 v[2:3], v[2:3], v[12:13]
.LBB283_28:
	global_store_dwordx4 v[4:5], v[0:3], off
.LBB283_29:
	s_or_b32 exec_lo, exec_lo, s2
	v_cmp_le_i32_e32 vcc_lo, v18, v6
	s_and_b32 s0, vcc_lo, s1
	s_and_saveexec_b32 s1, s0
	s_cbranch_execz .LBB283_34
; %bb.30:
	v_mul_f64 v[0:1], s[16:17], v[8:9]
	v_mul_f64 v[2:3], s[14:15], v[8:9]
	v_lshlrev_b64 v[4:5], 4, v[6:7]
	v_cmp_ne_u32_e32 vcc_lo, 1, v24
	s_and_b32 vcc_lo, exec_lo, vcc_lo
	v_add_co_u32 v4, s0, v16, v4
	v_add_co_ci_u32_e64 v5, null, v17, v5, s0
	v_fma_f64 v[0:1], s[14:15], v[10:11], -v[0:1]
	v_fma_f64 v[2:3], s[16:17], v[10:11], v[2:3]
	s_cbranch_vccnz .LBB283_32
; %bb.31:
	global_load_dwordx4 v[6:9], v[4:5], off
	s_waitcnt vmcnt(0)
	v_mul_f64 v[10:11], s[40:41], v[8:9]
	v_mul_f64 v[8:9], s[38:39], v[8:9]
	v_fma_f64 v[10:11], s[38:39], v[6:7], -v[10:11]
	v_fma_f64 v[6:7], s[40:41], v[6:7], v[8:9]
	v_add_f64 v[0:1], v[0:1], v[10:11]
	v_add_f64 v[2:3], v[2:3], v[6:7]
.LBB283_32:
	global_store_dwordx4 v[4:5], v[0:3], off
	s_endpgm
.LBB283_33:
.LBB283_34:
	s_endpgm
	.section	.rodata,"a",@progbits
	.p2align	6, 0x0
	.amdhsa_kernel _ZL29rocblas_internal_gemmt_kernelIlLi16ELi32ELi8ELc84ELc84ELc76ELb0ELb0E19rocblas_complex_numIdES1_PKS1_PS1_EviT_T9_T10_S5_lS7_S5_lS6_T11_S5_li
		.amdhsa_group_segment_fixed_size 8192
		.amdhsa_private_segment_fixed_size 0
		.amdhsa_kernarg_size 124
		.amdhsa_user_sgpr_count 6
		.amdhsa_user_sgpr_private_segment_buffer 1
		.amdhsa_user_sgpr_dispatch_ptr 0
		.amdhsa_user_sgpr_queue_ptr 0
		.amdhsa_user_sgpr_kernarg_segment_ptr 1
		.amdhsa_user_sgpr_dispatch_id 0
		.amdhsa_user_sgpr_flat_scratch_init 0
		.amdhsa_user_sgpr_private_segment_size 0
		.amdhsa_wavefront_size32 1
		.amdhsa_uses_dynamic_stack 0
		.amdhsa_system_sgpr_private_segment_wavefront_offset 0
		.amdhsa_system_sgpr_workgroup_id_x 1
		.amdhsa_system_sgpr_workgroup_id_y 1
		.amdhsa_system_sgpr_workgroup_id_z 1
		.amdhsa_system_sgpr_workgroup_info 0
		.amdhsa_system_vgpr_workitem_id 1
		.amdhsa_next_free_vgpr 58
		.amdhsa_next_free_sgpr 44
		.amdhsa_reserve_vcc 1
		.amdhsa_reserve_flat_scratch 0
		.amdhsa_float_round_mode_32 0
		.amdhsa_float_round_mode_16_64 0
		.amdhsa_float_denorm_mode_32 3
		.amdhsa_float_denorm_mode_16_64 3
		.amdhsa_dx10_clamp 1
		.amdhsa_ieee_mode 1
		.amdhsa_fp16_overflow 0
		.amdhsa_workgroup_processor_mode 1
		.amdhsa_memory_ordered 1
		.amdhsa_forward_progress 1
		.amdhsa_shared_vgpr_count 0
		.amdhsa_exception_fp_ieee_invalid_op 0
		.amdhsa_exception_fp_denorm_src 0
		.amdhsa_exception_fp_ieee_div_zero 0
		.amdhsa_exception_fp_ieee_overflow 0
		.amdhsa_exception_fp_ieee_underflow 0
		.amdhsa_exception_fp_ieee_inexact 0
		.amdhsa_exception_int_div_zero 0
	.end_amdhsa_kernel
	.section	.text._ZL29rocblas_internal_gemmt_kernelIlLi16ELi32ELi8ELc84ELc84ELc76ELb0ELb0E19rocblas_complex_numIdES1_PKS1_PS1_EviT_T9_T10_S5_lS7_S5_lS6_T11_S5_li,"axG",@progbits,_ZL29rocblas_internal_gemmt_kernelIlLi16ELi32ELi8ELc84ELc84ELc76ELb0ELb0E19rocblas_complex_numIdES1_PKS1_PS1_EviT_T9_T10_S5_lS7_S5_lS6_T11_S5_li,comdat
.Lfunc_end283:
	.size	_ZL29rocblas_internal_gemmt_kernelIlLi16ELi32ELi8ELc84ELc84ELc76ELb0ELb0E19rocblas_complex_numIdES1_PKS1_PS1_EviT_T9_T10_S5_lS7_S5_lS6_T11_S5_li, .Lfunc_end283-_ZL29rocblas_internal_gemmt_kernelIlLi16ELi32ELi8ELc84ELc84ELc76ELb0ELb0E19rocblas_complex_numIdES1_PKS1_PS1_EviT_T9_T10_S5_lS7_S5_lS6_T11_S5_li
                                        ; -- End function
	.set _ZL29rocblas_internal_gemmt_kernelIlLi16ELi32ELi8ELc84ELc84ELc76ELb0ELb0E19rocblas_complex_numIdES1_PKS1_PS1_EviT_T9_T10_S5_lS7_S5_lS6_T11_S5_li.num_vgpr, 58
	.set _ZL29rocblas_internal_gemmt_kernelIlLi16ELi32ELi8ELc84ELc84ELc76ELb0ELb0E19rocblas_complex_numIdES1_PKS1_PS1_EviT_T9_T10_S5_lS7_S5_lS6_T11_S5_li.num_agpr, 0
	.set _ZL29rocblas_internal_gemmt_kernelIlLi16ELi32ELi8ELc84ELc84ELc76ELb0ELb0E19rocblas_complex_numIdES1_PKS1_PS1_EviT_T9_T10_S5_lS7_S5_lS6_T11_S5_li.numbered_sgpr, 44
	.set _ZL29rocblas_internal_gemmt_kernelIlLi16ELi32ELi8ELc84ELc84ELc76ELb0ELb0E19rocblas_complex_numIdES1_PKS1_PS1_EviT_T9_T10_S5_lS7_S5_lS6_T11_S5_li.num_named_barrier, 0
	.set _ZL29rocblas_internal_gemmt_kernelIlLi16ELi32ELi8ELc84ELc84ELc76ELb0ELb0E19rocblas_complex_numIdES1_PKS1_PS1_EviT_T9_T10_S5_lS7_S5_lS6_T11_S5_li.private_seg_size, 0
	.set _ZL29rocblas_internal_gemmt_kernelIlLi16ELi32ELi8ELc84ELc84ELc76ELb0ELb0E19rocblas_complex_numIdES1_PKS1_PS1_EviT_T9_T10_S5_lS7_S5_lS6_T11_S5_li.uses_vcc, 1
	.set _ZL29rocblas_internal_gemmt_kernelIlLi16ELi32ELi8ELc84ELc84ELc76ELb0ELb0E19rocblas_complex_numIdES1_PKS1_PS1_EviT_T9_T10_S5_lS7_S5_lS6_T11_S5_li.uses_flat_scratch, 0
	.set _ZL29rocblas_internal_gemmt_kernelIlLi16ELi32ELi8ELc84ELc84ELc76ELb0ELb0E19rocblas_complex_numIdES1_PKS1_PS1_EviT_T9_T10_S5_lS7_S5_lS6_T11_S5_li.has_dyn_sized_stack, 0
	.set _ZL29rocblas_internal_gemmt_kernelIlLi16ELi32ELi8ELc84ELc84ELc76ELb0ELb0E19rocblas_complex_numIdES1_PKS1_PS1_EviT_T9_T10_S5_lS7_S5_lS6_T11_S5_li.has_recursion, 0
	.set _ZL29rocblas_internal_gemmt_kernelIlLi16ELi32ELi8ELc84ELc84ELc76ELb0ELb0E19rocblas_complex_numIdES1_PKS1_PS1_EviT_T9_T10_S5_lS7_S5_lS6_T11_S5_li.has_indirect_call, 0
	.section	.AMDGPU.csdata,"",@progbits
; Kernel info:
; codeLenInByte = 3632
; TotalNumSgprs: 46
; NumVgprs: 58
; ScratchSize: 0
; MemoryBound: 0
; FloatMode: 240
; IeeeMode: 1
; LDSByteSize: 8192 bytes/workgroup (compile time only)
; SGPRBlocks: 0
; VGPRBlocks: 7
; NumSGPRsForWavesPerEU: 46
; NumVGPRsForWavesPerEU: 58
; Occupancy: 16
; WaveLimiterHint : 0
; COMPUTE_PGM_RSRC2:SCRATCH_EN: 0
; COMPUTE_PGM_RSRC2:USER_SGPR: 6
; COMPUTE_PGM_RSRC2:TRAP_HANDLER: 0
; COMPUTE_PGM_RSRC2:TGID_X_EN: 1
; COMPUTE_PGM_RSRC2:TGID_Y_EN: 1
; COMPUTE_PGM_RSRC2:TGID_Z_EN: 1
; COMPUTE_PGM_RSRC2:TIDIG_COMP_CNT: 1
	.section	.text._ZL29rocblas_internal_gemmt_kernelIlLi16ELi32ELi8ELc84ELc67ELc76ELb0ELb1E19rocblas_complex_numIdES1_PKS1_PS1_EviT_T9_T10_S5_lS7_S5_lS6_T11_S5_li,"axG",@progbits,_ZL29rocblas_internal_gemmt_kernelIlLi16ELi32ELi8ELc84ELc67ELc76ELb0ELb1E19rocblas_complex_numIdES1_PKS1_PS1_EviT_T9_T10_S5_lS7_S5_lS6_T11_S5_li,comdat
	.globl	_ZL29rocblas_internal_gemmt_kernelIlLi16ELi32ELi8ELc84ELc67ELc76ELb0ELb1E19rocblas_complex_numIdES1_PKS1_PS1_EviT_T9_T10_S5_lS7_S5_lS6_T11_S5_li ; -- Begin function _ZL29rocblas_internal_gemmt_kernelIlLi16ELi32ELi8ELc84ELc67ELc76ELb0ELb1E19rocblas_complex_numIdES1_PKS1_PS1_EviT_T9_T10_S5_lS7_S5_lS6_T11_S5_li
	.p2align	8
	.type	_ZL29rocblas_internal_gemmt_kernelIlLi16ELi32ELi8ELc84ELc67ELc76ELb0ELb1E19rocblas_complex_numIdES1_PKS1_PS1_EviT_T9_T10_S5_lS7_S5_lS6_T11_S5_li,@function
_ZL29rocblas_internal_gemmt_kernelIlLi16ELi32ELi8ELc84ELc67ELc76ELb0ELb1E19rocblas_complex_numIdES1_PKS1_PS1_EviT_T9_T10_S5_lS7_S5_lS6_T11_S5_li: ; @_ZL29rocblas_internal_gemmt_kernelIlLi16ELi32ELi8ELc84ELc67ELc76ELb0ELb1E19rocblas_complex_numIdES1_PKS1_PS1_EviT_T9_T10_S5_lS7_S5_lS6_T11_S5_li
; %bb.0:
	s_clause 0x1
	s_load_dwordx8 s[36:43], s[4:5], 0x48
	s_load_dwordx16 s[12:27], s[4:5], 0x8
	s_waitcnt lgkmcnt(0)
	v_cmp_eq_f64_e64 s0, s[38:39], 1.0
	v_cmp_eq_f64_e64 s9, s[40:41], 0
	s_and_b32 s0, s0, s9
	s_andn2_b32 vcc_lo, exec_lo, s0
	s_mov_b32 s0, -1
	s_cbranch_vccnz .LBB284_3
; %bb.1:
	s_cmp_lg_u64 s[12:13], 0
	s_cbranch_scc0 .LBB284_31
; %bb.2:
	v_cmp_neq_f64_e64 s0, s[14:15], 0
	v_cmp_neq_f64_e64 s1, s[16:17], 0
	s_or_b32 s0, s0, s1
.LBB284_3:
	s_and_b32 vcc_lo, exec_lo, s0
	s_cbranch_vccz .LBB284_32
; %bb.4:
	v_cmp_eq_f64_e64 s0, s[14:15], 0
	v_cmp_eq_f64_e64 s1, s[16:17], 0
	s_clause 0x1
	s_load_dwordx4 s[28:31], s[4:5], 0x68
	s_load_dword s4, s[4:5], 0x0
	v_cmp_lt_i64_e64 s2, s[12:13], 1
	v_mov_b32_e32 v22, 0
	v_mov_b32_e32 v24, 0
	;; [unrolled: 1-line block ×16, first 2 shown]
	s_lshl_b32 s5, s6, 5
	s_lshl_b32 s6, s7, 5
	s_and_b32 s0, s0, s1
	s_or_b32 s0, s0, s2
	s_and_b32 vcc_lo, exec_lo, s0
	s_cbranch_vccnz .LBB284_15
; %bb.5:
	v_lshl_add_u32 v4, v1, 4, v0
	s_mul_i32 s1, s37, s8
	s_mul_hi_u32 s2, s36, s8
	s_mul_i32 s0, s36, s8
	s_add_i32 s1, s2, s1
	v_and_b32_e32 v5, 31, v4
	s_lshl_b64 s[0:1], s[0:1], 4
	s_mul_i32 s2, s23, s8
	s_mul_hi_u32 s3, s22, s8
	s_add_u32 s10, s24, s0
	v_or_b32_e32 v6, s5, v5
	s_addc_u32 s11, s25, s1
	s_add_i32 s1, s3, s2
	s_mul_i32 s0, s22, s8
	v_lshrrev_b32_e32 v8, 3, v4
	v_mul_lo_u32 v7, s21, v6
	v_mad_u64_u32 v[2:3], null, s20, v6, 0
	s_lshl_b64 s[0:1], s[0:1], 4
	v_lshrrev_b32_e32 v27, 5, v4
	s_add_u32 s2, s18, s0
	s_addc_u32 s1, s19, s1
	s_ashr_i32 s0, s5, 31
	v_add_nc_u32_e32 v4, s6, v8
	s_mul_i32 s0, s20, s0
	v_and_b32_e32 v26, 7, v0
	v_add3_u32 v3, v3, s0, v7
	v_lshlrev_b32_e32 v7, 4, v5
	v_ashrrev_i32_e32 v5, 31, v4
	s_waitcnt lgkmcnt(0)
	v_cmp_gt_i32_e64 s0, s4, v6
	v_lshlrev_b32_e32 v9, 4, v26
	v_lshlrev_b64 v[2:3], 4, v[2:3]
	v_cmp_le_i32_e64 s7, s4, v6
	v_lshlrev_b64 v[5:6], 4, v[4:5]
	v_lshl_or_b32 v28, v27, 9, v7
	v_lshl_or_b32 v7, v8, 7, v9
	v_mov_b32_e32 v10, 0
	v_add_co_u32 v29, vcc_lo, s2, v2
	v_add_co_ci_u32_e64 v30, null, s1, v3, vcc_lo
	v_add_co_u32 v32, vcc_lo, s10, v5
	v_mov_b32_e32 v12, 0
	v_mov_b32_e32 v16, 0
	v_mov_b32_e32 v14, 0
	v_mov_b32_e32 v20, 0
	v_mov_b32_e32 v18, 0
	v_mov_b32_e32 v24, 0
	v_mov_b32_e32 v22, 0
	v_cmp_gt_i32_e64 s1, s4, v4
	v_add_nc_u32_e32 v31, 0x1000, v7
	v_add_co_ci_u32_e64 v33, null, s11, v6, vcc_lo
	v_lshlrev_b32_e32 v34, 4, v0
	v_lshl_add_u32 v35, v1, 7, 0x1000
	v_mov_b32_e32 v11, 0
	v_mov_b32_e32 v13, 0
	;; [unrolled: 1-line block ×9, first 2 shown]
	s_mov_b64 s[2:3], 0
                                        ; implicit-def: $vgpr8_vgpr9
	s_branch .LBB284_7
.LBB284_6:                              ;   in Loop: Header=BB284_7 Depth=1
	s_or_b32 exec_lo, exec_lo, s10
	ds_write_b128 v31, v[4:7]
	s_waitcnt lgkmcnt(0)
	s_barrier
	buffer_gl0_inv
	ds_read_b128 v[4:7], v35
	ds_read_b128 v[36:39], v34
	ds_read_b128 v[40:43], v34 offset:256
	ds_read_b128 v[44:47], v35 offset:2048
	;; [unrolled: 1-line block ×11, first 2 shown]
	s_add_u32 s2, s2, 8
	s_addc_u32 s3, s3, 0
	v_cmp_gt_i64_e64 s10, s[12:13], s[2:3]
	s_waitcnt lgkmcnt(11)
	v_mul_f64 v[84:85], v[6:7], v[38:39]
	v_mul_f64 v[86:87], v[4:5], v[38:39]
	s_waitcnt lgkmcnt(10)
	v_mul_f64 v[88:89], v[6:7], v[42:43]
	v_mul_f64 v[90:91], v[4:5], v[42:43]
	;; [unrolled: 3-line block ×3, first 2 shown]
	v_mul_f64 v[94:95], v[46:47], v[42:43]
	v_mul_f64 v[42:43], v[44:45], v[42:43]
	s_waitcnt lgkmcnt(7)
	v_mul_f64 v[96:97], v[50:51], v[54:55]
	v_mul_f64 v[98:99], v[48:49], v[54:55]
	s_waitcnt lgkmcnt(6)
	v_mul_f64 v[100:101], v[50:51], v[58:59]
	s_waitcnt lgkmcnt(5)
	v_mul_f64 v[104:105], v[62:63], v[54:55]
	v_mul_f64 v[54:55], v[60:61], v[54:55]
	;; [unrolled: 1-line block ×5, first 2 shown]
	s_waitcnt lgkmcnt(3)
	v_mul_f64 v[108:109], v[70:71], v[66:67]
	v_mul_f64 v[110:111], v[68:69], v[66:67]
	s_and_b32 vcc_lo, exec_lo, s10
	v_fma_f64 v[84:85], v[4:5], v[36:37], -v[84:85]
	v_fma_f64 v[86:87], v[6:7], v[36:37], v[86:87]
	v_fma_f64 v[88:89], v[4:5], v[40:41], -v[88:89]
	v_fma_f64 v[90:91], v[6:7], v[40:41], v[90:91]
	;; [unrolled: 2-line block ×3, first 2 shown]
	v_fma_f64 v[94:95], v[44:45], v[40:41], -v[94:95]
	ds_read_b128 v[4:7], v34 offset:1536
	s_waitcnt lgkmcnt(3)
	v_mul_f64 v[112:113], v[70:71], v[74:75]
	v_mul_f64 v[114:115], v[68:69], v[74:75]
	v_fma_f64 v[118:119], v[46:47], v[40:41], v[42:43]
	v_fma_f64 v[96:97], v[48:49], v[52:53], -v[96:97]
	v_fma_f64 v[98:99], v[50:51], v[52:53], v[98:99]
	v_fma_f64 v[48:49], v[48:49], v[56:57], -v[100:101]
	s_waitcnt lgkmcnt(2)
	v_mul_f64 v[44:45], v[78:79], v[66:67]
	v_fma_f64 v[100:101], v[60:61], v[52:53], -v[104:105]
	v_fma_f64 v[52:53], v[62:63], v[52:53], v[54:55]
	v_mul_f64 v[46:47], v[76:77], v[66:67]
	v_mul_f64 v[54:55], v[78:79], v[74:75]
	;; [unrolled: 1-line block ×3, first 2 shown]
	v_fma_f64 v[50:51], v[50:51], v[56:57], v[102:103]
	v_fma_f64 v[60:61], v[60:61], v[56:57], -v[106:107]
	v_fma_f64 v[56:57], v[62:63], v[56:57], v[58:59]
	v_fma_f64 v[58:59], v[68:69], v[64:65], -v[108:109]
	v_fma_f64 v[62:63], v[70:71], v[64:65], v[110:111]
	v_add_f64 v[84:85], v[22:23], v[84:85]
	v_add_f64 v[86:87], v[86:87], v[24:25]
	;; [unrolled: 1-line block ×5, first 2 shown]
	v_fma_f64 v[68:69], v[68:69], v[72:73], -v[112:113]
	v_fma_f64 v[70:71], v[70:71], v[72:73], v[114:115]
	v_add_f64 v[106:107], v[116:117], v[16:17]
	ds_read_b128 v[36:39], v34 offset:1792
	ds_read_b128 v[40:43], v35 offset:2096
	s_waitcnt lgkmcnt(2)
	v_mul_f64 v[74:75], v[82:83], v[6:7]
	v_mul_f64 v[102:103], v[80:81], v[6:7]
	v_fma_f64 v[110:111], v[76:77], v[64:65], -v[44:45]
	ds_read_b128 v[14:17], v35 offset:64
	v_fma_f64 v[64:65], v[78:79], v[64:65], v[46:47]
	v_fma_f64 v[76:77], v[76:77], v[72:73], -v[54:55]
	v_fma_f64 v[66:67], v[78:79], v[72:73], v[66:67]
	v_add_f64 v[54:55], v[12:13], v[94:95]
	v_add_f64 v[72:73], v[118:119], v[10:11]
	ds_read_b128 v[18:21], v34 offset:2048
	ds_read_b128 v[22:25], v34 offset:2304
	;; [unrolled: 1-line block ×4, first 2 shown]
	v_add_f64 v[84:85], v[84:85], v[96:97]
	v_add_f64 v[86:87], v[98:99], v[86:87]
	;; [unrolled: 1-line block ×5, first 2 shown]
	s_waitcnt lgkmcnt(6)
	v_mul_f64 v[104:105], v[82:83], v[38:39]
	v_mul_f64 v[108:109], v[80:81], v[38:39]
	s_waitcnt lgkmcnt(5)
	v_mul_f64 v[112:113], v[42:43], v[6:7]
	v_mul_f64 v[6:7], v[40:41], v[6:7]
	v_add_f64 v[52:53], v[52:53], v[106:107]
	v_mul_f64 v[94:95], v[42:43], v[38:39]
	v_mul_f64 v[38:39], v[40:41], v[38:39]
	v_fma_f64 v[74:75], v[80:81], v[4:5], -v[74:75]
	v_fma_f64 v[78:79], v[82:83], v[4:5], v[102:103]
	ds_read_b128 v[48:51], v35 offset:2128
	s_waitcnt lgkmcnt(4)
	v_mul_f64 v[100:101], v[16:17], v[20:21]
	v_mul_f64 v[102:103], v[14:15], v[20:21]
	v_add_f64 v[60:61], v[54:55], v[60:61]
	v_add_f64 v[56:57], v[56:57], v[72:73]
	s_waitcnt lgkmcnt(3)
	v_mul_f64 v[106:107], v[14:15], v[24:25]
	s_waitcnt lgkmcnt(2)
	v_mul_f64 v[72:73], v[46:47], v[20:21]
	v_mul_f64 v[20:21], v[44:45], v[20:21]
	v_add_f64 v[58:59], v[84:85], v[58:59]
	v_add_f64 v[62:63], v[62:63], v[86:87]
	;; [unrolled: 1-line block ×5, first 2 shown]
	v_fma_f64 v[80:81], v[80:81], v[36:37], -v[104:105]
	v_fma_f64 v[82:83], v[82:83], v[36:37], v[108:109]
	v_fma_f64 v[96:97], v[40:41], v[4:5], -v[112:113]
	v_fma_f64 v[98:99], v[42:43], v[4:5], v[6:7]
	v_mul_f64 v[104:105], v[16:17], v[24:25]
	v_add_f64 v[64:65], v[64:65], v[52:53]
	v_mul_f64 v[86:87], v[46:47], v[24:25]
	v_mul_f64 v[24:25], v[44:45], v[24:25]
	v_fma_f64 v[40:41], v[40:41], v[36:37], -v[94:95]
	v_fma_f64 v[42:43], v[42:43], v[36:37], v[38:39]
	ds_read_b128 v[4:7], v35 offset:80
	ds_read_b128 v[52:55], v34 offset:2816
	v_add_f64 v[60:61], v[60:61], v[76:77]
	v_add_f64 v[56:57], v[66:67], v[56:57]
	v_fma_f64 v[90:91], v[14:15], v[18:19], -v[100:101]
	v_fma_f64 v[92:93], v[16:17], v[18:19], v[102:103]
	v_fma_f64 v[100:101], v[16:17], v[22:23], v[106:107]
	v_fma_f64 v[66:67], v[44:45], v[18:19], -v[72:73]
	v_add_f64 v[58:59], v[58:59], v[74:75]
	v_add_f64 v[62:63], v[78:79], v[62:63]
	v_fma_f64 v[72:73], v[46:47], v[18:19], v[20:21]
	v_add_f64 v[68:69], v[68:69], v[80:81]
	v_add_f64 v[70:71], v[82:83], v[70:71]
	;; [unrolled: 1-line block ×3, first 2 shown]
	s_waitcnt lgkmcnt(2)
	v_mul_f64 v[82:83], v[50:51], v[12:13]
	v_fma_f64 v[94:95], v[14:15], v[22:23], -v[104:105]
	v_add_f64 v[64:65], v[98:99], v[64:65]
	v_fma_f64 v[44:45], v[44:45], v[22:23], -v[86:87]
	v_fma_f64 v[46:47], v[46:47], v[22:23], v[24:25]
	s_waitcnt lgkmcnt(1)
	v_mul_f64 v[88:89], v[6:7], v[12:13]
	v_mul_f64 v[76:77], v[4:5], v[12:13]
	s_waitcnt lgkmcnt(0)
	v_mul_f64 v[78:79], v[6:7], v[54:55]
	v_mul_f64 v[80:81], v[4:5], v[54:55]
	;; [unrolled: 1-line block ×5, first 2 shown]
	v_add_f64 v[40:41], v[60:61], v[40:41]
	v_add_f64 v[42:43], v[42:43], v[56:57]
	ds_read_b128 v[14:17], v35 offset:96
	ds_read_b128 v[18:21], v34 offset:3072
	;; [unrolled: 1-line block ×4, first 2 shown]
	v_add_f64 v[56:57], v[58:59], v[90:91]
	v_add_f64 v[58:59], v[92:93], v[62:63]
	;; [unrolled: 1-line block ×3, first 2 shown]
	v_fma_f64 v[82:83], v[48:49], v[10:11], -v[82:83]
	v_add_f64 v[62:63], v[68:69], v[94:95]
	v_add_f64 v[68:69], v[100:101], v[70:71]
	;; [unrolled: 1-line block ×3, first 2 shown]
	v_fma_f64 v[60:61], v[4:5], v[10:11], -v[88:89]
	v_fma_f64 v[70:71], v[6:7], v[10:11], v[76:77]
	v_fma_f64 v[72:73], v[4:5], v[52:53], -v[78:79]
	v_fma_f64 v[74:75], v[6:7], v[52:53], v[80:81]
	ds_read_b128 v[4:7], v35 offset:112
	v_fma_f64 v[88:89], v[50:51], v[10:11], v[12:13]
	s_waitcnt lgkmcnt(3)
	v_mul_f64 v[76:77], v[16:17], v[20:21]
	v_mul_f64 v[78:79], v[14:15], v[20:21]
	s_waitcnt lgkmcnt(2)
	v_mul_f64 v[80:81], v[16:17], v[38:39]
	v_mul_f64 v[86:87], v[14:15], v[38:39]
	v_fma_f64 v[48:49], v[48:49], v[52:53], -v[84:85]
	v_fma_f64 v[50:51], v[50:51], v[52:53], v[54:55]
	v_add_f64 v[52:53], v[40:41], v[44:45]
	v_add_f64 v[46:47], v[46:47], v[42:43]
	s_waitcnt lgkmcnt(1)
	v_mul_f64 v[54:55], v[24:25], v[20:21]
	v_mul_f64 v[20:21], v[22:23], v[20:21]
	;; [unrolled: 1-line block ×4, first 2 shown]
	ds_read_b128 v[10:13], v35 offset:2160
	ds_read_b128 v[38:41], v34 offset:3584
	;; [unrolled: 1-line block ×3, first 2 shown]
	v_add_f64 v[66:67], v[66:67], v[82:83]
	s_waitcnt lgkmcnt(0)
	v_add_f64 v[56:57], v[56:57], v[60:61]
	v_add_f64 v[58:59], v[70:71], v[58:59]
	;; [unrolled: 1-line block ×4, first 2 shown]
	s_barrier
	v_add_f64 v[64:65], v[88:89], v[64:65]
	v_fma_f64 v[60:61], v[14:15], v[18:19], -v[76:77]
	v_fma_f64 v[70:71], v[16:17], v[18:19], v[78:79]
	v_fma_f64 v[14:15], v[14:15], v[36:37], -v[80:81]
	v_fma_f64 v[16:17], v[16:17], v[36:37], v[86:87]
	buffer_gl0_inv
	v_add_f64 v[48:49], v[52:53], v[48:49]
	v_add_f64 v[46:47], v[50:51], v[46:47]
	v_fma_f64 v[50:51], v[22:23], v[18:19], -v[54:55]
	v_fma_f64 v[18:19], v[24:25], v[18:19], v[20:21]
	v_fma_f64 v[20:21], v[22:23], v[36:37], -v[84:85]
	v_fma_f64 v[22:23], v[24:25], v[36:37], v[90:91]
	v_mul_f64 v[24:25], v[6:7], v[40:41]
	v_mul_f64 v[36:37], v[4:5], v[40:41]
	;; [unrolled: 1-line block ×8, first 2 shown]
	v_add_f64 v[56:57], v[56:57], v[60:61]
	v_add_f64 v[58:59], v[70:71], v[58:59]
	;; [unrolled: 1-line block ×8, first 2 shown]
	v_fma_f64 v[18:19], v[4:5], v[38:39], -v[24:25]
	v_fma_f64 v[20:21], v[6:7], v[38:39], v[36:37]
	v_fma_f64 v[4:5], v[4:5], v[42:43], -v[52:53]
	v_fma_f64 v[6:7], v[6:7], v[42:43], v[54:55]
	;; [unrolled: 2-line block ×4, first 2 shown]
	v_add_f64 v[22:23], v[56:57], v[18:19]
	v_add_f64 v[24:25], v[20:21], v[58:59]
	;; [unrolled: 1-line block ×8, first 2 shown]
	s_cbranch_vccz .LBB284_15
.LBB284_7:                              ; =>This Inner Loop Header: Depth=1
	s_mov_b32 s18, s7
	s_mov_b32 s10, 0
	s_and_saveexec_b32 s11, s0
	s_cbranch_execnz .LBB284_13
; %bb.8:                                ;   in Loop: Header=BB284_7 Depth=1
	s_or_b32 exec_lo, exec_lo, s11
	s_and_saveexec_b32 s11, s18
	s_xor_b32 s11, exec_lo, s11
	s_cbranch_execnz .LBB284_14
.LBB284_9:                              ;   in Loop: Header=BB284_7 Depth=1
	s_or_b32 exec_lo, exec_lo, s11
	s_and_saveexec_b32 s11, s10
	s_cbranch_execz .LBB284_11
.LBB284_10:                             ;   in Loop: Header=BB284_7 Depth=1
	v_lshlrev_b64 v[4:5], 4, v[8:9]
	v_add_co_u32 v4, vcc_lo, v29, v4
	v_add_co_ci_u32_e64 v5, null, v30, v5, vcc_lo
	global_load_dwordx4 v[4:7], v[4:5], off
	s_waitcnt vmcnt(0)
	ds_write2_b64 v28, v[4:5], v[6:7] offset1:1
.LBB284_11:                             ;   in Loop: Header=BB284_7 Depth=1
	s_or_b32 exec_lo, exec_lo, s11
	v_add_nc_u32_e32 v2, s2, v26
	v_mov_b32_e32 v4, 0
	v_mov_b32_e32 v6, 0
	;; [unrolled: 1-line block ×4, first 2 shown]
	v_cmp_gt_u64_e32 vcc_lo, s[12:13], v[2:3]
	s_and_b32 s11, vcc_lo, s1
	s_and_saveexec_b32 s10, s11
	s_cbranch_execz .LBB284_6
; %bb.12:                               ;   in Loop: Header=BB284_7 Depth=1
	v_mad_u64_u32 v[4:5], null, s26, v2, 0
	v_mad_u64_u32 v[5:6], null, s27, v2, v[5:6]
	v_lshlrev_b64 v[4:5], 4, v[4:5]
	v_add_co_u32 v4, vcc_lo, v32, v4
	v_add_co_ci_u32_e64 v5, null, v33, v5, vcc_lo
	global_load_dwordx4 v[4:7], v[4:5], off
	s_waitcnt vmcnt(0)
	v_xor_b32_e32 v7, 0x80000000, v7
	s_branch .LBB284_6
.LBB284_13:                             ;   in Loop: Header=BB284_7 Depth=1
	v_add_nc_u32_e32 v2, s2, v27
	v_mov_b32_e32 v9, v3
	s_andn2_b32 s18, s7, exec_lo
	s_mov_b32 s10, exec_lo
	v_cmp_le_u64_e32 vcc_lo, s[12:13], v[2:3]
	v_mov_b32_e32 v8, v2
	s_and_b32 s19, vcc_lo, exec_lo
	s_or_b32 s18, s18, s19
	s_or_b32 exec_lo, exec_lo, s11
	s_and_saveexec_b32 s11, s18
	s_xor_b32 s11, exec_lo, s11
	s_cbranch_execz .LBB284_9
.LBB284_14:                             ;   in Loop: Header=BB284_7 Depth=1
	v_mov_b32_e32 v2, v3
	v_mov_b32_e32 v4, v3
	;; [unrolled: 1-line block ×3, first 2 shown]
	s_andn2_b32 s10, s10, exec_lo
	ds_write_b128 v28, v[2:5]
	s_or_b32 exec_lo, exec_lo, s11
	s_and_saveexec_b32 s11, s10
	s_cbranch_execnz .LBB284_10
	s_branch .LBB284_11
.LBB284_15:
	v_add_nc_u32_e32 v27, s6, v1
	v_cmp_neq_f64_e64 s2, s[38:39], 0
	s_waitcnt lgkmcnt(0)
	s_mul_i32 s1, s31, s8
	s_mul_hi_u32 s3, s30, s8
	s_mul_i32 s0, s30, s8
	v_ashrrev_i32_e32 v3, 31, v27
	v_mul_lo_u32 v5, s29, v27
	v_mad_u64_u32 v[1:2], null, s28, v27, 0
	s_add_i32 s1, s3, s1
	v_mul_lo_u32 v3, s28, v3
	v_add_nc_u32_e32 v4, s5, v0
	s_lshl_b64 s[6:7], s[0:1], 4
	s_add_u32 s3, s42, s6
	s_addc_u32 s5, s43, s7
	s_xor_b32 s6, s9, -1
	v_cmp_le_i32_e32 vcc_lo, v27, v4
	v_add3_u32 v2, v2, v3, v5
	v_cmp_gt_i32_e64 s0, s4, v4
	v_ashrrev_i32_e32 v5, 31, v4
	s_or_b32 s2, s2, s6
	v_lshlrev_b64 v[0:1], 4, v[1:2]
	v_cndmask_b32_e64 v26, 0, 1, s2
	s_and_b32 s6, vcc_lo, s0
	v_add_co_u32 v8, s1, s3, v0
	v_add_co_ci_u32_e64 v9, null, s5, v1, s1
	s_and_saveexec_b32 s1, s6
	s_cbranch_execz .LBB284_19
; %bb.16:
	v_mul_f64 v[0:1], s[16:17], v[24:25]
	v_mul_f64 v[2:3], s[14:15], v[24:25]
	v_lshlrev_b64 v[6:7], 4, v[4:5]
	v_add_co_u32 v6, vcc_lo, v8, v6
	v_add_co_ci_u32_e64 v7, null, v9, v7, vcc_lo
	s_andn2_b32 vcc_lo, exec_lo, s2
	v_fma_f64 v[0:1], s[14:15], v[22:23], -v[0:1]
	v_fma_f64 v[2:3], s[16:17], v[22:23], v[2:3]
	s_cbranch_vccnz .LBB284_18
; %bb.17:
	global_load_dwordx4 v[22:25], v[6:7], off
	s_waitcnt vmcnt(0)
	v_mul_f64 v[28:29], s[40:41], v[24:25]
	v_mul_f64 v[24:25], s[38:39], v[24:25]
	v_fma_f64 v[28:29], s[38:39], v[22:23], -v[28:29]
	v_fma_f64 v[22:23], s[40:41], v[22:23], v[24:25]
	v_add_f64 v[0:1], v[0:1], v[28:29]
	v_add_f64 v[2:3], v[2:3], v[22:23]
.LBB284_18:
	global_store_dwordx4 v[6:7], v[0:3], off
.LBB284_19:
	s_or_b32 exec_lo, exec_lo, s1
	v_add_nc_u32_e32 v6, 16, v4
	v_cmp_le_i32_e32 vcc_lo, v27, v6
	v_cmp_gt_i32_e64 s1, s4, v6
	v_ashrrev_i32_e32 v7, 31, v6
	s_and_b32 s2, vcc_lo, s1
	s_and_saveexec_b32 s4, s2
	s_cbranch_execz .LBB284_23
; %bb.20:
	v_mul_f64 v[0:1], s[16:17], v[20:21]
	v_mul_f64 v[2:3], s[14:15], v[20:21]
	v_cmp_ne_u32_e32 vcc_lo, 1, v26
	s_and_b32 vcc_lo, exec_lo, vcc_lo
	v_fma_f64 v[0:1], s[14:15], v[18:19], -v[0:1]
	v_fma_f64 v[2:3], s[16:17], v[18:19], v[2:3]
	v_lshlrev_b64 v[18:19], 4, v[6:7]
	v_add_co_u32 v8, s2, v8, v18
	v_add_co_ci_u32_e64 v9, null, v9, v19, s2
	s_cbranch_vccnz .LBB284_22
; %bb.21:
	global_load_dwordx4 v[18:21], v[8:9], off
	s_waitcnt vmcnt(0)
	v_mul_f64 v[22:23], s[40:41], v[20:21]
	v_mul_f64 v[20:21], s[38:39], v[20:21]
	v_fma_f64 v[22:23], s[38:39], v[18:19], -v[22:23]
	v_fma_f64 v[18:19], s[40:41], v[18:19], v[20:21]
	v_add_f64 v[0:1], v[0:1], v[22:23]
	v_add_f64 v[2:3], v[2:3], v[18:19]
.LBB284_22:
	global_store_dwordx4 v[8:9], v[0:3], off
.LBB284_23:
	s_or_b32 exec_lo, exec_lo, s4
	v_add_nc_u32_e32 v18, 16, v27
	v_ashrrev_i32_e32 v2, 31, v18
	v_mul_lo_u32 v3, s29, v18
	v_mad_u64_u32 v[0:1], null, s28, v18, 0
	v_cmp_le_i32_e32 vcc_lo, v18, v4
	v_mul_lo_u32 v2, s28, v2
	s_and_b32 s0, vcc_lo, s0
	v_add3_u32 v1, v1, v2, v3
	v_lshlrev_b64 v[0:1], 4, v[0:1]
	v_add_co_u32 v8, s2, s3, v0
	v_add_co_ci_u32_e64 v9, null, s5, v1, s2
	s_and_saveexec_b32 s2, s0
	s_cbranch_execz .LBB284_27
; %bb.24:
	v_mul_f64 v[0:1], s[16:17], v[16:17]
	v_mul_f64 v[2:3], s[14:15], v[16:17]
	v_lshlrev_b64 v[4:5], 4, v[4:5]
	v_cmp_ne_u32_e32 vcc_lo, 1, v26
	s_and_b32 vcc_lo, exec_lo, vcc_lo
	v_add_co_u32 v4, s0, v8, v4
	v_add_co_ci_u32_e64 v5, null, v9, v5, s0
	v_fma_f64 v[0:1], s[14:15], v[14:15], -v[0:1]
	v_fma_f64 v[2:3], s[16:17], v[14:15], v[2:3]
	s_cbranch_vccnz .LBB284_26
; %bb.25:
	global_load_dwordx4 v[14:17], v[4:5], off
	s_waitcnt vmcnt(0)
	v_mul_f64 v[19:20], s[40:41], v[16:17]
	v_mul_f64 v[16:17], s[38:39], v[16:17]
	v_fma_f64 v[19:20], s[38:39], v[14:15], -v[19:20]
	v_fma_f64 v[14:15], s[40:41], v[14:15], v[16:17]
	v_add_f64 v[0:1], v[0:1], v[19:20]
	v_add_f64 v[2:3], v[2:3], v[14:15]
.LBB284_26:
	global_store_dwordx4 v[4:5], v[0:3], off
.LBB284_27:
	s_or_b32 exec_lo, exec_lo, s2
	v_cmp_le_i32_e32 vcc_lo, v18, v6
	s_and_b32 s0, vcc_lo, s1
	s_and_saveexec_b32 s1, s0
	s_cbranch_execz .LBB284_32
; %bb.28:
	v_mul_f64 v[0:1], s[16:17], v[10:11]
	v_mul_f64 v[2:3], s[14:15], v[10:11]
	v_lshlrev_b64 v[4:5], 4, v[6:7]
	v_cmp_ne_u32_e32 vcc_lo, 1, v26
	s_and_b32 vcc_lo, exec_lo, vcc_lo
	v_add_co_u32 v4, s0, v8, v4
	v_add_co_ci_u32_e64 v5, null, v9, v5, s0
	v_fma_f64 v[0:1], s[14:15], v[12:13], -v[0:1]
	v_fma_f64 v[2:3], s[16:17], v[12:13], v[2:3]
	s_cbranch_vccnz .LBB284_30
; %bb.29:
	global_load_dwordx4 v[6:9], v[4:5], off
	s_waitcnt vmcnt(0)
	v_mul_f64 v[10:11], s[40:41], v[8:9]
	v_mul_f64 v[8:9], s[38:39], v[8:9]
	v_fma_f64 v[10:11], s[38:39], v[6:7], -v[10:11]
	v_fma_f64 v[6:7], s[40:41], v[6:7], v[8:9]
	v_add_f64 v[0:1], v[0:1], v[10:11]
	v_add_f64 v[2:3], v[2:3], v[6:7]
.LBB284_30:
	global_store_dwordx4 v[4:5], v[0:3], off
	s_endpgm
.LBB284_31:
.LBB284_32:
	s_endpgm
	.section	.rodata,"a",@progbits
	.p2align	6, 0x0
	.amdhsa_kernel _ZL29rocblas_internal_gemmt_kernelIlLi16ELi32ELi8ELc84ELc67ELc76ELb0ELb1E19rocblas_complex_numIdES1_PKS1_PS1_EviT_T9_T10_S5_lS7_S5_lS6_T11_S5_li
		.amdhsa_group_segment_fixed_size 8192
		.amdhsa_private_segment_fixed_size 0
		.amdhsa_kernarg_size 124
		.amdhsa_user_sgpr_count 6
		.amdhsa_user_sgpr_private_segment_buffer 1
		.amdhsa_user_sgpr_dispatch_ptr 0
		.amdhsa_user_sgpr_queue_ptr 0
		.amdhsa_user_sgpr_kernarg_segment_ptr 1
		.amdhsa_user_sgpr_dispatch_id 0
		.amdhsa_user_sgpr_flat_scratch_init 0
		.amdhsa_user_sgpr_private_segment_size 0
		.amdhsa_wavefront_size32 1
		.amdhsa_uses_dynamic_stack 0
		.amdhsa_system_sgpr_private_segment_wavefront_offset 0
		.amdhsa_system_sgpr_workgroup_id_x 1
		.amdhsa_system_sgpr_workgroup_id_y 1
		.amdhsa_system_sgpr_workgroup_id_z 1
		.amdhsa_system_sgpr_workgroup_info 0
		.amdhsa_system_vgpr_workitem_id 1
		.amdhsa_next_free_vgpr 120
		.amdhsa_next_free_sgpr 44
		.amdhsa_reserve_vcc 1
		.amdhsa_reserve_flat_scratch 0
		.amdhsa_float_round_mode_32 0
		.amdhsa_float_round_mode_16_64 0
		.amdhsa_float_denorm_mode_32 3
		.amdhsa_float_denorm_mode_16_64 3
		.amdhsa_dx10_clamp 1
		.amdhsa_ieee_mode 1
		.amdhsa_fp16_overflow 0
		.amdhsa_workgroup_processor_mode 1
		.amdhsa_memory_ordered 1
		.amdhsa_forward_progress 1
		.amdhsa_shared_vgpr_count 0
		.amdhsa_exception_fp_ieee_invalid_op 0
		.amdhsa_exception_fp_denorm_src 0
		.amdhsa_exception_fp_ieee_div_zero 0
		.amdhsa_exception_fp_ieee_overflow 0
		.amdhsa_exception_fp_ieee_underflow 0
		.amdhsa_exception_fp_ieee_inexact 0
		.amdhsa_exception_int_div_zero 0
	.end_amdhsa_kernel
	.section	.text._ZL29rocblas_internal_gemmt_kernelIlLi16ELi32ELi8ELc84ELc67ELc76ELb0ELb1E19rocblas_complex_numIdES1_PKS1_PS1_EviT_T9_T10_S5_lS7_S5_lS6_T11_S5_li,"axG",@progbits,_ZL29rocblas_internal_gemmt_kernelIlLi16ELi32ELi8ELc84ELc67ELc76ELb0ELb1E19rocblas_complex_numIdES1_PKS1_PS1_EviT_T9_T10_S5_lS7_S5_lS6_T11_S5_li,comdat
.Lfunc_end284:
	.size	_ZL29rocblas_internal_gemmt_kernelIlLi16ELi32ELi8ELc84ELc67ELc76ELb0ELb1E19rocblas_complex_numIdES1_PKS1_PS1_EviT_T9_T10_S5_lS7_S5_lS6_T11_S5_li, .Lfunc_end284-_ZL29rocblas_internal_gemmt_kernelIlLi16ELi32ELi8ELc84ELc67ELc76ELb0ELb1E19rocblas_complex_numIdES1_PKS1_PS1_EviT_T9_T10_S5_lS7_S5_lS6_T11_S5_li
                                        ; -- End function
	.set _ZL29rocblas_internal_gemmt_kernelIlLi16ELi32ELi8ELc84ELc67ELc76ELb0ELb1E19rocblas_complex_numIdES1_PKS1_PS1_EviT_T9_T10_S5_lS7_S5_lS6_T11_S5_li.num_vgpr, 120
	.set _ZL29rocblas_internal_gemmt_kernelIlLi16ELi32ELi8ELc84ELc67ELc76ELb0ELb1E19rocblas_complex_numIdES1_PKS1_PS1_EviT_T9_T10_S5_lS7_S5_lS6_T11_S5_li.num_agpr, 0
	.set _ZL29rocblas_internal_gemmt_kernelIlLi16ELi32ELi8ELc84ELc67ELc76ELb0ELb1E19rocblas_complex_numIdES1_PKS1_PS1_EviT_T9_T10_S5_lS7_S5_lS6_T11_S5_li.numbered_sgpr, 44
	.set _ZL29rocblas_internal_gemmt_kernelIlLi16ELi32ELi8ELc84ELc67ELc76ELb0ELb1E19rocblas_complex_numIdES1_PKS1_PS1_EviT_T9_T10_S5_lS7_S5_lS6_T11_S5_li.num_named_barrier, 0
	.set _ZL29rocblas_internal_gemmt_kernelIlLi16ELi32ELi8ELc84ELc67ELc76ELb0ELb1E19rocblas_complex_numIdES1_PKS1_PS1_EviT_T9_T10_S5_lS7_S5_lS6_T11_S5_li.private_seg_size, 0
	.set _ZL29rocblas_internal_gemmt_kernelIlLi16ELi32ELi8ELc84ELc67ELc76ELb0ELb1E19rocblas_complex_numIdES1_PKS1_PS1_EviT_T9_T10_S5_lS7_S5_lS6_T11_S5_li.uses_vcc, 1
	.set _ZL29rocblas_internal_gemmt_kernelIlLi16ELi32ELi8ELc84ELc67ELc76ELb0ELb1E19rocblas_complex_numIdES1_PKS1_PS1_EviT_T9_T10_S5_lS7_S5_lS6_T11_S5_li.uses_flat_scratch, 0
	.set _ZL29rocblas_internal_gemmt_kernelIlLi16ELi32ELi8ELc84ELc67ELc76ELb0ELb1E19rocblas_complex_numIdES1_PKS1_PS1_EviT_T9_T10_S5_lS7_S5_lS6_T11_S5_li.has_dyn_sized_stack, 0
	.set _ZL29rocblas_internal_gemmt_kernelIlLi16ELi32ELi8ELc84ELc67ELc76ELb0ELb1E19rocblas_complex_numIdES1_PKS1_PS1_EviT_T9_T10_S5_lS7_S5_lS6_T11_S5_li.has_recursion, 0
	.set _ZL29rocblas_internal_gemmt_kernelIlLi16ELi32ELi8ELc84ELc67ELc76ELb0ELb1E19rocblas_complex_numIdES1_PKS1_PS1_EviT_T9_T10_S5_lS7_S5_lS6_T11_S5_li.has_indirect_call, 0
	.section	.AMDGPU.csdata,"",@progbits
; Kernel info:
; codeLenInByte = 3612
; TotalNumSgprs: 46
; NumVgprs: 120
; ScratchSize: 0
; MemoryBound: 1
; FloatMode: 240
; IeeeMode: 1
; LDSByteSize: 8192 bytes/workgroup (compile time only)
; SGPRBlocks: 0
; VGPRBlocks: 14
; NumSGPRsForWavesPerEU: 46
; NumVGPRsForWavesPerEU: 120
; Occupancy: 8
; WaveLimiterHint : 0
; COMPUTE_PGM_RSRC2:SCRATCH_EN: 0
; COMPUTE_PGM_RSRC2:USER_SGPR: 6
; COMPUTE_PGM_RSRC2:TRAP_HANDLER: 0
; COMPUTE_PGM_RSRC2:TGID_X_EN: 1
; COMPUTE_PGM_RSRC2:TGID_Y_EN: 1
; COMPUTE_PGM_RSRC2:TGID_Z_EN: 1
; COMPUTE_PGM_RSRC2:TIDIG_COMP_CNT: 1
	.section	.text._ZL29rocblas_internal_gemmt_kernelIlLi16ELi32ELi8ELc67ELc78ELc76ELb1ELb0E19rocblas_complex_numIdES1_PKS1_PS1_EviT_T9_T10_S5_lS7_S5_lS6_T11_S5_li,"axG",@progbits,_ZL29rocblas_internal_gemmt_kernelIlLi16ELi32ELi8ELc67ELc78ELc76ELb1ELb0E19rocblas_complex_numIdES1_PKS1_PS1_EviT_T9_T10_S5_lS7_S5_lS6_T11_S5_li,comdat
	.globl	_ZL29rocblas_internal_gemmt_kernelIlLi16ELi32ELi8ELc67ELc78ELc76ELb1ELb0E19rocblas_complex_numIdES1_PKS1_PS1_EviT_T9_T10_S5_lS7_S5_lS6_T11_S5_li ; -- Begin function _ZL29rocblas_internal_gemmt_kernelIlLi16ELi32ELi8ELc67ELc78ELc76ELb1ELb0E19rocblas_complex_numIdES1_PKS1_PS1_EviT_T9_T10_S5_lS7_S5_lS6_T11_S5_li
	.p2align	8
	.type	_ZL29rocblas_internal_gemmt_kernelIlLi16ELi32ELi8ELc67ELc78ELc76ELb1ELb0E19rocblas_complex_numIdES1_PKS1_PS1_EviT_T9_T10_S5_lS7_S5_lS6_T11_S5_li,@function
_ZL29rocblas_internal_gemmt_kernelIlLi16ELi32ELi8ELc67ELc78ELc76ELb1ELb0E19rocblas_complex_numIdES1_PKS1_PS1_EviT_T9_T10_S5_lS7_S5_lS6_T11_S5_li: ; @_ZL29rocblas_internal_gemmt_kernelIlLi16ELi32ELi8ELc67ELc78ELc76ELb1ELb0E19rocblas_complex_numIdES1_PKS1_PS1_EviT_T9_T10_S5_lS7_S5_lS6_T11_S5_li
; %bb.0:
	s_clause 0x1
	s_load_dwordx8 s[36:43], s[4:5], 0x48
	s_load_dwordx16 s[12:27], s[4:5], 0x8
	s_waitcnt lgkmcnt(0)
	v_cmp_eq_f64_e64 s0, s[38:39], 1.0
	v_cmp_eq_f64_e64 s9, s[40:41], 0
	s_and_b32 s0, s0, s9
	s_andn2_b32 vcc_lo, exec_lo, s0
	s_mov_b32 s0, -1
	s_cbranch_vccnz .LBB285_3
; %bb.1:
	s_cmp_lg_u64 s[12:13], 0
	s_cbranch_scc0 .LBB285_31
; %bb.2:
	v_cmp_neq_f64_e64 s0, s[14:15], 0
	v_cmp_neq_f64_e64 s1, s[16:17], 0
	s_or_b32 s0, s0, s1
.LBB285_3:
	s_and_b32 vcc_lo, exec_lo, s0
	s_cbranch_vccz .LBB285_32
; %bb.4:
	v_cmp_eq_f64_e64 s0, s[14:15], 0
	v_cmp_eq_f64_e64 s1, s[16:17], 0
	s_clause 0x1
	s_load_dwordx4 s[28:31], s[4:5], 0x68
	s_load_dword s4, s[4:5], 0x0
	v_cmp_lt_i64_e64 s2, s[12:13], 1
	v_mov_b32_e32 v20, 0
	v_mov_b32_e32 v22, 0
	;; [unrolled: 1-line block ×16, first 2 shown]
	s_lshl_b32 s5, s6, 5
	s_lshl_b32 s6, s7, 5
	s_and_b32 s0, s0, s1
	s_or_b32 s0, s0, s2
	s_and_b32 vcc_lo, exec_lo, s0
	s_cbranch_vccnz .LBB285_15
; %bb.5:
	v_lshl_add_u32 v6, v1, 4, v0
	s_mul_i32 s1, s37, s8
	s_mul_hi_u32 s2, s36, s8
	s_mul_i32 s0, s36, s8
	s_add_i32 s1, s2, s1
	v_lshrrev_b32_e32 v7, 3, v6
	v_and_b32_e32 v8, 31, v6
	s_lshl_b64 s[0:1], s[0:1], 4
	s_mul_hi_u32 s3, s22, s8
	s_add_u32 s2, s24, s0
	v_add_nc_u32_e32 v9, s6, v7
	v_or_b32_e32 v10, s5, v8
	s_mul_i32 s0, s23, s8
	s_addc_u32 s7, s25, s1
	s_add_i32 s1, s3, s0
	v_ashrrev_i32_e32 v4, 31, v9
	s_mul_i32 s0, s22, s8
	v_mul_lo_u32 v11, s21, v10
	v_mad_u64_u32 v[2:3], null, s20, v10, 0
	s_lshl_b64 s[0:1], s[0:1], 4
	v_mul_lo_u32 v12, s26, v4
	v_mul_lo_u32 v13, s27, v9
	v_mad_u64_u32 v[4:5], null, s26, v9, 0
	s_add_u32 s3, s18, s0
	s_addc_u32 s1, s19, s1
	s_ashr_i32 s0, s5, 31
	v_and_b32_e32 v24, 7, v0
	s_mul_i32 s0, s20, s0
	v_lshrrev_b32_e32 v25, 5, v6
	v_add3_u32 v3, v3, s0, v11
	v_add3_u32 v5, v5, v12, v13
	v_lshlrev_b32_e32 v6, 4, v8
	v_lshlrev_b32_e32 v8, 4, v24
	s_waitcnt lgkmcnt(0)
	v_cmp_gt_i32_e64 s0, s4, v10
	v_lshlrev_b64 v[2:3], 4, v[2:3]
	v_lshlrev_b64 v[4:5], 4, v[4:5]
	v_lshl_or_b32 v26, v25, 9, v6
	v_lshl_or_b32 v6, v7, 7, v8
	v_mov_b32_e32 v10, 0
	v_mov_b32_e32 v12, 0
	v_add_co_u32 v27, vcc_lo, s3, v2
	v_add_co_ci_u32_e64 v28, null, s1, v3, vcc_lo
	v_cmp_gt_i32_e32 vcc_lo, s4, v9
	v_add_co_u32 v30, s1, s2, v4
	v_mov_b32_e32 v8, 0
	v_mov_b32_e32 v14, 0
	;; [unrolled: 1-line block ×6, first 2 shown]
	v_add_nc_u32_e32 v29, 0x1000, v6
	v_add_co_ci_u32_e64 v31, null, s7, v5, s1
	v_lshlrev_b32_e32 v32, 4, v0
	v_lshl_add_u32 v33, v1, 7, 0x1000
	v_mov_b32_e32 v9, 0
	v_mov_b32_e32 v11, 0
	;; [unrolled: 1-line block ×9, first 2 shown]
	s_mov_b64 s[2:3], 0
	s_xor_b32 s1, vcc_lo, -1
	s_branch .LBB285_7
.LBB285_6:                              ;   in Loop: Header=BB285_7 Depth=1
	s_or_b32 exec_lo, exec_lo, s7
	s_waitcnt lgkmcnt(0)
	s_barrier
	buffer_gl0_inv
	ds_read_b128 v[4:7], v33
	ds_read_b128 v[34:37], v32
	ds_read_b128 v[38:41], v32 offset:256
	ds_read_b128 v[42:45], v33 offset:2048
	;; [unrolled: 1-line block ×12, first 2 shown]
	s_add_u32 s2, s2, 8
	s_addc_u32 s3, s3, 0
	v_cmp_gt_i64_e64 s7, s[12:13], s[2:3]
	s_and_b32 vcc_lo, exec_lo, s7
	s_waitcnt lgkmcnt(12)
	v_mul_f64 v[86:87], v[6:7], v[36:37]
	v_mul_f64 v[88:89], v[4:5], v[36:37]
	s_waitcnt lgkmcnt(11)
	v_mul_f64 v[90:91], v[6:7], v[40:41]
	v_mul_f64 v[92:93], v[4:5], v[40:41]
	;; [unrolled: 3-line block ×3, first 2 shown]
	v_mul_f64 v[96:97], v[44:45], v[40:41]
	v_mul_f64 v[40:41], v[42:43], v[40:41]
	s_waitcnt lgkmcnt(8)
	v_mul_f64 v[98:99], v[48:49], v[52:53]
	v_mul_f64 v[100:101], v[46:47], v[52:53]
	s_waitcnt lgkmcnt(7)
	;; [unrolled: 3-line block ×3, first 2 shown]
	v_mul_f64 v[106:107], v[60:61], v[52:53]
	v_mul_f64 v[52:53], v[58:59], v[52:53]
	;; [unrolled: 1-line block ×4, first 2 shown]
	s_waitcnt lgkmcnt(3)
	v_mul_f64 v[112:113], v[72:73], v[64:65]
	v_mul_f64 v[116:117], v[70:71], v[64:65]
	v_mul_f64 v[118:119], v[72:73], v[68:69]
	v_mul_f64 v[120:121], v[70:71], v[68:69]
	s_waitcnt lgkmcnt(1)
	v_mul_f64 v[122:123], v[80:81], v[64:65]
	v_mul_f64 v[64:65], v[78:79], v[64:65]
	v_fma_f64 v[86:87], v[4:5], v[34:35], -v[86:87]
	v_fma_f64 v[88:89], v[6:7], v[34:35], v[88:89]
	v_fma_f64 v[90:91], v[4:5], v[38:39], -v[90:91]
	v_fma_f64 v[92:93], v[6:7], v[38:39], v[92:93]
	;; [unrolled: 2-line block ×8, first 2 shown]
	ds_read_b128 v[4:7], v32 offset:1536
	ds_read_b128 v[34:37], v32 offset:1792
	;; [unrolled: 1-line block ×6, first 2 shown]
	v_add_f64 v[54:55], v[20:21], v[86:87]
	v_add_f64 v[22:23], v[88:89], v[22:23]
	;; [unrolled: 1-line block ×3, first 2 shown]
	v_mul_f64 v[86:87], v[80:81], v[68:69]
	v_mul_f64 v[68:69], v[78:79], v[68:69]
	v_add_f64 v[88:89], v[92:93], v[18:19]
	v_add_f64 v[92:93], v[14:15], v[94:95]
	;; [unrolled: 1-line block ×5, first 2 shown]
	v_fma_f64 v[90:91], v[70:71], v[62:63], -v[112:113]
	v_fma_f64 v[94:95], v[72:73], v[62:63], v[116:117]
	v_fma_f64 v[70:71], v[70:71], v[66:67], -v[118:119]
	v_fma_f64 v[72:73], v[72:73], v[66:67], v[120:121]
	s_waitcnt lgkmcnt(5)
	v_mul_f64 v[108:109], v[76:77], v[6:7]
	v_mul_f64 v[110:111], v[74:75], v[6:7]
	v_fma_f64 v[112:113], v[78:79], v[62:63], -v[122:123]
	v_fma_f64 v[62:63], v[80:81], v[62:63], v[64:65]
	s_waitcnt lgkmcnt(4)
	v_mul_f64 v[64:65], v[76:77], v[36:37]
	v_mul_f64 v[116:117], v[74:75], v[36:37]
	ds_read_b128 v[14:17], v32 offset:2560
	ds_read_b128 v[18:21], v32 offset:2816
	v_add_f64 v[98:99], v[54:55], v[98:99]
	v_add_f64 v[22:23], v[100:101], v[22:23]
	;; [unrolled: 1-line block ×3, first 2 shown]
	v_mul_f64 v[102:103], v[84:85], v[6:7]
	v_mul_f64 v[6:7], v[82:83], v[6:7]
	v_add_f64 v[88:89], v[104:105], v[88:89]
	v_add_f64 v[92:93], v[92:93], v[106:107]
	v_fma_f64 v[78:79], v[78:79], v[66:67], -v[86:87]
	v_fma_f64 v[66:67], v[80:81], v[66:67], v[68:69]
	v_mul_f64 v[68:69], v[84:85], v[36:37]
	v_mul_f64 v[36:37], v[82:83], v[36:37]
	v_add_f64 v[12:13], v[124:125], v[12:13]
	v_add_f64 v[58:59], v[96:97], v[58:59]
	;; [unrolled: 1-line block ×3, first 2 shown]
	ds_read_b128 v[8:11], v33 offset:2112
	ds_read_b128 v[54:57], v33 offset:2128
	s_waitcnt lgkmcnt(5)
	v_mul_f64 v[80:81], v[48:49], v[40:41]
	v_mul_f64 v[86:87], v[46:47], v[40:41]
	;; [unrolled: 1-line block ×4, first 2 shown]
	v_fma_f64 v[106:107], v[74:75], v[4:5], -v[108:109]
	v_fma_f64 v[108:109], v[76:77], v[4:5], v[110:111]
	v_fma_f64 v[64:65], v[74:75], v[34:35], -v[64:65]
	v_fma_f64 v[74:75], v[76:77], v[34:35], v[116:117]
	v_add_f64 v[90:91], v[98:99], v[90:91]
	v_add_f64 v[22:23], v[94:95], v[22:23]
	;; [unrolled: 1-line block ×3, first 2 shown]
	v_fma_f64 v[94:95], v[82:83], v[4:5], -v[102:103]
	v_add_f64 v[72:73], v[72:73], v[88:89]
	v_add_f64 v[88:89], v[92:93], v[112:113]
	v_fma_f64 v[4:5], v[84:85], v[4:5], v[6:7]
	s_waitcnt lgkmcnt(3)
	v_mul_f64 v[98:99], v[52:53], v[16:17]
	v_fma_f64 v[6:7], v[82:83], v[34:35], -v[68:69]
	v_fma_f64 v[68:69], v[84:85], v[34:35], v[36:37]
	s_waitcnt lgkmcnt(1)
	v_mul_f64 v[76:77], v[10:11], v[40:41]
	v_mul_f64 v[40:41], v[8:9], v[40:41]
	;; [unrolled: 1-line block ×4, first 2 shown]
	v_add_f64 v[12:13], v[62:63], v[12:13]
	v_add_f64 v[58:59], v[58:59], v[78:79]
	;; [unrolled: 1-line block ×3, first 2 shown]
	v_mul_f64 v[100:101], v[50:51], v[16:17]
	v_mul_f64 v[62:63], v[52:53], v[20:21]
	v_fma_f64 v[78:79], v[46:47], v[38:39], -v[80:81]
	v_fma_f64 v[80:81], v[48:49], v[38:39], v[86:87]
	v_fma_f64 v[46:47], v[46:47], v[42:43], -v[104:105]
	v_fma_f64 v[48:49], v[48:49], v[42:43], v[96:97]
	v_add_f64 v[66:67], v[90:91], v[106:107]
	v_add_f64 v[82:83], v[108:109], v[22:23]
	;; [unrolled: 1-line block ×5, first 2 shown]
	s_waitcnt lgkmcnt(0)
	v_mul_f64 v[84:85], v[56:57], v[16:17]
	v_mul_f64 v[16:17], v[54:55], v[16:17]
	;; [unrolled: 1-line block ×4, first 2 shown]
	v_fma_f64 v[70:71], v[8:9], v[38:39], -v[76:77]
	v_mul_f64 v[76:77], v[50:51], v[20:21]
	v_fma_f64 v[90:91], v[10:11], v[38:39], v[40:41]
	v_fma_f64 v[8:9], v[8:9], v[42:43], -v[92:93]
	v_add_f64 v[12:13], v[4:5], v[12:13]
	v_add_f64 v[58:59], v[58:59], v[6:7]
	v_fma_f64 v[42:43], v[10:11], v[42:43], v[44:45]
	v_add_f64 v[44:45], v[68:69], v[60:61]
	ds_read_b128 v[4:7], v33 offset:96
	ds_read_b128 v[20:23], v32 offset:3072
	;; [unrolled: 1-line block ×4, first 2 shown]
	v_add_f64 v[60:61], v[66:67], v[78:79]
	v_add_f64 v[66:67], v[80:81], v[82:83]
	;; [unrolled: 1-line block ×3, first 2 shown]
	v_fma_f64 v[64:65], v[50:51], v[14:15], -v[98:99]
	v_add_f64 v[48:49], v[48:49], v[72:73]
	v_fma_f64 v[50:51], v[50:51], v[18:19], -v[62:63]
	v_fma_f64 v[62:63], v[54:55], v[14:15], -v[84:85]
	v_fma_f64 v[72:73], v[56:57], v[14:15], v[16:17]
	v_fma_f64 v[54:55], v[54:55], v[18:19], -v[86:87]
	v_add_f64 v[68:69], v[74:75], v[70:71]
	v_fma_f64 v[70:71], v[52:53], v[14:15], v[100:101]
	v_fma_f64 v[52:53], v[52:53], v[18:19], v[76:77]
	;; [unrolled: 1-line block ×3, first 2 shown]
	v_add_f64 v[74:75], v[90:91], v[12:13]
	v_add_f64 v[58:59], v[58:59], v[8:9]
	s_waitcnt lgkmcnt(2)
	v_mul_f64 v[76:77], v[6:7], v[22:23]
	v_mul_f64 v[78:79], v[4:5], v[22:23]
	s_waitcnt lgkmcnt(1)
	v_mul_f64 v[80:81], v[6:7], v[36:37]
	v_mul_f64 v[82:83], v[4:5], v[36:37]
	s_waitcnt lgkmcnt(0)
	v_mul_f64 v[84:85], v[40:41], v[22:23]
	v_mul_f64 v[22:23], v[38:39], v[22:23]
	v_mul_f64 v[86:87], v[40:41], v[36:37]
	v_add_f64 v[88:89], v[42:43], v[44:45]
	v_mul_f64 v[36:37], v[38:39], v[36:37]
	ds_read_b128 v[8:11], v33 offset:112
	ds_read_b128 v[12:15], v33 offset:2160
	ds_read_b128 v[16:19], v32 offset:3584
	ds_read_b128 v[42:45], v32 offset:3840
	v_add_f64 v[60:61], v[60:61], v[64:65]
	v_add_f64 v[46:47], v[46:47], v[50:51]
	s_waitcnt lgkmcnt(0)
	s_barrier
	v_add_f64 v[50:51], v[68:69], v[62:63]
	v_add_f64 v[64:65], v[70:71], v[66:67]
	;; [unrolled: 1-line block ×3, first 2 shown]
	buffer_gl0_inv
	v_add_f64 v[52:53], v[72:73], v[74:75]
	v_add_f64 v[54:55], v[58:59], v[54:55]
	v_fma_f64 v[58:59], v[4:5], v[20:21], -v[76:77]
	v_fma_f64 v[62:63], v[6:7], v[20:21], v[78:79]
	v_fma_f64 v[4:5], v[4:5], v[34:35], -v[80:81]
	v_fma_f64 v[6:7], v[6:7], v[34:35], v[82:83]
	v_fma_f64 v[66:67], v[38:39], v[20:21], -v[84:85]
	v_fma_f64 v[20:21], v[40:41], v[20:21], v[22:23]
	v_fma_f64 v[22:23], v[38:39], v[34:35], -v[86:87]
	v_add_f64 v[38:39], v[56:57], v[88:89]
	v_fma_f64 v[34:35], v[40:41], v[34:35], v[36:37]
	v_mul_f64 v[36:37], v[10:11], v[18:19]
	v_mul_f64 v[40:41], v[8:9], v[18:19]
	;; [unrolled: 1-line block ×8, first 2 shown]
	v_add_f64 v[58:59], v[60:61], v[58:59]
	v_add_f64 v[60:61], v[62:63], v[64:65]
	;; [unrolled: 1-line block ×8, first 2 shown]
	v_fma_f64 v[20:21], v[8:9], v[16:17], -v[36:37]
	v_fma_f64 v[22:23], v[10:11], v[16:17], v[40:41]
	v_fma_f64 v[8:9], v[8:9], v[42:43], -v[56:57]
	v_fma_f64 v[10:11], v[10:11], v[42:43], v[68:69]
	;; [unrolled: 2-line block ×4, first 2 shown]
	v_add_f64 v[20:21], v[58:59], v[20:21]
	v_add_f64 v[22:23], v[22:23], v[60:61]
	;; [unrolled: 1-line block ×8, first 2 shown]
	s_cbranch_vccz .LBB285_15
.LBB285_7:                              ; =>This Inner Loop Header: Depth=1
	v_mov_b32_e32 v4, 0
	v_mov_b32_e32 v6, 0
	;; [unrolled: 1-line block ×4, first 2 shown]
	s_and_saveexec_b32 s7, s0
	s_cbranch_execz .LBB285_11
; %bb.8:                                ;   in Loop: Header=BB285_7 Depth=1
	v_mov_b32_e32 v6, 0
	v_mov_b32_e32 v4, 0
	v_add_nc_u32_e32 v2, s2, v25
	v_mov_b32_e32 v7, 0
	v_mov_b32_e32 v5, 0
	s_mov_b32 s10, exec_lo
	v_cmpx_gt_u64_e64 s[12:13], v[2:3]
	s_cbranch_execz .LBB285_10
; %bb.9:                                ;   in Loop: Header=BB285_7 Depth=1
	v_lshlrev_b64 v[4:5], 4, v[2:3]
	v_add_co_u32 v4, vcc_lo, v27, v4
	v_add_co_ci_u32_e64 v5, null, v28, v5, vcc_lo
	global_load_dwordx4 v[4:7], v[4:5], off
	s_waitcnt vmcnt(0)
	v_xor_b32_e32 v7, 0x80000000, v7
.LBB285_10:                             ;   in Loop: Header=BB285_7 Depth=1
	s_or_b32 exec_lo, exec_lo, s10
.LBB285_11:                             ;   in Loop: Header=BB285_7 Depth=1
	s_or_b32 exec_lo, exec_lo, s7
	v_add_nc_u32_e32 v2, s2, v24
	ds_write_b128 v26, v[4:7]
	v_cmp_le_u64_e32 vcc_lo, s[12:13], v[2:3]
	s_or_b32 s7, vcc_lo, s1
	s_and_saveexec_b32 s10, s7
	s_xor_b32 s7, exec_lo, s10
	s_cbranch_execz .LBB285_13
; %bb.12:                               ;   in Loop: Header=BB285_7 Depth=1
	v_mov_b32_e32 v2, v3
	v_mov_b32_e32 v4, v3
	;; [unrolled: 1-line block ×3, first 2 shown]
	ds_write_b128 v29, v[2:5]
.LBB285_13:                             ;   in Loop: Header=BB285_7 Depth=1
	s_andn2_saveexec_b32 s7, s7
	s_cbranch_execz .LBB285_6
; %bb.14:                               ;   in Loop: Header=BB285_7 Depth=1
	v_lshlrev_b64 v[4:5], 4, v[2:3]
	v_add_co_u32 v4, vcc_lo, v30, v4
	v_add_co_ci_u32_e64 v5, null, v31, v5, vcc_lo
	global_load_dwordx4 v[4:7], v[4:5], off
	s_waitcnt vmcnt(0)
	ds_write2_b64 v29, v[4:5], v[6:7] offset1:1
	s_branch .LBB285_6
.LBB285_15:
	v_add_nc_u32_e32 v25, s6, v1
	v_cmp_neq_f64_e64 s2, s[38:39], 0
	s_waitcnt lgkmcnt(0)
	s_mul_i32 s1, s31, s8
	s_mul_hi_u32 s3, s30, s8
	s_mul_i32 s0, s30, s8
	v_ashrrev_i32_e32 v3, 31, v25
	v_mul_lo_u32 v5, s29, v25
	v_mad_u64_u32 v[1:2], null, s28, v25, 0
	s_add_i32 s1, s3, s1
	v_mul_lo_u32 v3, s28, v3
	v_add_nc_u32_e32 v4, s5, v0
	s_lshl_b64 s[6:7], s[0:1], 4
	s_add_u32 s3, s42, s6
	s_addc_u32 s5, s43, s7
	s_xor_b32 s6, s9, -1
	v_cmp_le_i32_e32 vcc_lo, v25, v4
	v_add3_u32 v2, v2, v3, v5
	v_cmp_gt_i32_e64 s0, s4, v4
	v_ashrrev_i32_e32 v5, 31, v4
	s_or_b32 s2, s2, s6
	v_lshlrev_b64 v[0:1], 4, v[1:2]
	v_cndmask_b32_e64 v24, 0, 1, s2
	s_and_b32 s6, vcc_lo, s0
	v_add_co_u32 v26, s1, s3, v0
	v_add_co_ci_u32_e64 v27, null, s5, v1, s1
	s_and_saveexec_b32 s1, s6
	s_cbranch_execz .LBB285_19
; %bb.16:
	v_mul_f64 v[0:1], s[16:17], v[22:23]
	v_mul_f64 v[2:3], s[14:15], v[22:23]
	v_lshlrev_b64 v[6:7], 4, v[4:5]
	v_add_co_u32 v6, vcc_lo, v26, v6
	v_add_co_ci_u32_e64 v7, null, v27, v7, vcc_lo
	s_andn2_b32 vcc_lo, exec_lo, s2
	v_fma_f64 v[0:1], s[14:15], v[20:21], -v[0:1]
	v_fma_f64 v[2:3], s[16:17], v[20:21], v[2:3]
	s_cbranch_vccnz .LBB285_18
; %bb.17:
	global_load_dwordx4 v[20:23], v[6:7], off
	s_waitcnt vmcnt(0)
	v_mul_f64 v[28:29], s[40:41], v[22:23]
	v_mul_f64 v[22:23], s[38:39], v[22:23]
	v_fma_f64 v[28:29], s[38:39], v[20:21], -v[28:29]
	v_fma_f64 v[20:21], s[40:41], v[20:21], v[22:23]
	v_add_f64 v[0:1], v[0:1], v[28:29]
	v_add_f64 v[2:3], v[2:3], v[20:21]
.LBB285_18:
	global_store_dwordx4 v[6:7], v[0:3], off
.LBB285_19:
	s_or_b32 exec_lo, exec_lo, s1
	v_add_nc_u32_e32 v6, 16, v4
	v_cmp_le_i32_e32 vcc_lo, v25, v6
	v_cmp_gt_i32_e64 s1, s4, v6
	v_ashrrev_i32_e32 v7, 31, v6
	s_and_b32 s2, vcc_lo, s1
	s_and_saveexec_b32 s4, s2
	s_cbranch_execz .LBB285_23
; %bb.20:
	v_mul_f64 v[0:1], s[16:17], v[18:19]
	v_mul_f64 v[2:3], s[14:15], v[18:19]
	v_cmp_ne_u32_e32 vcc_lo, 1, v24
	s_and_b32 vcc_lo, exec_lo, vcc_lo
	v_fma_f64 v[0:1], s[14:15], v[16:17], -v[0:1]
	v_fma_f64 v[2:3], s[16:17], v[16:17], v[2:3]
	v_lshlrev_b64 v[16:17], 4, v[6:7]
	v_add_co_u32 v16, s2, v26, v16
	v_add_co_ci_u32_e64 v17, null, v27, v17, s2
	s_cbranch_vccnz .LBB285_22
; %bb.21:
	global_load_dwordx4 v[18:21], v[16:17], off
	s_waitcnt vmcnt(0)
	v_mul_f64 v[22:23], s[40:41], v[20:21]
	v_mul_f64 v[20:21], s[38:39], v[20:21]
	v_fma_f64 v[22:23], s[38:39], v[18:19], -v[22:23]
	v_fma_f64 v[18:19], s[40:41], v[18:19], v[20:21]
	v_add_f64 v[0:1], v[0:1], v[22:23]
	v_add_f64 v[2:3], v[2:3], v[18:19]
.LBB285_22:
	global_store_dwordx4 v[16:17], v[0:3], off
.LBB285_23:
	s_or_b32 exec_lo, exec_lo, s4
	v_add_nc_u32_e32 v18, 16, v25
	v_ashrrev_i32_e32 v2, 31, v18
	v_mul_lo_u32 v3, s29, v18
	v_mad_u64_u32 v[0:1], null, s28, v18, 0
	v_cmp_le_i32_e32 vcc_lo, v18, v4
	v_mul_lo_u32 v2, s28, v2
	s_and_b32 s0, vcc_lo, s0
	v_add3_u32 v1, v1, v2, v3
	v_lshlrev_b64 v[0:1], 4, v[0:1]
	v_add_co_u32 v16, s2, s3, v0
	v_add_co_ci_u32_e64 v17, null, s5, v1, s2
	s_and_saveexec_b32 s2, s0
	s_cbranch_execz .LBB285_27
; %bb.24:
	v_mul_f64 v[0:1], s[16:17], v[12:13]
	v_mul_f64 v[2:3], s[14:15], v[12:13]
	v_lshlrev_b64 v[4:5], 4, v[4:5]
	v_cmp_ne_u32_e32 vcc_lo, 1, v24
	s_and_b32 vcc_lo, exec_lo, vcc_lo
	v_add_co_u32 v4, s0, v16, v4
	v_add_co_ci_u32_e64 v5, null, v17, v5, s0
	v_fma_f64 v[0:1], s[14:15], v[14:15], -v[0:1]
	v_fma_f64 v[2:3], s[16:17], v[14:15], v[2:3]
	s_cbranch_vccnz .LBB285_26
; %bb.25:
	global_load_dwordx4 v[12:15], v[4:5], off
	s_waitcnt vmcnt(0)
	v_mul_f64 v[19:20], s[40:41], v[14:15]
	v_mul_f64 v[14:15], s[38:39], v[14:15]
	v_fma_f64 v[19:20], s[38:39], v[12:13], -v[19:20]
	v_fma_f64 v[12:13], s[40:41], v[12:13], v[14:15]
	v_add_f64 v[0:1], v[0:1], v[19:20]
	v_add_f64 v[2:3], v[2:3], v[12:13]
.LBB285_26:
	global_store_dwordx4 v[4:5], v[0:3], off
.LBB285_27:
	s_or_b32 exec_lo, exec_lo, s2
	v_cmp_le_i32_e32 vcc_lo, v18, v6
	s_and_b32 s0, vcc_lo, s1
	s_and_saveexec_b32 s1, s0
	s_cbranch_execz .LBB285_32
; %bb.28:
	v_mul_f64 v[0:1], s[16:17], v[8:9]
	v_mul_f64 v[2:3], s[14:15], v[8:9]
	v_lshlrev_b64 v[4:5], 4, v[6:7]
	v_cmp_ne_u32_e32 vcc_lo, 1, v24
	s_and_b32 vcc_lo, exec_lo, vcc_lo
	v_add_co_u32 v4, s0, v16, v4
	v_add_co_ci_u32_e64 v5, null, v17, v5, s0
	v_fma_f64 v[0:1], s[14:15], v[10:11], -v[0:1]
	v_fma_f64 v[2:3], s[16:17], v[10:11], v[2:3]
	s_cbranch_vccnz .LBB285_30
; %bb.29:
	global_load_dwordx4 v[6:9], v[4:5], off
	s_waitcnt vmcnt(0)
	v_mul_f64 v[10:11], s[40:41], v[8:9]
	v_mul_f64 v[8:9], s[38:39], v[8:9]
	v_fma_f64 v[10:11], s[38:39], v[6:7], -v[10:11]
	v_fma_f64 v[6:7], s[40:41], v[6:7], v[8:9]
	v_add_f64 v[0:1], v[0:1], v[10:11]
	v_add_f64 v[2:3], v[2:3], v[6:7]
.LBB285_30:
	global_store_dwordx4 v[4:5], v[0:3], off
	s_endpgm
.LBB285_31:
.LBB285_32:
	s_endpgm
	.section	.rodata,"a",@progbits
	.p2align	6, 0x0
	.amdhsa_kernel _ZL29rocblas_internal_gemmt_kernelIlLi16ELi32ELi8ELc67ELc78ELc76ELb1ELb0E19rocblas_complex_numIdES1_PKS1_PS1_EviT_T9_T10_S5_lS7_S5_lS6_T11_S5_li
		.amdhsa_group_segment_fixed_size 8192
		.amdhsa_private_segment_fixed_size 0
		.amdhsa_kernarg_size 124
		.amdhsa_user_sgpr_count 6
		.amdhsa_user_sgpr_private_segment_buffer 1
		.amdhsa_user_sgpr_dispatch_ptr 0
		.amdhsa_user_sgpr_queue_ptr 0
		.amdhsa_user_sgpr_kernarg_segment_ptr 1
		.amdhsa_user_sgpr_dispatch_id 0
		.amdhsa_user_sgpr_flat_scratch_init 0
		.amdhsa_user_sgpr_private_segment_size 0
		.amdhsa_wavefront_size32 1
		.amdhsa_uses_dynamic_stack 0
		.amdhsa_system_sgpr_private_segment_wavefront_offset 0
		.amdhsa_system_sgpr_workgroup_id_x 1
		.amdhsa_system_sgpr_workgroup_id_y 1
		.amdhsa_system_sgpr_workgroup_id_z 1
		.amdhsa_system_sgpr_workgroup_info 0
		.amdhsa_system_vgpr_workitem_id 1
		.amdhsa_next_free_vgpr 126
		.amdhsa_next_free_sgpr 44
		.amdhsa_reserve_vcc 1
		.amdhsa_reserve_flat_scratch 0
		.amdhsa_float_round_mode_32 0
		.amdhsa_float_round_mode_16_64 0
		.amdhsa_float_denorm_mode_32 3
		.amdhsa_float_denorm_mode_16_64 3
		.amdhsa_dx10_clamp 1
		.amdhsa_ieee_mode 1
		.amdhsa_fp16_overflow 0
		.amdhsa_workgroup_processor_mode 1
		.amdhsa_memory_ordered 1
		.amdhsa_forward_progress 1
		.amdhsa_shared_vgpr_count 0
		.amdhsa_exception_fp_ieee_invalid_op 0
		.amdhsa_exception_fp_denorm_src 0
		.amdhsa_exception_fp_ieee_div_zero 0
		.amdhsa_exception_fp_ieee_overflow 0
		.amdhsa_exception_fp_ieee_underflow 0
		.amdhsa_exception_fp_ieee_inexact 0
		.amdhsa_exception_int_div_zero 0
	.end_amdhsa_kernel
	.section	.text._ZL29rocblas_internal_gemmt_kernelIlLi16ELi32ELi8ELc67ELc78ELc76ELb1ELb0E19rocblas_complex_numIdES1_PKS1_PS1_EviT_T9_T10_S5_lS7_S5_lS6_T11_S5_li,"axG",@progbits,_ZL29rocblas_internal_gemmt_kernelIlLi16ELi32ELi8ELc67ELc78ELc76ELb1ELb0E19rocblas_complex_numIdES1_PKS1_PS1_EviT_T9_T10_S5_lS7_S5_lS6_T11_S5_li,comdat
.Lfunc_end285:
	.size	_ZL29rocblas_internal_gemmt_kernelIlLi16ELi32ELi8ELc67ELc78ELc76ELb1ELb0E19rocblas_complex_numIdES1_PKS1_PS1_EviT_T9_T10_S5_lS7_S5_lS6_T11_S5_li, .Lfunc_end285-_ZL29rocblas_internal_gemmt_kernelIlLi16ELi32ELi8ELc67ELc78ELc76ELb1ELb0E19rocblas_complex_numIdES1_PKS1_PS1_EviT_T9_T10_S5_lS7_S5_lS6_T11_S5_li
                                        ; -- End function
	.set _ZL29rocblas_internal_gemmt_kernelIlLi16ELi32ELi8ELc67ELc78ELc76ELb1ELb0E19rocblas_complex_numIdES1_PKS1_PS1_EviT_T9_T10_S5_lS7_S5_lS6_T11_S5_li.num_vgpr, 126
	.set _ZL29rocblas_internal_gemmt_kernelIlLi16ELi32ELi8ELc67ELc78ELc76ELb1ELb0E19rocblas_complex_numIdES1_PKS1_PS1_EviT_T9_T10_S5_lS7_S5_lS6_T11_S5_li.num_agpr, 0
	.set _ZL29rocblas_internal_gemmt_kernelIlLi16ELi32ELi8ELc67ELc78ELc76ELb1ELb0E19rocblas_complex_numIdES1_PKS1_PS1_EviT_T9_T10_S5_lS7_S5_lS6_T11_S5_li.numbered_sgpr, 44
	.set _ZL29rocblas_internal_gemmt_kernelIlLi16ELi32ELi8ELc67ELc78ELc76ELb1ELb0E19rocblas_complex_numIdES1_PKS1_PS1_EviT_T9_T10_S5_lS7_S5_lS6_T11_S5_li.num_named_barrier, 0
	.set _ZL29rocblas_internal_gemmt_kernelIlLi16ELi32ELi8ELc67ELc78ELc76ELb1ELb0E19rocblas_complex_numIdES1_PKS1_PS1_EviT_T9_T10_S5_lS7_S5_lS6_T11_S5_li.private_seg_size, 0
	.set _ZL29rocblas_internal_gemmt_kernelIlLi16ELi32ELi8ELc67ELc78ELc76ELb1ELb0E19rocblas_complex_numIdES1_PKS1_PS1_EviT_T9_T10_S5_lS7_S5_lS6_T11_S5_li.uses_vcc, 1
	.set _ZL29rocblas_internal_gemmt_kernelIlLi16ELi32ELi8ELc67ELc78ELc76ELb1ELb0E19rocblas_complex_numIdES1_PKS1_PS1_EviT_T9_T10_S5_lS7_S5_lS6_T11_S5_li.uses_flat_scratch, 0
	.set _ZL29rocblas_internal_gemmt_kernelIlLi16ELi32ELi8ELc67ELc78ELc76ELb1ELb0E19rocblas_complex_numIdES1_PKS1_PS1_EviT_T9_T10_S5_lS7_S5_lS6_T11_S5_li.has_dyn_sized_stack, 0
	.set _ZL29rocblas_internal_gemmt_kernelIlLi16ELi32ELi8ELc67ELc78ELc76ELb1ELb0E19rocblas_complex_numIdES1_PKS1_PS1_EviT_T9_T10_S5_lS7_S5_lS6_T11_S5_li.has_recursion, 0
	.set _ZL29rocblas_internal_gemmt_kernelIlLi16ELi32ELi8ELc67ELc78ELc76ELb1ELb0E19rocblas_complex_numIdES1_PKS1_PS1_EviT_T9_T10_S5_lS7_S5_lS6_T11_S5_li.has_indirect_call, 0
	.section	.AMDGPU.csdata,"",@progbits
; Kernel info:
; codeLenInByte = 3552
; TotalNumSgprs: 46
; NumVgprs: 126
; ScratchSize: 0
; MemoryBound: 1
; FloatMode: 240
; IeeeMode: 1
; LDSByteSize: 8192 bytes/workgroup (compile time only)
; SGPRBlocks: 0
; VGPRBlocks: 15
; NumSGPRsForWavesPerEU: 46
; NumVGPRsForWavesPerEU: 126
; Occupancy: 8
; WaveLimiterHint : 0
; COMPUTE_PGM_RSRC2:SCRATCH_EN: 0
; COMPUTE_PGM_RSRC2:USER_SGPR: 6
; COMPUTE_PGM_RSRC2:TRAP_HANDLER: 0
; COMPUTE_PGM_RSRC2:TGID_X_EN: 1
; COMPUTE_PGM_RSRC2:TGID_Y_EN: 1
; COMPUTE_PGM_RSRC2:TGID_Z_EN: 1
; COMPUTE_PGM_RSRC2:TIDIG_COMP_CNT: 1
	.section	.text._ZL29rocblas_internal_gemmt_kernelIlLi16ELi32ELi8ELc67ELc84ELc76ELb1ELb0E19rocblas_complex_numIdES1_PKS1_PS1_EviT_T9_T10_S5_lS7_S5_lS6_T11_S5_li,"axG",@progbits,_ZL29rocblas_internal_gemmt_kernelIlLi16ELi32ELi8ELc67ELc84ELc76ELb1ELb0E19rocblas_complex_numIdES1_PKS1_PS1_EviT_T9_T10_S5_lS7_S5_lS6_T11_S5_li,comdat
	.globl	_ZL29rocblas_internal_gemmt_kernelIlLi16ELi32ELi8ELc67ELc84ELc76ELb1ELb0E19rocblas_complex_numIdES1_PKS1_PS1_EviT_T9_T10_S5_lS7_S5_lS6_T11_S5_li ; -- Begin function _ZL29rocblas_internal_gemmt_kernelIlLi16ELi32ELi8ELc67ELc84ELc76ELb1ELb0E19rocblas_complex_numIdES1_PKS1_PS1_EviT_T9_T10_S5_lS7_S5_lS6_T11_S5_li
	.p2align	8
	.type	_ZL29rocblas_internal_gemmt_kernelIlLi16ELi32ELi8ELc67ELc84ELc76ELb1ELb0E19rocblas_complex_numIdES1_PKS1_PS1_EviT_T9_T10_S5_lS7_S5_lS6_T11_S5_li,@function
_ZL29rocblas_internal_gemmt_kernelIlLi16ELi32ELi8ELc67ELc84ELc76ELb1ELb0E19rocblas_complex_numIdES1_PKS1_PS1_EviT_T9_T10_S5_lS7_S5_lS6_T11_S5_li: ; @_ZL29rocblas_internal_gemmt_kernelIlLi16ELi32ELi8ELc67ELc84ELc76ELb1ELb0E19rocblas_complex_numIdES1_PKS1_PS1_EviT_T9_T10_S5_lS7_S5_lS6_T11_S5_li
; %bb.0:
	s_clause 0x1
	s_load_dwordx8 s[36:43], s[4:5], 0x48
	s_load_dwordx16 s[12:27], s[4:5], 0x8
	s_waitcnt lgkmcnt(0)
	v_cmp_eq_f64_e64 s0, s[38:39], 1.0
	v_cmp_eq_f64_e64 s9, s[40:41], 0
	s_and_b32 s0, s0, s9
	s_andn2_b32 vcc_lo, exec_lo, s0
	s_mov_b32 s0, -1
	s_cbranch_vccnz .LBB286_3
; %bb.1:
	s_cmp_lg_u64 s[12:13], 0
	s_cbranch_scc0 .LBB286_31
; %bb.2:
	v_cmp_neq_f64_e64 s0, s[14:15], 0
	v_cmp_neq_f64_e64 s1, s[16:17], 0
	s_or_b32 s0, s0, s1
.LBB286_3:
	s_and_b32 vcc_lo, exec_lo, s0
	s_cbranch_vccz .LBB286_32
; %bb.4:
	v_cmp_eq_f64_e64 s0, s[14:15], 0
	v_cmp_eq_f64_e64 s1, s[16:17], 0
	s_clause 0x1
	s_load_dwordx4 s[28:31], s[4:5], 0x68
	s_load_dword s4, s[4:5], 0x0
	v_cmp_lt_i64_e64 s2, s[12:13], 1
	v_mov_b32_e32 v20, 0
	v_mov_b32_e32 v22, 0
	;; [unrolled: 1-line block ×16, first 2 shown]
	s_lshl_b32 s5, s6, 5
	s_lshl_b32 s6, s7, 5
	s_and_b32 s0, s0, s1
	s_or_b32 s0, s0, s2
	s_and_b32 vcc_lo, exec_lo, s0
	s_cbranch_vccnz .LBB286_15
; %bb.5:
	v_lshl_add_u32 v5, v1, 4, v0
	s_mul_i32 s1, s37, s8
	s_mul_hi_u32 s2, s36, s8
	s_mul_i32 s0, s36, s8
	s_add_i32 s1, s2, s1
	v_and_b32_e32 v6, 31, v5
	s_lshl_b64 s[0:1], s[0:1], 4
	s_mul_i32 s2, s23, s8
	s_add_u32 s3, s24, s0
	s_addc_u32 s7, s25, s1
	v_or_b32_e32 v7, s5, v6
	s_mul_hi_u32 s1, s22, s8
	s_mul_i32 s0, s22, s8
	s_add_i32 s1, s1, s2
	v_lshrrev_b32_e32 v9, 3, v5
	v_mul_lo_u32 v8, s21, v7
	v_mad_u64_u32 v[2:3], null, s20, v7, 0
	s_lshl_b64 s[0:1], s[0:1], 4
	v_add_nc_u32_e32 v4, s6, v9
	s_add_u32 s2, s18, s0
	s_addc_u32 s1, s19, s1
	s_ashr_i32 s0, s5, 31
	v_and_b32_e32 v24, 7, v0
	s_mul_i32 s0, s20, s0
	v_lshrrev_b32_e32 v25, 5, v5
	v_add3_u32 v3, v3, s0, v8
	v_lshlrev_b32_e32 v6, 4, v6
	v_ashrrev_i32_e32 v5, 31, v4
	v_lshlrev_b32_e32 v8, 4, v24
	s_waitcnt lgkmcnt(0)
	v_cmp_gt_i32_e64 s0, s4, v7
	v_lshlrev_b64 v[2:3], 4, v[2:3]
	v_lshl_or_b32 v26, v25, 9, v6
	v_lshlrev_b64 v[5:6], 4, v[4:5]
	v_lshl_or_b32 v7, v9, 7, v8
	v_mov_b32_e32 v8, 0
	v_mov_b32_e32 v10, 0
	v_add_co_u32 v27, vcc_lo, s2, v2
	v_add_co_ci_u32_e64 v28, null, s1, v3, vcc_lo
	v_cmp_gt_i32_e32 vcc_lo, s4, v4
	v_add_co_u32 v30, s1, s3, v5
	v_mov_b32_e32 v12, 0
	v_mov_b32_e32 v14, 0
	;; [unrolled: 1-line block ×6, first 2 shown]
	v_add_nc_u32_e32 v29, 0x1000, v7
	v_add_co_ci_u32_e64 v31, null, s7, v6, s1
	v_lshlrev_b32_e32 v32, 4, v0
	v_lshl_add_u32 v33, v1, 7, 0x1000
	v_mov_b32_e32 v9, 0
	v_mov_b32_e32 v11, 0
	;; [unrolled: 1-line block ×9, first 2 shown]
	s_mov_b64 s[2:3], 0
	s_xor_b32 s1, vcc_lo, -1
	s_branch .LBB286_7
.LBB286_6:                              ;   in Loop: Header=BB286_7 Depth=1
	s_or_b32 exec_lo, exec_lo, s7
	s_waitcnt lgkmcnt(0)
	s_barrier
	buffer_gl0_inv
	ds_read_b128 v[4:7], v33
	ds_read_b128 v[34:37], v32
	ds_read_b128 v[38:41], v32 offset:256
	ds_read_b128 v[42:45], v33 offset:2048
	;; [unrolled: 1-line block ×12, first 2 shown]
	s_add_u32 s2, s2, 8
	s_addc_u32 s3, s3, 0
	v_cmp_gt_i64_e64 s7, s[12:13], s[2:3]
	s_and_b32 vcc_lo, exec_lo, s7
	s_waitcnt lgkmcnt(12)
	v_mul_f64 v[86:87], v[6:7], v[36:37]
	v_mul_f64 v[88:89], v[4:5], v[36:37]
	s_waitcnt lgkmcnt(11)
	v_mul_f64 v[90:91], v[6:7], v[40:41]
	v_mul_f64 v[92:93], v[4:5], v[40:41]
	;; [unrolled: 3-line block ×3, first 2 shown]
	v_mul_f64 v[96:97], v[44:45], v[40:41]
	v_mul_f64 v[40:41], v[42:43], v[40:41]
	s_waitcnt lgkmcnt(8)
	v_mul_f64 v[98:99], v[48:49], v[52:53]
	v_mul_f64 v[100:101], v[46:47], v[52:53]
	s_waitcnt lgkmcnt(7)
	;; [unrolled: 3-line block ×3, first 2 shown]
	v_mul_f64 v[106:107], v[60:61], v[52:53]
	v_mul_f64 v[52:53], v[58:59], v[52:53]
	;; [unrolled: 1-line block ×4, first 2 shown]
	s_waitcnt lgkmcnt(3)
	v_mul_f64 v[112:113], v[72:73], v[64:65]
	v_mul_f64 v[116:117], v[70:71], v[64:65]
	;; [unrolled: 1-line block ×4, first 2 shown]
	s_waitcnt lgkmcnt(1)
	v_mul_f64 v[122:123], v[80:81], v[64:65]
	v_mul_f64 v[64:65], v[78:79], v[64:65]
	v_fma_f64 v[86:87], v[4:5], v[34:35], -v[86:87]
	v_fma_f64 v[88:89], v[6:7], v[34:35], v[88:89]
	v_fma_f64 v[90:91], v[4:5], v[38:39], -v[90:91]
	v_fma_f64 v[92:93], v[6:7], v[38:39], v[92:93]
	;; [unrolled: 2-line block ×8, first 2 shown]
	ds_read_b128 v[4:7], v32 offset:1536
	ds_read_b128 v[34:37], v32 offset:1792
	;; [unrolled: 1-line block ×6, first 2 shown]
	v_add_f64 v[54:55], v[20:21], v[86:87]
	v_add_f64 v[22:23], v[88:89], v[22:23]
	v_add_f64 v[56:57], v[16:17], v[90:91]
	v_mul_f64 v[86:87], v[80:81], v[68:69]
	v_mul_f64 v[68:69], v[78:79], v[68:69]
	v_add_f64 v[88:89], v[92:93], v[18:19]
	v_add_f64 v[92:93], v[14:15], v[94:95]
	;; [unrolled: 1-line block ×5, first 2 shown]
	v_fma_f64 v[90:91], v[70:71], v[62:63], -v[112:113]
	v_fma_f64 v[94:95], v[72:73], v[62:63], v[116:117]
	v_fma_f64 v[70:71], v[70:71], v[66:67], -v[118:119]
	v_fma_f64 v[72:73], v[72:73], v[66:67], v[120:121]
	s_waitcnt lgkmcnt(5)
	v_mul_f64 v[108:109], v[76:77], v[6:7]
	v_mul_f64 v[110:111], v[74:75], v[6:7]
	v_fma_f64 v[112:113], v[78:79], v[62:63], -v[122:123]
	v_fma_f64 v[62:63], v[80:81], v[62:63], v[64:65]
	s_waitcnt lgkmcnt(4)
	v_mul_f64 v[64:65], v[76:77], v[36:37]
	v_mul_f64 v[116:117], v[74:75], v[36:37]
	ds_read_b128 v[14:17], v32 offset:2560
	ds_read_b128 v[18:21], v32 offset:2816
	v_add_f64 v[98:99], v[54:55], v[98:99]
	v_add_f64 v[22:23], v[100:101], v[22:23]
	;; [unrolled: 1-line block ×3, first 2 shown]
	v_mul_f64 v[102:103], v[84:85], v[6:7]
	v_mul_f64 v[6:7], v[82:83], v[6:7]
	v_add_f64 v[88:89], v[104:105], v[88:89]
	v_add_f64 v[92:93], v[92:93], v[106:107]
	v_fma_f64 v[78:79], v[78:79], v[66:67], -v[86:87]
	v_fma_f64 v[66:67], v[80:81], v[66:67], v[68:69]
	v_mul_f64 v[68:69], v[84:85], v[36:37]
	v_mul_f64 v[36:37], v[82:83], v[36:37]
	v_add_f64 v[12:13], v[124:125], v[12:13]
	v_add_f64 v[58:59], v[96:97], v[58:59]
	;; [unrolled: 1-line block ×3, first 2 shown]
	ds_read_b128 v[8:11], v33 offset:2112
	ds_read_b128 v[54:57], v33 offset:2128
	s_waitcnt lgkmcnt(5)
	v_mul_f64 v[80:81], v[48:49], v[40:41]
	v_mul_f64 v[86:87], v[46:47], v[40:41]
	;; [unrolled: 1-line block ×4, first 2 shown]
	v_fma_f64 v[106:107], v[74:75], v[4:5], -v[108:109]
	v_fma_f64 v[108:109], v[76:77], v[4:5], v[110:111]
	v_fma_f64 v[64:65], v[74:75], v[34:35], -v[64:65]
	v_fma_f64 v[74:75], v[76:77], v[34:35], v[116:117]
	v_add_f64 v[90:91], v[98:99], v[90:91]
	v_add_f64 v[22:23], v[94:95], v[22:23]
	;; [unrolled: 1-line block ×3, first 2 shown]
	v_fma_f64 v[94:95], v[82:83], v[4:5], -v[102:103]
	v_add_f64 v[72:73], v[72:73], v[88:89]
	v_add_f64 v[88:89], v[92:93], v[112:113]
	v_fma_f64 v[4:5], v[84:85], v[4:5], v[6:7]
	s_waitcnt lgkmcnt(3)
	v_mul_f64 v[98:99], v[52:53], v[16:17]
	v_fma_f64 v[6:7], v[82:83], v[34:35], -v[68:69]
	v_fma_f64 v[68:69], v[84:85], v[34:35], v[36:37]
	s_waitcnt lgkmcnt(1)
	v_mul_f64 v[76:77], v[10:11], v[40:41]
	v_mul_f64 v[40:41], v[8:9], v[40:41]
	;; [unrolled: 1-line block ×4, first 2 shown]
	v_add_f64 v[12:13], v[62:63], v[12:13]
	v_add_f64 v[58:59], v[58:59], v[78:79]
	;; [unrolled: 1-line block ×3, first 2 shown]
	v_mul_f64 v[100:101], v[50:51], v[16:17]
	v_mul_f64 v[62:63], v[52:53], v[20:21]
	v_fma_f64 v[78:79], v[46:47], v[38:39], -v[80:81]
	v_fma_f64 v[80:81], v[48:49], v[38:39], v[86:87]
	v_fma_f64 v[46:47], v[46:47], v[42:43], -v[104:105]
	v_fma_f64 v[48:49], v[48:49], v[42:43], v[96:97]
	v_add_f64 v[66:67], v[90:91], v[106:107]
	v_add_f64 v[82:83], v[108:109], v[22:23]
	v_add_f64 v[64:65], v[70:71], v[64:65]
	v_add_f64 v[72:73], v[74:75], v[72:73]
	v_add_f64 v[74:75], v[88:89], v[94:95]
	s_waitcnt lgkmcnt(0)
	v_mul_f64 v[84:85], v[56:57], v[16:17]
	v_mul_f64 v[16:17], v[54:55], v[16:17]
	;; [unrolled: 1-line block ×4, first 2 shown]
	v_fma_f64 v[70:71], v[8:9], v[38:39], -v[76:77]
	v_mul_f64 v[76:77], v[50:51], v[20:21]
	v_fma_f64 v[90:91], v[10:11], v[38:39], v[40:41]
	v_fma_f64 v[8:9], v[8:9], v[42:43], -v[92:93]
	v_add_f64 v[12:13], v[4:5], v[12:13]
	v_add_f64 v[58:59], v[58:59], v[6:7]
	v_fma_f64 v[42:43], v[10:11], v[42:43], v[44:45]
	v_add_f64 v[44:45], v[68:69], v[60:61]
	ds_read_b128 v[4:7], v33 offset:96
	ds_read_b128 v[20:23], v32 offset:3072
	;; [unrolled: 1-line block ×4, first 2 shown]
	v_add_f64 v[60:61], v[66:67], v[78:79]
	v_add_f64 v[66:67], v[80:81], v[82:83]
	;; [unrolled: 1-line block ×3, first 2 shown]
	v_fma_f64 v[64:65], v[50:51], v[14:15], -v[98:99]
	v_add_f64 v[48:49], v[48:49], v[72:73]
	v_fma_f64 v[50:51], v[50:51], v[18:19], -v[62:63]
	v_fma_f64 v[62:63], v[54:55], v[14:15], -v[84:85]
	v_fma_f64 v[72:73], v[56:57], v[14:15], v[16:17]
	v_fma_f64 v[54:55], v[54:55], v[18:19], -v[86:87]
	v_add_f64 v[68:69], v[74:75], v[70:71]
	v_fma_f64 v[70:71], v[52:53], v[14:15], v[100:101]
	v_fma_f64 v[52:53], v[52:53], v[18:19], v[76:77]
	;; [unrolled: 1-line block ×3, first 2 shown]
	v_add_f64 v[74:75], v[90:91], v[12:13]
	v_add_f64 v[58:59], v[58:59], v[8:9]
	s_waitcnt lgkmcnt(2)
	v_mul_f64 v[76:77], v[6:7], v[22:23]
	v_mul_f64 v[78:79], v[4:5], v[22:23]
	s_waitcnt lgkmcnt(1)
	v_mul_f64 v[80:81], v[6:7], v[36:37]
	v_mul_f64 v[82:83], v[4:5], v[36:37]
	;; [unrolled: 3-line block ×3, first 2 shown]
	v_mul_f64 v[86:87], v[40:41], v[36:37]
	v_add_f64 v[88:89], v[42:43], v[44:45]
	v_mul_f64 v[36:37], v[38:39], v[36:37]
	ds_read_b128 v[8:11], v33 offset:112
	ds_read_b128 v[12:15], v33 offset:2160
	;; [unrolled: 1-line block ×4, first 2 shown]
	v_add_f64 v[60:61], v[60:61], v[64:65]
	v_add_f64 v[46:47], v[46:47], v[50:51]
	s_waitcnt lgkmcnt(0)
	s_barrier
	v_add_f64 v[50:51], v[68:69], v[62:63]
	v_add_f64 v[64:65], v[70:71], v[66:67]
	;; [unrolled: 1-line block ×3, first 2 shown]
	buffer_gl0_inv
	v_add_f64 v[52:53], v[72:73], v[74:75]
	v_add_f64 v[54:55], v[58:59], v[54:55]
	v_fma_f64 v[58:59], v[4:5], v[20:21], -v[76:77]
	v_fma_f64 v[62:63], v[6:7], v[20:21], v[78:79]
	v_fma_f64 v[4:5], v[4:5], v[34:35], -v[80:81]
	v_fma_f64 v[6:7], v[6:7], v[34:35], v[82:83]
	;; [unrolled: 2-line block ×3, first 2 shown]
	v_fma_f64 v[22:23], v[38:39], v[34:35], -v[86:87]
	v_add_f64 v[38:39], v[56:57], v[88:89]
	v_fma_f64 v[34:35], v[40:41], v[34:35], v[36:37]
	v_mul_f64 v[36:37], v[10:11], v[18:19]
	v_mul_f64 v[40:41], v[8:9], v[18:19]
	;; [unrolled: 1-line block ×8, first 2 shown]
	v_add_f64 v[58:59], v[60:61], v[58:59]
	v_add_f64 v[60:61], v[62:63], v[64:65]
	;; [unrolled: 1-line block ×8, first 2 shown]
	v_fma_f64 v[20:21], v[8:9], v[16:17], -v[36:37]
	v_fma_f64 v[22:23], v[10:11], v[16:17], v[40:41]
	v_fma_f64 v[8:9], v[8:9], v[42:43], -v[56:57]
	v_fma_f64 v[10:11], v[10:11], v[42:43], v[68:69]
	;; [unrolled: 2-line block ×4, first 2 shown]
	v_add_f64 v[20:21], v[58:59], v[20:21]
	v_add_f64 v[22:23], v[22:23], v[60:61]
	;; [unrolled: 1-line block ×8, first 2 shown]
	s_cbranch_vccz .LBB286_15
.LBB286_7:                              ; =>This Inner Loop Header: Depth=1
	v_mov_b32_e32 v4, 0
	v_mov_b32_e32 v6, 0
	;; [unrolled: 1-line block ×4, first 2 shown]
	s_and_saveexec_b32 s7, s0
	s_cbranch_execz .LBB286_11
; %bb.8:                                ;   in Loop: Header=BB286_7 Depth=1
	v_mov_b32_e32 v6, 0
	v_mov_b32_e32 v4, 0
	v_add_nc_u32_e32 v2, s2, v25
	v_mov_b32_e32 v7, 0
	v_mov_b32_e32 v5, 0
	s_mov_b32 s10, exec_lo
	v_cmpx_gt_u64_e64 s[12:13], v[2:3]
	s_cbranch_execz .LBB286_10
; %bb.9:                                ;   in Loop: Header=BB286_7 Depth=1
	v_lshlrev_b64 v[4:5], 4, v[2:3]
	v_add_co_u32 v4, vcc_lo, v27, v4
	v_add_co_ci_u32_e64 v5, null, v28, v5, vcc_lo
	global_load_dwordx4 v[4:7], v[4:5], off
	s_waitcnt vmcnt(0)
	v_xor_b32_e32 v7, 0x80000000, v7
.LBB286_10:                             ;   in Loop: Header=BB286_7 Depth=1
	s_or_b32 exec_lo, exec_lo, s10
.LBB286_11:                             ;   in Loop: Header=BB286_7 Depth=1
	s_or_b32 exec_lo, exec_lo, s7
	v_add_nc_u32_e32 v2, s2, v24
	ds_write_b128 v26, v[4:7]
	v_cmp_le_u64_e32 vcc_lo, s[12:13], v[2:3]
	s_or_b32 s7, vcc_lo, s1
	s_and_saveexec_b32 s10, s7
	s_xor_b32 s7, exec_lo, s10
	s_cbranch_execz .LBB286_13
; %bb.12:                               ;   in Loop: Header=BB286_7 Depth=1
	v_mov_b32_e32 v2, v3
	v_mov_b32_e32 v4, v3
	;; [unrolled: 1-line block ×3, first 2 shown]
	ds_write_b128 v29, v[2:5]
.LBB286_13:                             ;   in Loop: Header=BB286_7 Depth=1
	s_andn2_saveexec_b32 s7, s7
	s_cbranch_execz .LBB286_6
; %bb.14:                               ;   in Loop: Header=BB286_7 Depth=1
	v_mad_u64_u32 v[4:5], null, s26, v2, 0
	v_mad_u64_u32 v[5:6], null, s27, v2, v[5:6]
	v_lshlrev_b64 v[4:5], 4, v[4:5]
	v_add_co_u32 v4, vcc_lo, v30, v4
	v_add_co_ci_u32_e64 v5, null, v31, v5, vcc_lo
	global_load_dwordx4 v[4:7], v[4:5], off
	s_waitcnt vmcnt(0)
	ds_write2_b64 v29, v[4:5], v[6:7] offset1:1
	s_branch .LBB286_6
.LBB286_15:
	v_add_nc_u32_e32 v25, s6, v1
	v_cmp_neq_f64_e64 s2, s[38:39], 0
	s_waitcnt lgkmcnt(0)
	s_mul_i32 s1, s31, s8
	s_mul_hi_u32 s3, s30, s8
	s_mul_i32 s0, s30, s8
	v_ashrrev_i32_e32 v3, 31, v25
	v_mul_lo_u32 v5, s29, v25
	v_mad_u64_u32 v[1:2], null, s28, v25, 0
	s_add_i32 s1, s3, s1
	v_mul_lo_u32 v3, s28, v3
	v_add_nc_u32_e32 v4, s5, v0
	s_lshl_b64 s[6:7], s[0:1], 4
	s_add_u32 s3, s42, s6
	s_addc_u32 s5, s43, s7
	s_xor_b32 s6, s9, -1
	v_cmp_le_i32_e32 vcc_lo, v25, v4
	v_add3_u32 v2, v2, v3, v5
	v_cmp_gt_i32_e64 s0, s4, v4
	v_ashrrev_i32_e32 v5, 31, v4
	s_or_b32 s2, s2, s6
	v_lshlrev_b64 v[0:1], 4, v[1:2]
	v_cndmask_b32_e64 v24, 0, 1, s2
	s_and_b32 s6, vcc_lo, s0
	v_add_co_u32 v26, s1, s3, v0
	v_add_co_ci_u32_e64 v27, null, s5, v1, s1
	s_and_saveexec_b32 s1, s6
	s_cbranch_execz .LBB286_19
; %bb.16:
	v_mul_f64 v[0:1], s[16:17], v[22:23]
	v_mul_f64 v[2:3], s[14:15], v[22:23]
	v_lshlrev_b64 v[6:7], 4, v[4:5]
	v_add_co_u32 v6, vcc_lo, v26, v6
	v_add_co_ci_u32_e64 v7, null, v27, v7, vcc_lo
	s_andn2_b32 vcc_lo, exec_lo, s2
	v_fma_f64 v[0:1], s[14:15], v[20:21], -v[0:1]
	v_fma_f64 v[2:3], s[16:17], v[20:21], v[2:3]
	s_cbranch_vccnz .LBB286_18
; %bb.17:
	global_load_dwordx4 v[20:23], v[6:7], off
	s_waitcnt vmcnt(0)
	v_mul_f64 v[28:29], s[40:41], v[22:23]
	v_mul_f64 v[22:23], s[38:39], v[22:23]
	v_fma_f64 v[28:29], s[38:39], v[20:21], -v[28:29]
	v_fma_f64 v[20:21], s[40:41], v[20:21], v[22:23]
	v_add_f64 v[0:1], v[0:1], v[28:29]
	v_add_f64 v[2:3], v[2:3], v[20:21]
.LBB286_18:
	global_store_dwordx4 v[6:7], v[0:3], off
.LBB286_19:
	s_or_b32 exec_lo, exec_lo, s1
	v_add_nc_u32_e32 v6, 16, v4
	v_cmp_le_i32_e32 vcc_lo, v25, v6
	v_cmp_gt_i32_e64 s1, s4, v6
	v_ashrrev_i32_e32 v7, 31, v6
	s_and_b32 s2, vcc_lo, s1
	s_and_saveexec_b32 s4, s2
	s_cbranch_execz .LBB286_23
; %bb.20:
	v_mul_f64 v[0:1], s[16:17], v[18:19]
	v_mul_f64 v[2:3], s[14:15], v[18:19]
	v_cmp_ne_u32_e32 vcc_lo, 1, v24
	s_and_b32 vcc_lo, exec_lo, vcc_lo
	v_fma_f64 v[0:1], s[14:15], v[16:17], -v[0:1]
	v_fma_f64 v[2:3], s[16:17], v[16:17], v[2:3]
	v_lshlrev_b64 v[16:17], 4, v[6:7]
	v_add_co_u32 v16, s2, v26, v16
	v_add_co_ci_u32_e64 v17, null, v27, v17, s2
	s_cbranch_vccnz .LBB286_22
; %bb.21:
	global_load_dwordx4 v[18:21], v[16:17], off
	s_waitcnt vmcnt(0)
	v_mul_f64 v[22:23], s[40:41], v[20:21]
	v_mul_f64 v[20:21], s[38:39], v[20:21]
	v_fma_f64 v[22:23], s[38:39], v[18:19], -v[22:23]
	v_fma_f64 v[18:19], s[40:41], v[18:19], v[20:21]
	v_add_f64 v[0:1], v[0:1], v[22:23]
	v_add_f64 v[2:3], v[2:3], v[18:19]
.LBB286_22:
	global_store_dwordx4 v[16:17], v[0:3], off
.LBB286_23:
	s_or_b32 exec_lo, exec_lo, s4
	v_add_nc_u32_e32 v18, 16, v25
	v_ashrrev_i32_e32 v2, 31, v18
	v_mul_lo_u32 v3, s29, v18
	v_mad_u64_u32 v[0:1], null, s28, v18, 0
	v_cmp_le_i32_e32 vcc_lo, v18, v4
	v_mul_lo_u32 v2, s28, v2
	s_and_b32 s0, vcc_lo, s0
	v_add3_u32 v1, v1, v2, v3
	v_lshlrev_b64 v[0:1], 4, v[0:1]
	v_add_co_u32 v16, s2, s3, v0
	v_add_co_ci_u32_e64 v17, null, s5, v1, s2
	s_and_saveexec_b32 s2, s0
	s_cbranch_execz .LBB286_27
; %bb.24:
	v_mul_f64 v[0:1], s[16:17], v[12:13]
	v_mul_f64 v[2:3], s[14:15], v[12:13]
	v_lshlrev_b64 v[4:5], 4, v[4:5]
	v_cmp_ne_u32_e32 vcc_lo, 1, v24
	s_and_b32 vcc_lo, exec_lo, vcc_lo
	v_add_co_u32 v4, s0, v16, v4
	v_add_co_ci_u32_e64 v5, null, v17, v5, s0
	v_fma_f64 v[0:1], s[14:15], v[14:15], -v[0:1]
	v_fma_f64 v[2:3], s[16:17], v[14:15], v[2:3]
	s_cbranch_vccnz .LBB286_26
; %bb.25:
	global_load_dwordx4 v[12:15], v[4:5], off
	s_waitcnt vmcnt(0)
	v_mul_f64 v[19:20], s[40:41], v[14:15]
	v_mul_f64 v[14:15], s[38:39], v[14:15]
	v_fma_f64 v[19:20], s[38:39], v[12:13], -v[19:20]
	v_fma_f64 v[12:13], s[40:41], v[12:13], v[14:15]
	v_add_f64 v[0:1], v[0:1], v[19:20]
	v_add_f64 v[2:3], v[2:3], v[12:13]
.LBB286_26:
	global_store_dwordx4 v[4:5], v[0:3], off
.LBB286_27:
	s_or_b32 exec_lo, exec_lo, s2
	v_cmp_le_i32_e32 vcc_lo, v18, v6
	s_and_b32 s0, vcc_lo, s1
	s_and_saveexec_b32 s1, s0
	s_cbranch_execz .LBB286_32
; %bb.28:
	v_mul_f64 v[0:1], s[16:17], v[8:9]
	v_mul_f64 v[2:3], s[14:15], v[8:9]
	v_lshlrev_b64 v[4:5], 4, v[6:7]
	v_cmp_ne_u32_e32 vcc_lo, 1, v24
	s_and_b32 vcc_lo, exec_lo, vcc_lo
	v_add_co_u32 v4, s0, v16, v4
	v_add_co_ci_u32_e64 v5, null, v17, v5, s0
	v_fma_f64 v[0:1], s[14:15], v[10:11], -v[0:1]
	v_fma_f64 v[2:3], s[16:17], v[10:11], v[2:3]
	s_cbranch_vccnz .LBB286_30
; %bb.29:
	global_load_dwordx4 v[6:9], v[4:5], off
	s_waitcnt vmcnt(0)
	v_mul_f64 v[10:11], s[40:41], v[8:9]
	v_mul_f64 v[8:9], s[38:39], v[8:9]
	v_fma_f64 v[10:11], s[38:39], v[6:7], -v[10:11]
	v_fma_f64 v[6:7], s[40:41], v[6:7], v[8:9]
	v_add_f64 v[0:1], v[0:1], v[10:11]
	v_add_f64 v[2:3], v[2:3], v[6:7]
.LBB286_30:
	global_store_dwordx4 v[4:5], v[0:3], off
	s_endpgm
.LBB286_31:
.LBB286_32:
	s_endpgm
	.section	.rodata,"a",@progbits
	.p2align	6, 0x0
	.amdhsa_kernel _ZL29rocblas_internal_gemmt_kernelIlLi16ELi32ELi8ELc67ELc84ELc76ELb1ELb0E19rocblas_complex_numIdES1_PKS1_PS1_EviT_T9_T10_S5_lS7_S5_lS6_T11_S5_li
		.amdhsa_group_segment_fixed_size 8192
		.amdhsa_private_segment_fixed_size 0
		.amdhsa_kernarg_size 124
		.amdhsa_user_sgpr_count 6
		.amdhsa_user_sgpr_private_segment_buffer 1
		.amdhsa_user_sgpr_dispatch_ptr 0
		.amdhsa_user_sgpr_queue_ptr 0
		.amdhsa_user_sgpr_kernarg_segment_ptr 1
		.amdhsa_user_sgpr_dispatch_id 0
		.amdhsa_user_sgpr_flat_scratch_init 0
		.amdhsa_user_sgpr_private_segment_size 0
		.amdhsa_wavefront_size32 1
		.amdhsa_uses_dynamic_stack 0
		.amdhsa_system_sgpr_private_segment_wavefront_offset 0
		.amdhsa_system_sgpr_workgroup_id_x 1
		.amdhsa_system_sgpr_workgroup_id_y 1
		.amdhsa_system_sgpr_workgroup_id_z 1
		.amdhsa_system_sgpr_workgroup_info 0
		.amdhsa_system_vgpr_workitem_id 1
		.amdhsa_next_free_vgpr 126
		.amdhsa_next_free_sgpr 44
		.amdhsa_reserve_vcc 1
		.amdhsa_reserve_flat_scratch 0
		.amdhsa_float_round_mode_32 0
		.amdhsa_float_round_mode_16_64 0
		.amdhsa_float_denorm_mode_32 3
		.amdhsa_float_denorm_mode_16_64 3
		.amdhsa_dx10_clamp 1
		.amdhsa_ieee_mode 1
		.amdhsa_fp16_overflow 0
		.amdhsa_workgroup_processor_mode 1
		.amdhsa_memory_ordered 1
		.amdhsa_forward_progress 1
		.amdhsa_shared_vgpr_count 0
		.amdhsa_exception_fp_ieee_invalid_op 0
		.amdhsa_exception_fp_denorm_src 0
		.amdhsa_exception_fp_ieee_div_zero 0
		.amdhsa_exception_fp_ieee_overflow 0
		.amdhsa_exception_fp_ieee_underflow 0
		.amdhsa_exception_fp_ieee_inexact 0
		.amdhsa_exception_int_div_zero 0
	.end_amdhsa_kernel
	.section	.text._ZL29rocblas_internal_gemmt_kernelIlLi16ELi32ELi8ELc67ELc84ELc76ELb1ELb0E19rocblas_complex_numIdES1_PKS1_PS1_EviT_T9_T10_S5_lS7_S5_lS6_T11_S5_li,"axG",@progbits,_ZL29rocblas_internal_gemmt_kernelIlLi16ELi32ELi8ELc67ELc84ELc76ELb1ELb0E19rocblas_complex_numIdES1_PKS1_PS1_EviT_T9_T10_S5_lS7_S5_lS6_T11_S5_li,comdat
.Lfunc_end286:
	.size	_ZL29rocblas_internal_gemmt_kernelIlLi16ELi32ELi8ELc67ELc84ELc76ELb1ELb0E19rocblas_complex_numIdES1_PKS1_PS1_EviT_T9_T10_S5_lS7_S5_lS6_T11_S5_li, .Lfunc_end286-_ZL29rocblas_internal_gemmt_kernelIlLi16ELi32ELi8ELc67ELc84ELc76ELb1ELb0E19rocblas_complex_numIdES1_PKS1_PS1_EviT_T9_T10_S5_lS7_S5_lS6_T11_S5_li
                                        ; -- End function
	.set _ZL29rocblas_internal_gemmt_kernelIlLi16ELi32ELi8ELc67ELc84ELc76ELb1ELb0E19rocblas_complex_numIdES1_PKS1_PS1_EviT_T9_T10_S5_lS7_S5_lS6_T11_S5_li.num_vgpr, 126
	.set _ZL29rocblas_internal_gemmt_kernelIlLi16ELi32ELi8ELc67ELc84ELc76ELb1ELb0E19rocblas_complex_numIdES1_PKS1_PS1_EviT_T9_T10_S5_lS7_S5_lS6_T11_S5_li.num_agpr, 0
	.set _ZL29rocblas_internal_gemmt_kernelIlLi16ELi32ELi8ELc67ELc84ELc76ELb1ELb0E19rocblas_complex_numIdES1_PKS1_PS1_EviT_T9_T10_S5_lS7_S5_lS6_T11_S5_li.numbered_sgpr, 44
	.set _ZL29rocblas_internal_gemmt_kernelIlLi16ELi32ELi8ELc67ELc84ELc76ELb1ELb0E19rocblas_complex_numIdES1_PKS1_PS1_EviT_T9_T10_S5_lS7_S5_lS6_T11_S5_li.num_named_barrier, 0
	.set _ZL29rocblas_internal_gemmt_kernelIlLi16ELi32ELi8ELc67ELc84ELc76ELb1ELb0E19rocblas_complex_numIdES1_PKS1_PS1_EviT_T9_T10_S5_lS7_S5_lS6_T11_S5_li.private_seg_size, 0
	.set _ZL29rocblas_internal_gemmt_kernelIlLi16ELi32ELi8ELc67ELc84ELc76ELb1ELb0E19rocblas_complex_numIdES1_PKS1_PS1_EviT_T9_T10_S5_lS7_S5_lS6_T11_S5_li.uses_vcc, 1
	.set _ZL29rocblas_internal_gemmt_kernelIlLi16ELi32ELi8ELc67ELc84ELc76ELb1ELb0E19rocblas_complex_numIdES1_PKS1_PS1_EviT_T9_T10_S5_lS7_S5_lS6_T11_S5_li.uses_flat_scratch, 0
	.set _ZL29rocblas_internal_gemmt_kernelIlLi16ELi32ELi8ELc67ELc84ELc76ELb1ELb0E19rocblas_complex_numIdES1_PKS1_PS1_EviT_T9_T10_S5_lS7_S5_lS6_T11_S5_li.has_dyn_sized_stack, 0
	.set _ZL29rocblas_internal_gemmt_kernelIlLi16ELi32ELi8ELc67ELc84ELc76ELb1ELb0E19rocblas_complex_numIdES1_PKS1_PS1_EviT_T9_T10_S5_lS7_S5_lS6_T11_S5_li.has_recursion, 0
	.set _ZL29rocblas_internal_gemmt_kernelIlLi16ELi32ELi8ELc67ELc84ELc76ELb1ELb0E19rocblas_complex_numIdES1_PKS1_PS1_EviT_T9_T10_S5_lS7_S5_lS6_T11_S5_li.has_indirect_call, 0
	.section	.AMDGPU.csdata,"",@progbits
; Kernel info:
; codeLenInByte = 3536
; TotalNumSgprs: 46
; NumVgprs: 126
; ScratchSize: 0
; MemoryBound: 1
; FloatMode: 240
; IeeeMode: 1
; LDSByteSize: 8192 bytes/workgroup (compile time only)
; SGPRBlocks: 0
; VGPRBlocks: 15
; NumSGPRsForWavesPerEU: 46
; NumVGPRsForWavesPerEU: 126
; Occupancy: 8
; WaveLimiterHint : 0
; COMPUTE_PGM_RSRC2:SCRATCH_EN: 0
; COMPUTE_PGM_RSRC2:USER_SGPR: 6
; COMPUTE_PGM_RSRC2:TRAP_HANDLER: 0
; COMPUTE_PGM_RSRC2:TGID_X_EN: 1
; COMPUTE_PGM_RSRC2:TGID_Y_EN: 1
; COMPUTE_PGM_RSRC2:TGID_Z_EN: 1
; COMPUTE_PGM_RSRC2:TIDIG_COMP_CNT: 1
	.section	.text._ZL29rocblas_internal_gemmt_kernelIlLi16ELi32ELi8ELc67ELc67ELc76ELb1ELb1E19rocblas_complex_numIdES1_PKS1_PS1_EviT_T9_T10_S5_lS7_S5_lS6_T11_S5_li,"axG",@progbits,_ZL29rocblas_internal_gemmt_kernelIlLi16ELi32ELi8ELc67ELc67ELc76ELb1ELb1E19rocblas_complex_numIdES1_PKS1_PS1_EviT_T9_T10_S5_lS7_S5_lS6_T11_S5_li,comdat
	.globl	_ZL29rocblas_internal_gemmt_kernelIlLi16ELi32ELi8ELc67ELc67ELc76ELb1ELb1E19rocblas_complex_numIdES1_PKS1_PS1_EviT_T9_T10_S5_lS7_S5_lS6_T11_S5_li ; -- Begin function _ZL29rocblas_internal_gemmt_kernelIlLi16ELi32ELi8ELc67ELc67ELc76ELb1ELb1E19rocblas_complex_numIdES1_PKS1_PS1_EviT_T9_T10_S5_lS7_S5_lS6_T11_S5_li
	.p2align	8
	.type	_ZL29rocblas_internal_gemmt_kernelIlLi16ELi32ELi8ELc67ELc67ELc76ELb1ELb1E19rocblas_complex_numIdES1_PKS1_PS1_EviT_T9_T10_S5_lS7_S5_lS6_T11_S5_li,@function
_ZL29rocblas_internal_gemmt_kernelIlLi16ELi32ELi8ELc67ELc67ELc76ELb1ELb1E19rocblas_complex_numIdES1_PKS1_PS1_EviT_T9_T10_S5_lS7_S5_lS6_T11_S5_li: ; @_ZL29rocblas_internal_gemmt_kernelIlLi16ELi32ELi8ELc67ELc67ELc76ELb1ELb1E19rocblas_complex_numIdES1_PKS1_PS1_EviT_T9_T10_S5_lS7_S5_lS6_T11_S5_li
; %bb.0:
	s_clause 0x1
	s_load_dwordx8 s[36:43], s[4:5], 0x48
	s_load_dwordx16 s[12:27], s[4:5], 0x8
	s_waitcnt lgkmcnt(0)
	v_cmp_eq_f64_e64 s0, s[38:39], 1.0
	v_cmp_eq_f64_e64 s9, s[40:41], 0
	s_and_b32 s0, s0, s9
	s_andn2_b32 vcc_lo, exec_lo, s0
	s_mov_b32 s0, -1
	s_cbranch_vccnz .LBB287_3
; %bb.1:
	s_cmp_lg_u64 s[12:13], 0
	s_cbranch_scc0 .LBB287_29
; %bb.2:
	v_cmp_neq_f64_e64 s0, s[14:15], 0
	v_cmp_neq_f64_e64 s1, s[16:17], 0
	s_or_b32 s0, s0, s1
.LBB287_3:
	s_and_b32 vcc_lo, exec_lo, s0
	s_cbranch_vccz .LBB287_30
; %bb.4:
	v_cmp_eq_f64_e64 s0, s[14:15], 0
	v_cmp_eq_f64_e64 s1, s[16:17], 0
	s_clause 0x1
	s_load_dwordx4 s[28:31], s[4:5], 0x68
	s_load_dword s4, s[4:5], 0x0
	v_cmp_lt_i64_e64 s2, s[12:13], 1
	v_mov_b32_e32 v24, 0
	v_mov_b32_e32 v26, 0
	;; [unrolled: 1-line block ×16, first 2 shown]
	s_lshl_b32 s5, s6, 5
	s_lshl_b32 s6, s7, 5
	s_and_b32 s0, s0, s1
	s_or_b32 s0, s0, s2
	s_and_b32 vcc_lo, exec_lo, s0
	s_cbranch_vccnz .LBB287_13
; %bb.5:
	v_lshl_add_u32 v5, v1, 4, v0
	s_mul_i32 s1, s37, s8
	s_mul_hi_u32 s2, s36, s8
	s_mul_i32 s0, s36, s8
	s_add_i32 s1, s2, s1
	v_and_b32_e32 v6, 31, v5
	s_lshl_b64 s[0:1], s[0:1], 4
	s_mul_i32 s2, s23, s8
	s_add_u32 s3, s24, s0
	s_addc_u32 s7, s25, s1
	v_or_b32_e32 v7, s5, v6
	s_mul_hi_u32 s1, s22, s8
	s_mul_i32 s0, s22, s8
	s_add_i32 s1, s1, s2
	v_lshrrev_b32_e32 v9, 3, v5
	v_mul_lo_u32 v8, s21, v7
	v_mad_u64_u32 v[2:3], null, s20, v7, 0
	s_lshl_b64 s[0:1], s[0:1], 4
	v_add_nc_u32_e32 v4, s6, v9
	s_add_u32 s2, s18, s0
	s_addc_u32 s1, s19, s1
	s_ashr_i32 s0, s5, 31
	v_and_b32_e32 v28, 7, v0
	s_mul_i32 s0, s20, s0
	v_lshrrev_b32_e32 v29, 5, v5
	v_add3_u32 v3, v3, s0, v8
	v_lshlrev_b32_e32 v6, 4, v6
	v_ashrrev_i32_e32 v5, 31, v4
	v_lshlrev_b32_e32 v8, 4, v28
	s_waitcnt lgkmcnt(0)
	v_cmp_gt_i32_e64 s0, s4, v7
	v_lshlrev_b64 v[2:3], 4, v[2:3]
	v_lshl_or_b32 v30, v29, 9, v6
	v_lshlrev_b64 v[5:6], 4, v[4:5]
	v_lshl_or_b32 v7, v9, 7, v8
	v_mov_b32_e32 v12, 0
	v_mov_b32_e32 v14, 0
	v_add_co_u32 v31, vcc_lo, s2, v2
	v_add_co_ci_u32_e64 v32, null, s1, v3, vcc_lo
	v_add_co_u32 v34, vcc_lo, s3, v5
	v_mov_b32_e32 v18, 0
	v_mov_b32_e32 v16, 0
	;; [unrolled: 1-line block ×6, first 2 shown]
	v_cmp_gt_i32_e64 s1, s4, v4
	v_add_nc_u32_e32 v33, 0x1000, v7
	v_add_co_ci_u32_e64 v35, null, s7, v6, vcc_lo
	v_lshlrev_b32_e32 v36, 4, v0
	v_lshl_add_u32 v37, v1, 7, 0x1000
	v_mov_b32_e32 v13, 0
	v_mov_b32_e32 v15, 0
	;; [unrolled: 1-line block ×9, first 2 shown]
	s_mov_b64 s[2:3], 0
	s_branch .LBB287_7
.LBB287_6:                              ;   in Loop: Header=BB287_7 Depth=1
	s_or_b32 exec_lo, exec_lo, s7
	ds_write_b128 v33, v[6:9]
	s_waitcnt lgkmcnt(0)
	s_barrier
	buffer_gl0_inv
	ds_read_b128 v[2:5], v37
	ds_read_b128 v[6:9], v36
	ds_read_b128 v[38:41], v36 offset:256
	ds_read_b128 v[42:45], v37 offset:2048
	;; [unrolled: 1-line block ×11, first 2 shown]
	s_add_u32 s2, s2, 8
	s_addc_u32 s3, s3, 0
	v_cmp_gt_i64_e64 s7, s[12:13], s[2:3]
	s_waitcnt lgkmcnt(11)
	v_mul_f64 v[82:83], v[4:5], v[8:9]
	v_mul_f64 v[84:85], v[2:3], v[8:9]
	s_waitcnt lgkmcnt(10)
	v_mul_f64 v[86:87], v[4:5], v[40:41]
	v_mul_f64 v[88:89], v[2:3], v[40:41]
	s_waitcnt lgkmcnt(9)
	v_mul_f64 v[90:91], v[44:45], v[8:9]
	v_mul_f64 v[8:9], v[42:43], v[8:9]
	v_mul_f64 v[92:93], v[44:45], v[40:41]
	v_mul_f64 v[40:41], v[42:43], v[40:41]
	s_waitcnt lgkmcnt(7)
	v_mul_f64 v[94:95], v[48:49], v[52:53]
	v_mul_f64 v[96:97], v[46:47], v[52:53]
	s_waitcnt lgkmcnt(6)
	v_mul_f64 v[98:99], v[48:49], v[56:57]
	s_waitcnt lgkmcnt(5)
	v_mul_f64 v[102:103], v[60:61], v[52:53]
	v_mul_f64 v[52:53], v[58:59], v[52:53]
	;; [unrolled: 1-line block ×5, first 2 shown]
	s_waitcnt lgkmcnt(3)
	v_mul_f64 v[106:107], v[68:69], v[64:65]
	v_mul_f64 v[108:109], v[66:67], v[64:65]
	s_and_b32 vcc_lo, exec_lo, s7
	v_fma_f64 v[82:83], v[2:3], v[6:7], -v[82:83]
	v_fma_f64 v[84:85], v[4:5], v[6:7], v[84:85]
	v_fma_f64 v[86:87], v[2:3], v[38:39], -v[86:87]
	v_fma_f64 v[88:89], v[4:5], v[38:39], v[88:89]
	;; [unrolled: 2-line block ×3, first 2 shown]
	v_fma_f64 v[92:93], v[42:43], v[38:39], -v[92:93]
	ds_read_b128 v[2:5], v36 offset:1536
	s_waitcnt lgkmcnt(3)
	v_mul_f64 v[110:111], v[68:69], v[72:73]
	v_mul_f64 v[112:113], v[66:67], v[72:73]
	v_fma_f64 v[116:117], v[44:45], v[38:39], v[40:41]
	v_fma_f64 v[94:95], v[46:47], v[50:51], -v[94:95]
	v_fma_f64 v[96:97], v[48:49], v[50:51], v[96:97]
	v_fma_f64 v[46:47], v[46:47], v[54:55], -v[98:99]
	s_waitcnt lgkmcnt(2)
	v_mul_f64 v[42:43], v[76:77], v[64:65]
	v_fma_f64 v[98:99], v[58:59], v[50:51], -v[102:103]
	v_fma_f64 v[50:51], v[60:61], v[50:51], v[52:53]
	v_mul_f64 v[44:45], v[74:75], v[64:65]
	v_mul_f64 v[52:53], v[76:77], v[72:73]
	;; [unrolled: 1-line block ×3, first 2 shown]
	v_fma_f64 v[48:49], v[48:49], v[54:55], v[100:101]
	v_fma_f64 v[58:59], v[58:59], v[54:55], -v[104:105]
	v_fma_f64 v[54:55], v[60:61], v[54:55], v[56:57]
	v_fma_f64 v[56:57], v[66:67], v[62:63], -v[106:107]
	v_fma_f64 v[60:61], v[68:69], v[62:63], v[108:109]
	v_add_f64 v[82:83], v[24:25], v[82:83]
	v_add_f64 v[84:85], v[84:85], v[26:27]
	;; [unrolled: 1-line block ×5, first 2 shown]
	v_fma_f64 v[66:67], v[66:67], v[70:71], -v[110:111]
	v_fma_f64 v[68:69], v[68:69], v[70:71], v[112:113]
	v_add_f64 v[104:105], v[114:115], v[18:19]
	ds_read_b128 v[6:9], v36 offset:1792
	ds_read_b128 v[38:41], v37 offset:2096
	s_waitcnt lgkmcnt(2)
	v_mul_f64 v[72:73], v[80:81], v[4:5]
	v_mul_f64 v[100:101], v[78:79], v[4:5]
	v_fma_f64 v[108:109], v[74:75], v[62:63], -v[42:43]
	ds_read_b128 v[16:19], v37 offset:64
	v_fma_f64 v[62:63], v[76:77], v[62:63], v[44:45]
	v_fma_f64 v[74:75], v[74:75], v[70:71], -v[52:53]
	v_fma_f64 v[64:65], v[76:77], v[70:71], v[64:65]
	v_add_f64 v[52:53], v[14:15], v[92:93]
	v_add_f64 v[70:71], v[116:117], v[12:13]
	ds_read_b128 v[20:23], v36 offset:2048
	ds_read_b128 v[24:27], v36 offset:2304
	;; [unrolled: 1-line block ×4, first 2 shown]
	v_add_f64 v[82:83], v[82:83], v[94:95]
	v_add_f64 v[84:85], v[96:97], v[84:85]
	;; [unrolled: 1-line block ×5, first 2 shown]
	s_waitcnt lgkmcnt(6)
	v_mul_f64 v[102:103], v[80:81], v[8:9]
	v_mul_f64 v[106:107], v[78:79], v[8:9]
	s_waitcnt lgkmcnt(5)
	v_mul_f64 v[110:111], v[40:41], v[4:5]
	v_mul_f64 v[4:5], v[38:39], v[4:5]
	v_add_f64 v[50:51], v[50:51], v[104:105]
	v_mul_f64 v[92:93], v[40:41], v[8:9]
	v_mul_f64 v[8:9], v[38:39], v[8:9]
	v_fma_f64 v[72:73], v[78:79], v[2:3], -v[72:73]
	v_fma_f64 v[76:77], v[80:81], v[2:3], v[100:101]
	ds_read_b128 v[46:49], v37 offset:2128
	s_waitcnt lgkmcnt(4)
	v_mul_f64 v[98:99], v[18:19], v[22:23]
	v_mul_f64 v[100:101], v[16:17], v[22:23]
	v_add_f64 v[58:59], v[52:53], v[58:59]
	v_add_f64 v[54:55], v[54:55], v[70:71]
	s_waitcnt lgkmcnt(3)
	v_mul_f64 v[104:105], v[16:17], v[26:27]
	s_waitcnt lgkmcnt(2)
	v_mul_f64 v[70:71], v[44:45], v[22:23]
	v_mul_f64 v[22:23], v[42:43], v[22:23]
	v_add_f64 v[56:57], v[82:83], v[56:57]
	v_add_f64 v[60:61], v[60:61], v[84:85]
	;; [unrolled: 1-line block ×5, first 2 shown]
	v_fma_f64 v[78:79], v[78:79], v[6:7], -v[102:103]
	v_fma_f64 v[80:81], v[80:81], v[6:7], v[106:107]
	v_fma_f64 v[94:95], v[38:39], v[2:3], -v[110:111]
	v_fma_f64 v[96:97], v[40:41], v[2:3], v[4:5]
	v_mul_f64 v[102:103], v[18:19], v[26:27]
	v_add_f64 v[62:63], v[62:63], v[50:51]
	v_mul_f64 v[84:85], v[44:45], v[26:27]
	v_mul_f64 v[26:27], v[42:43], v[26:27]
	v_fma_f64 v[38:39], v[38:39], v[6:7], -v[92:93]
	v_fma_f64 v[40:41], v[40:41], v[6:7], v[8:9]
	ds_read_b128 v[2:5], v37 offset:80
	ds_read_b128 v[50:53], v36 offset:2816
	v_add_f64 v[58:59], v[58:59], v[74:75]
	v_add_f64 v[54:55], v[64:65], v[54:55]
	v_fma_f64 v[88:89], v[16:17], v[20:21], -v[98:99]
	v_fma_f64 v[90:91], v[18:19], v[20:21], v[100:101]
	v_fma_f64 v[98:99], v[18:19], v[24:25], v[104:105]
	v_fma_f64 v[64:65], v[42:43], v[20:21], -v[70:71]
	v_add_f64 v[56:57], v[56:57], v[72:73]
	v_add_f64 v[60:61], v[76:77], v[60:61]
	v_fma_f64 v[70:71], v[44:45], v[20:21], v[22:23]
	v_add_f64 v[66:67], v[66:67], v[78:79]
	v_add_f64 v[68:69], v[80:81], v[68:69]
	v_add_f64 v[72:73], v[82:83], v[94:95]
	s_waitcnt lgkmcnt(2)
	v_mul_f64 v[80:81], v[48:49], v[14:15]
	v_fma_f64 v[92:93], v[16:17], v[24:25], -v[102:103]
	v_add_f64 v[62:63], v[96:97], v[62:63]
	v_fma_f64 v[42:43], v[42:43], v[24:25], -v[84:85]
	v_fma_f64 v[44:45], v[44:45], v[24:25], v[26:27]
	s_waitcnt lgkmcnt(1)
	v_mul_f64 v[86:87], v[4:5], v[14:15]
	v_mul_f64 v[74:75], v[2:3], v[14:15]
	s_waitcnt lgkmcnt(0)
	v_mul_f64 v[76:77], v[4:5], v[52:53]
	v_mul_f64 v[78:79], v[2:3], v[52:53]
	;; [unrolled: 1-line block ×5, first 2 shown]
	v_add_f64 v[38:39], v[58:59], v[38:39]
	v_add_f64 v[40:41], v[40:41], v[54:55]
	ds_read_b128 v[6:9], v37 offset:96
	ds_read_b128 v[16:19], v36 offset:3072
	;; [unrolled: 1-line block ×4, first 2 shown]
	v_add_f64 v[54:55], v[56:57], v[88:89]
	v_add_f64 v[56:57], v[90:91], v[60:61]
	;; [unrolled: 1-line block ×3, first 2 shown]
	v_fma_f64 v[80:81], v[46:47], v[12:13], -v[80:81]
	v_add_f64 v[60:61], v[66:67], v[92:93]
	v_add_f64 v[66:67], v[98:99], v[68:69]
	;; [unrolled: 1-line block ×3, first 2 shown]
	v_fma_f64 v[58:59], v[2:3], v[12:13], -v[86:87]
	v_fma_f64 v[68:69], v[4:5], v[12:13], v[74:75]
	v_fma_f64 v[70:71], v[2:3], v[50:51], -v[76:77]
	v_fma_f64 v[72:73], v[4:5], v[50:51], v[78:79]
	ds_read_b128 v[2:5], v37 offset:112
	v_fma_f64 v[86:87], v[48:49], v[12:13], v[14:15]
	s_waitcnt lgkmcnt(3)
	v_mul_f64 v[74:75], v[8:9], v[18:19]
	v_mul_f64 v[76:77], v[6:7], v[18:19]
	s_waitcnt lgkmcnt(2)
	v_mul_f64 v[78:79], v[8:9], v[22:23]
	v_mul_f64 v[84:85], v[6:7], v[22:23]
	v_fma_f64 v[46:47], v[46:47], v[50:51], -v[82:83]
	v_fma_f64 v[48:49], v[48:49], v[50:51], v[52:53]
	v_add_f64 v[50:51], v[38:39], v[42:43]
	v_add_f64 v[52:53], v[44:45], v[40:41]
	s_waitcnt lgkmcnt(1)
	v_mul_f64 v[82:83], v[26:27], v[18:19]
	v_mul_f64 v[18:19], v[24:25], v[18:19]
	;; [unrolled: 1-line block ×4, first 2 shown]
	ds_read_b128 v[12:15], v37 offset:2160
	ds_read_b128 v[38:41], v36 offset:3584
	ds_read_b128 v[42:45], v36 offset:3840
	v_add_f64 v[64:65], v[64:65], v[80:81]
	s_waitcnt lgkmcnt(0)
	v_add_f64 v[54:55], v[54:55], v[58:59]
	v_add_f64 v[56:57], v[68:69], v[56:57]
	;; [unrolled: 1-line block ×4, first 2 shown]
	s_barrier
	v_add_f64 v[62:63], v[86:87], v[62:63]
	v_fma_f64 v[58:59], v[6:7], v[16:17], -v[74:75]
	v_fma_f64 v[68:69], v[8:9], v[16:17], v[76:77]
	v_fma_f64 v[6:7], v[6:7], v[20:21], -v[78:79]
	v_fma_f64 v[8:9], v[8:9], v[20:21], v[84:85]
	buffer_gl0_inv
	v_add_f64 v[46:47], v[50:51], v[46:47]
	v_add_f64 v[48:49], v[48:49], v[52:53]
	v_fma_f64 v[50:51], v[24:25], v[16:17], -v[82:83]
	v_fma_f64 v[16:17], v[26:27], v[16:17], v[18:19]
	v_fma_f64 v[18:19], v[24:25], v[20:21], -v[88:89]
	v_fma_f64 v[20:21], v[26:27], v[20:21], v[22:23]
	v_mul_f64 v[22:23], v[4:5], v[40:41]
	v_mul_f64 v[24:25], v[2:3], v[40:41]
	;; [unrolled: 1-line block ×8, first 2 shown]
	v_add_f64 v[54:55], v[54:55], v[58:59]
	v_add_f64 v[56:57], v[68:69], v[56:57]
	;; [unrolled: 1-line block ×8, first 2 shown]
	v_fma_f64 v[16:17], v[2:3], v[38:39], -v[22:23]
	v_fma_f64 v[18:19], v[4:5], v[38:39], v[24:25]
	v_fma_f64 v[2:3], v[2:3], v[42:43], -v[26:27]
	v_fma_f64 v[4:5], v[4:5], v[42:43], v[52:53]
	;; [unrolled: 2-line block ×4, first 2 shown]
	v_add_f64 v[24:25], v[54:55], v[16:17]
	v_add_f64 v[26:27], v[18:19], v[56:57]
	;; [unrolled: 1-line block ×8, first 2 shown]
	s_cbranch_vccz .LBB287_13
.LBB287_7:                              ; =>This Inner Loop Header: Depth=1
	v_mov_b32_e32 v2, 0
	v_mov_b32_e32 v4, 0
	;; [unrolled: 1-line block ×4, first 2 shown]
	s_and_saveexec_b32 s7, s0
	s_cbranch_execz .LBB287_11
; %bb.8:                                ;   in Loop: Header=BB287_7 Depth=1
	v_mov_b32_e32 v4, 0
	v_mov_b32_e32 v2, 0
	v_add_nc_u32_e32 v10, s2, v29
	v_mov_b32_e32 v5, 0
	v_mov_b32_e32 v3, 0
	s_mov_b32 s10, exec_lo
	v_cmpx_gt_u64_e64 s[12:13], v[10:11]
	s_cbranch_execz .LBB287_10
; %bb.9:                                ;   in Loop: Header=BB287_7 Depth=1
	v_lshlrev_b64 v[2:3], 4, v[10:11]
	v_add_co_u32 v2, vcc_lo, v31, v2
	v_add_co_ci_u32_e64 v3, null, v32, v3, vcc_lo
	global_load_dwordx4 v[2:5], v[2:3], off
	s_waitcnt vmcnt(0)
	v_xor_b32_e32 v5, 0x80000000, v5
.LBB287_10:                             ;   in Loop: Header=BB287_7 Depth=1
	s_or_b32 exec_lo, exec_lo, s10
.LBB287_11:                             ;   in Loop: Header=BB287_7 Depth=1
	s_or_b32 exec_lo, exec_lo, s7
	v_add_nc_u32_e32 v10, s2, v28
	v_mov_b32_e32 v6, 0
	v_mov_b32_e32 v8, 0
	;; [unrolled: 1-line block ×4, first 2 shown]
	v_cmp_gt_u64_e32 vcc_lo, s[12:13], v[10:11]
	ds_write_b128 v30, v[2:5]
	s_and_b32 s10, vcc_lo, s1
	s_and_saveexec_b32 s7, s10
	s_cbranch_execz .LBB287_6
; %bb.12:                               ;   in Loop: Header=BB287_7 Depth=1
	v_mad_u64_u32 v[2:3], null, s26, v10, 0
	v_mad_u64_u32 v[3:4], null, s27, v10, v[3:4]
	v_lshlrev_b64 v[2:3], 4, v[2:3]
	v_add_co_u32 v2, vcc_lo, v34, v2
	v_add_co_ci_u32_e64 v3, null, v35, v3, vcc_lo
	global_load_dwordx4 v[6:9], v[2:3], off
	s_waitcnt vmcnt(0)
	v_xor_b32_e32 v9, 0x80000000, v9
	s_branch .LBB287_6
.LBB287_13:
	v_add_nc_u32_e32 v11, s6, v1
	v_cmp_neq_f64_e64 s2, s[38:39], 0
	s_waitcnt lgkmcnt(0)
	s_mul_i32 s1, s31, s8
	s_mul_hi_u32 s3, s30, s8
	s_mul_i32 s0, s30, s8
	v_ashrrev_i32_e32 v3, 31, v11
	v_mul_lo_u32 v5, s29, v11
	v_mad_u64_u32 v[1:2], null, s28, v11, 0
	s_add_i32 s1, s3, s1
	v_mul_lo_u32 v3, s28, v3
	v_add_nc_u32_e32 v4, s5, v0
	s_lshl_b64 s[6:7], s[0:1], 4
	s_add_u32 s3, s42, s6
	s_addc_u32 s5, s43, s7
	s_xor_b32 s6, s9, -1
	v_cmp_le_i32_e32 vcc_lo, v11, v4
	v_add3_u32 v2, v2, v3, v5
	v_cmp_gt_i32_e64 s0, s4, v4
	v_ashrrev_i32_e32 v5, 31, v4
	s_or_b32 s2, s2, s6
	v_lshlrev_b64 v[0:1], 4, v[1:2]
	v_cndmask_b32_e64 v10, 0, 1, s2
	s_and_b32 s6, vcc_lo, s0
	v_add_co_u32 v8, s1, s3, v0
	v_add_co_ci_u32_e64 v9, null, s5, v1, s1
	s_and_saveexec_b32 s1, s6
	s_cbranch_execz .LBB287_17
; %bb.14:
	v_mul_f64 v[0:1], s[16:17], v[26:27]
	v_mul_f64 v[2:3], s[14:15], v[26:27]
	v_lshlrev_b64 v[6:7], 4, v[4:5]
	v_add_co_u32 v6, vcc_lo, v8, v6
	v_add_co_ci_u32_e64 v7, null, v9, v7, vcc_lo
	s_andn2_b32 vcc_lo, exec_lo, s2
	v_fma_f64 v[0:1], s[14:15], v[24:25], -v[0:1]
	v_fma_f64 v[2:3], s[16:17], v[24:25], v[2:3]
	s_cbranch_vccnz .LBB287_16
; %bb.15:
	global_load_dwordx4 v[24:27], v[6:7], off
	s_waitcnt vmcnt(0)
	v_mul_f64 v[28:29], s[40:41], v[26:27]
	v_mul_f64 v[26:27], s[38:39], v[26:27]
	v_fma_f64 v[28:29], s[38:39], v[24:25], -v[28:29]
	v_fma_f64 v[24:25], s[40:41], v[24:25], v[26:27]
	v_add_f64 v[0:1], v[0:1], v[28:29]
	v_add_f64 v[2:3], v[2:3], v[24:25]
.LBB287_16:
	global_store_dwordx4 v[6:7], v[0:3], off
.LBB287_17:
	s_or_b32 exec_lo, exec_lo, s1
	v_add_nc_u32_e32 v6, 16, v4
	v_cmp_le_i32_e32 vcc_lo, v11, v6
	v_cmp_gt_i32_e64 s1, s4, v6
	v_ashrrev_i32_e32 v7, 31, v6
	s_and_b32 s2, vcc_lo, s1
	s_and_saveexec_b32 s4, s2
	s_cbranch_execz .LBB287_21
; %bb.18:
	v_mul_f64 v[0:1], s[16:17], v[22:23]
	v_mul_f64 v[2:3], s[14:15], v[22:23]
	v_cmp_ne_u32_e32 vcc_lo, 1, v10
	s_and_b32 vcc_lo, exec_lo, vcc_lo
	v_fma_f64 v[0:1], s[14:15], v[20:21], -v[0:1]
	v_fma_f64 v[2:3], s[16:17], v[20:21], v[2:3]
	v_lshlrev_b64 v[20:21], 4, v[6:7]
	v_add_co_u32 v8, s2, v8, v20
	v_add_co_ci_u32_e64 v9, null, v9, v21, s2
	s_cbranch_vccnz .LBB287_20
; %bb.19:
	global_load_dwordx4 v[20:23], v[8:9], off
	s_waitcnt vmcnt(0)
	v_mul_f64 v[24:25], s[40:41], v[22:23]
	v_mul_f64 v[22:23], s[38:39], v[22:23]
	v_fma_f64 v[24:25], s[38:39], v[20:21], -v[24:25]
	v_fma_f64 v[20:21], s[40:41], v[20:21], v[22:23]
	v_add_f64 v[0:1], v[0:1], v[24:25]
	v_add_f64 v[2:3], v[2:3], v[20:21]
.LBB287_20:
	global_store_dwordx4 v[8:9], v[0:3], off
.LBB287_21:
	s_or_b32 exec_lo, exec_lo, s4
	v_add_nc_u32_e32 v11, 16, v11
	v_ashrrev_i32_e32 v2, 31, v11
	v_mul_lo_u32 v3, s29, v11
	v_mad_u64_u32 v[0:1], null, s28, v11, 0
	v_cmp_le_i32_e32 vcc_lo, v11, v4
	v_mul_lo_u32 v2, s28, v2
	s_and_b32 s0, vcc_lo, s0
	v_add3_u32 v1, v1, v2, v3
	v_lshlrev_b64 v[0:1], 4, v[0:1]
	v_add_co_u32 v8, s2, s3, v0
	v_add_co_ci_u32_e64 v9, null, s5, v1, s2
	s_and_saveexec_b32 s2, s0
	s_cbranch_execz .LBB287_25
; %bb.22:
	v_mul_f64 v[0:1], s[16:17], v[18:19]
	v_mul_f64 v[2:3], s[14:15], v[18:19]
	v_lshlrev_b64 v[4:5], 4, v[4:5]
	v_cmp_ne_u32_e32 vcc_lo, 1, v10
	s_and_b32 vcc_lo, exec_lo, vcc_lo
	v_add_co_u32 v4, s0, v8, v4
	v_add_co_ci_u32_e64 v5, null, v9, v5, s0
	v_fma_f64 v[0:1], s[14:15], v[16:17], -v[0:1]
	v_fma_f64 v[2:3], s[16:17], v[16:17], v[2:3]
	s_cbranch_vccnz .LBB287_24
; %bb.23:
	global_load_dwordx4 v[16:19], v[4:5], off
	s_waitcnt vmcnt(0)
	v_mul_f64 v[20:21], s[40:41], v[18:19]
	v_mul_f64 v[18:19], s[38:39], v[18:19]
	v_fma_f64 v[20:21], s[38:39], v[16:17], -v[20:21]
	v_fma_f64 v[16:17], s[40:41], v[16:17], v[18:19]
	v_add_f64 v[0:1], v[0:1], v[20:21]
	v_add_f64 v[2:3], v[2:3], v[16:17]
.LBB287_24:
	global_store_dwordx4 v[4:5], v[0:3], off
.LBB287_25:
	s_or_b32 exec_lo, exec_lo, s2
	v_cmp_le_i32_e32 vcc_lo, v11, v6
	s_and_b32 s0, vcc_lo, s1
	s_and_saveexec_b32 s1, s0
	s_cbranch_execz .LBB287_30
; %bb.26:
	v_mul_f64 v[0:1], s[16:17], v[12:13]
	v_mul_f64 v[2:3], s[14:15], v[12:13]
	v_lshlrev_b64 v[4:5], 4, v[6:7]
	v_cmp_ne_u32_e32 vcc_lo, 1, v10
	s_and_b32 vcc_lo, exec_lo, vcc_lo
	v_add_co_u32 v4, s0, v8, v4
	v_add_co_ci_u32_e64 v5, null, v9, v5, s0
	v_fma_f64 v[0:1], s[14:15], v[14:15], -v[0:1]
	v_fma_f64 v[2:3], s[16:17], v[14:15], v[2:3]
	s_cbranch_vccnz .LBB287_28
; %bb.27:
	global_load_dwordx4 v[6:9], v[4:5], off
	s_waitcnt vmcnt(0)
	v_mul_f64 v[10:11], s[40:41], v[8:9]
	v_mul_f64 v[8:9], s[38:39], v[8:9]
	v_fma_f64 v[10:11], s[38:39], v[6:7], -v[10:11]
	v_fma_f64 v[6:7], s[40:41], v[6:7], v[8:9]
	v_add_f64 v[0:1], v[0:1], v[10:11]
	v_add_f64 v[2:3], v[2:3], v[6:7]
.LBB287_28:
	global_store_dwordx4 v[4:5], v[0:3], off
	s_endpgm
.LBB287_29:
.LBB287_30:
	s_endpgm
	.section	.rodata,"a",@progbits
	.p2align	6, 0x0
	.amdhsa_kernel _ZL29rocblas_internal_gemmt_kernelIlLi16ELi32ELi8ELc67ELc67ELc76ELb1ELb1E19rocblas_complex_numIdES1_PKS1_PS1_EviT_T9_T10_S5_lS7_S5_lS6_T11_S5_li
		.amdhsa_group_segment_fixed_size 8192
		.amdhsa_private_segment_fixed_size 0
		.amdhsa_kernarg_size 124
		.amdhsa_user_sgpr_count 6
		.amdhsa_user_sgpr_private_segment_buffer 1
		.amdhsa_user_sgpr_dispatch_ptr 0
		.amdhsa_user_sgpr_queue_ptr 0
		.amdhsa_user_sgpr_kernarg_segment_ptr 1
		.amdhsa_user_sgpr_dispatch_id 0
		.amdhsa_user_sgpr_flat_scratch_init 0
		.amdhsa_user_sgpr_private_segment_size 0
		.amdhsa_wavefront_size32 1
		.amdhsa_uses_dynamic_stack 0
		.amdhsa_system_sgpr_private_segment_wavefront_offset 0
		.amdhsa_system_sgpr_workgroup_id_x 1
		.amdhsa_system_sgpr_workgroup_id_y 1
		.amdhsa_system_sgpr_workgroup_id_z 1
		.amdhsa_system_sgpr_workgroup_info 0
		.amdhsa_system_vgpr_workitem_id 1
		.amdhsa_next_free_vgpr 118
		.amdhsa_next_free_sgpr 44
		.amdhsa_reserve_vcc 1
		.amdhsa_reserve_flat_scratch 0
		.amdhsa_float_round_mode_32 0
		.amdhsa_float_round_mode_16_64 0
		.amdhsa_float_denorm_mode_32 3
		.amdhsa_float_denorm_mode_16_64 3
		.amdhsa_dx10_clamp 1
		.amdhsa_ieee_mode 1
		.amdhsa_fp16_overflow 0
		.amdhsa_workgroup_processor_mode 1
		.amdhsa_memory_ordered 1
		.amdhsa_forward_progress 1
		.amdhsa_shared_vgpr_count 0
		.amdhsa_exception_fp_ieee_invalid_op 0
		.amdhsa_exception_fp_denorm_src 0
		.amdhsa_exception_fp_ieee_div_zero 0
		.amdhsa_exception_fp_ieee_overflow 0
		.amdhsa_exception_fp_ieee_underflow 0
		.amdhsa_exception_fp_ieee_inexact 0
		.amdhsa_exception_int_div_zero 0
	.end_amdhsa_kernel
	.section	.text._ZL29rocblas_internal_gemmt_kernelIlLi16ELi32ELi8ELc67ELc67ELc76ELb1ELb1E19rocblas_complex_numIdES1_PKS1_PS1_EviT_T9_T10_S5_lS7_S5_lS6_T11_S5_li,"axG",@progbits,_ZL29rocblas_internal_gemmt_kernelIlLi16ELi32ELi8ELc67ELc67ELc76ELb1ELb1E19rocblas_complex_numIdES1_PKS1_PS1_EviT_T9_T10_S5_lS7_S5_lS6_T11_S5_li,comdat
.Lfunc_end287:
	.size	_ZL29rocblas_internal_gemmt_kernelIlLi16ELi32ELi8ELc67ELc67ELc76ELb1ELb1E19rocblas_complex_numIdES1_PKS1_PS1_EviT_T9_T10_S5_lS7_S5_lS6_T11_S5_li, .Lfunc_end287-_ZL29rocblas_internal_gemmt_kernelIlLi16ELi32ELi8ELc67ELc67ELc76ELb1ELb1E19rocblas_complex_numIdES1_PKS1_PS1_EviT_T9_T10_S5_lS7_S5_lS6_T11_S5_li
                                        ; -- End function
	.set _ZL29rocblas_internal_gemmt_kernelIlLi16ELi32ELi8ELc67ELc67ELc76ELb1ELb1E19rocblas_complex_numIdES1_PKS1_PS1_EviT_T9_T10_S5_lS7_S5_lS6_T11_S5_li.num_vgpr, 118
	.set _ZL29rocblas_internal_gemmt_kernelIlLi16ELi32ELi8ELc67ELc67ELc76ELb1ELb1E19rocblas_complex_numIdES1_PKS1_PS1_EviT_T9_T10_S5_lS7_S5_lS6_T11_S5_li.num_agpr, 0
	.set _ZL29rocblas_internal_gemmt_kernelIlLi16ELi32ELi8ELc67ELc67ELc76ELb1ELb1E19rocblas_complex_numIdES1_PKS1_PS1_EviT_T9_T10_S5_lS7_S5_lS6_T11_S5_li.numbered_sgpr, 44
	.set _ZL29rocblas_internal_gemmt_kernelIlLi16ELi32ELi8ELc67ELc67ELc76ELb1ELb1E19rocblas_complex_numIdES1_PKS1_PS1_EviT_T9_T10_S5_lS7_S5_lS6_T11_S5_li.num_named_barrier, 0
	.set _ZL29rocblas_internal_gemmt_kernelIlLi16ELi32ELi8ELc67ELc67ELc76ELb1ELb1E19rocblas_complex_numIdES1_PKS1_PS1_EviT_T9_T10_S5_lS7_S5_lS6_T11_S5_li.private_seg_size, 0
	.set _ZL29rocblas_internal_gemmt_kernelIlLi16ELi32ELi8ELc67ELc67ELc76ELb1ELb1E19rocblas_complex_numIdES1_PKS1_PS1_EviT_T9_T10_S5_lS7_S5_lS6_T11_S5_li.uses_vcc, 1
	.set _ZL29rocblas_internal_gemmt_kernelIlLi16ELi32ELi8ELc67ELc67ELc76ELb1ELb1E19rocblas_complex_numIdES1_PKS1_PS1_EviT_T9_T10_S5_lS7_S5_lS6_T11_S5_li.uses_flat_scratch, 0
	.set _ZL29rocblas_internal_gemmt_kernelIlLi16ELi32ELi8ELc67ELc67ELc76ELb1ELb1E19rocblas_complex_numIdES1_PKS1_PS1_EviT_T9_T10_S5_lS7_S5_lS6_T11_S5_li.has_dyn_sized_stack, 0
	.set _ZL29rocblas_internal_gemmt_kernelIlLi16ELi32ELi8ELc67ELc67ELc76ELb1ELb1E19rocblas_complex_numIdES1_PKS1_PS1_EviT_T9_T10_S5_lS7_S5_lS6_T11_S5_li.has_recursion, 0
	.set _ZL29rocblas_internal_gemmt_kernelIlLi16ELi32ELi8ELc67ELc67ELc76ELb1ELb1E19rocblas_complex_numIdES1_PKS1_PS1_EviT_T9_T10_S5_lS7_S5_lS6_T11_S5_li.has_indirect_call, 0
	.section	.AMDGPU.csdata,"",@progbits
; Kernel info:
; codeLenInByte = 3544
; TotalNumSgprs: 46
; NumVgprs: 118
; ScratchSize: 0
; MemoryBound: 1
; FloatMode: 240
; IeeeMode: 1
; LDSByteSize: 8192 bytes/workgroup (compile time only)
; SGPRBlocks: 0
; VGPRBlocks: 14
; NumSGPRsForWavesPerEU: 46
; NumVGPRsForWavesPerEU: 118
; Occupancy: 8
; WaveLimiterHint : 0
; COMPUTE_PGM_RSRC2:SCRATCH_EN: 0
; COMPUTE_PGM_RSRC2:USER_SGPR: 6
; COMPUTE_PGM_RSRC2:TRAP_HANDLER: 0
; COMPUTE_PGM_RSRC2:TGID_X_EN: 1
; COMPUTE_PGM_RSRC2:TGID_Y_EN: 1
; COMPUTE_PGM_RSRC2:TGID_Z_EN: 1
; COMPUTE_PGM_RSRC2:TIDIG_COMP_CNT: 1
	.section	.text._ZL29rocblas_internal_gemmt_kernelIiLi16ELi32ELi8ELc78ELc78ELc85ELb0ELb0EfPKfPKS1_PKPfEviT_T9_T10_S7_lS9_S7_lS8_T11_S7_li,"axG",@progbits,_ZL29rocblas_internal_gemmt_kernelIiLi16ELi32ELi8ELc78ELc78ELc85ELb0ELb0EfPKfPKS1_PKPfEviT_T9_T10_S7_lS9_S7_lS8_T11_S7_li,comdat
	.globl	_ZL29rocblas_internal_gemmt_kernelIiLi16ELi32ELi8ELc78ELc78ELc85ELb0ELb0EfPKfPKS1_PKPfEviT_T9_T10_S7_lS9_S7_lS8_T11_S7_li ; -- Begin function _ZL29rocblas_internal_gemmt_kernelIiLi16ELi32ELi8ELc78ELc78ELc85ELb0ELb0EfPKfPKS1_PKPfEviT_T9_T10_S7_lS9_S7_lS8_T11_S7_li
	.p2align	8
	.type	_ZL29rocblas_internal_gemmt_kernelIiLi16ELi32ELi8ELc78ELc78ELc85ELb0ELb0EfPKfPKS1_PKPfEviT_T9_T10_S7_lS9_S7_lS8_T11_S7_li,@function
_ZL29rocblas_internal_gemmt_kernelIiLi16ELi32ELi8ELc78ELc78ELc85ELb0ELb0EfPKfPKS1_PKPfEviT_T9_T10_S7_lS9_S7_lS8_T11_S7_li: ; @_ZL29rocblas_internal_gemmt_kernelIiLi16ELi32ELi8ELc78ELc78ELc85ELb0ELb0EfPKfPKS1_PKPfEviT_T9_T10_S7_lS9_S7_lS8_T11_S7_li
; %bb.0:
	s_clause 0x1
	s_load_dwordx4 s[12:15], s[4:5], 0x38
	s_load_dwordx4 s[0:3], s[4:5], 0x8
	s_waitcnt lgkmcnt(0)
	s_load_dword s22, s[14:15], 0x0
	s_load_dwordx2 s[10:11], s[4:5], 0x0
	s_load_dword s23, s[0:1], 0x0
	s_waitcnt lgkmcnt(0)
	v_cmp_neq_f32_e64 s0, s22, 1.0
	s_and_b32 vcc_lo, exec_lo, s0
	s_cbranch_vccnz .LBB288_2
; %bb.1:
	v_cmp_neq_f32_e64 s0, s23, 0
	s_cmp_lg_u32 s11, 0
	s_cselect_b32 s1, -1, 0
	s_and_b32 s0, s1, s0
.LBB288_2:
	s_andn2_b32 vcc_lo, exec_lo, s0
	s_cbranch_vccnz .LBB288_26
; %bb.3:
	s_load_dwordx2 s[0:1], s[4:5], 0x48
	s_mov_b32 s9, 0
	v_mov_b32_e32 v12, 0
	s_lshl_b64 s[20:21], s[8:9], 3
	v_mov_b32_e32 v8, 0
	v_mov_b32_e32 v7, 0
	;; [unrolled: 1-line block ×3, first 2 shown]
	s_waitcnt lgkmcnt(0)
	s_add_u32 s0, s0, s20
	s_addc_u32 s1, s1, s21
	s_lshl_b32 s8, s6, 5
	s_load_dwordx2 s[14:15], s[0:1], 0x0
	s_lshl_b32 s24, s7, 5
	v_cmp_eq_f32_e64 s0, s23, 0
	s_cmp_lt_i32 s11, 1
	s_cselect_b32 s1, -1, 0
	s_or_b32 s0, s0, s1
	s_and_b32 vcc_lo, exec_lo, s0
	s_cbranch_vccnz .LBB288_10
; %bb.4:
	s_clause 0x1
	s_load_dword s6, s[4:5], 0x18
	s_load_dwordx4 s[16:19], s[4:5], 0x20
	v_lshl_add_u32 v2, v1, 4, v0
	v_and_b32_e32 v9, 7, v0
	s_load_dword s1, s[4:5], 0x30
	v_lshlrev_b32_e32 v10, 2, v0
	v_lshl_add_u32 v15, v1, 5, 0x400
	v_lshrrev_b32_e32 v4, 3, v2
	v_lshlrev_b32_e32 v8, 2, v9
	v_and_b32_e32 v3, 31, v2
	v_lshrrev_b32_e32 v11, 5, v2
	v_add_nc_u32_e32 v7, s24, v4
	v_lshl_or_b32 v4, v4, 5, v8
	v_or_b32_e32 v5, s8, v3
	v_lshlrev_b32_e32 v6, 2, v3
	v_add_nc_u32_e32 v2, s8, v3
	v_cmp_gt_i32_e64 s0, s10, v7
	v_add_nc_u32_e32 v14, 0x400, v4
	v_cmp_gt_i32_e32 vcc_lo, s10, v5
	s_waitcnt lgkmcnt(0)
	v_mad_i64_i32 v[3:4], null, v11, s6, 0
	s_ashr_i32 s7, s6, 31
	s_add_u32 s18, s18, s20
	s_addc_u32 s19, s19, s21
	s_add_u32 s2, s2, s20
	s_addc_u32 s3, s3, s21
	s_load_dwordx2 s[18:19], s[18:19], 0x0
	s_load_dwordx2 s[2:3], s[2:3], 0x0
	v_lshl_or_b32 v13, v11, 7, v6
	v_lshlrev_b64 v[4:5], 2, v[3:4]
	v_mad_i64_i32 v[6:7], null, s1, v7, 0
	v_ashrrev_i32_e32 v3, 31, v2
	s_lshl_b64 s[16:17], s[16:17], 2
	s_lshl_b64 s[12:13], s[12:13], 2
	v_add_co_u32 v12, s1, v4, s16
	v_lshlrev_b64 v[2:3], 2, v[2:3]
	v_add_co_ci_u32_e64 v16, null, s17, v5, s1
	v_lshlrev_b64 v[4:5], 2, v[6:7]
	v_mov_b32_e32 v6, 0
	v_mov_b32_e32 v7, 0
	v_add_co_u32 v2, s1, v12, v2
	v_add_co_ci_u32_e64 v3, null, v16, v3, s1
	v_add_co_u32 v4, s1, v4, s12
	v_add_co_ci_u32_e64 v5, null, s13, v5, s1
	s_waitcnt lgkmcnt(0)
	v_add_co_u32 v2, s1, s2, v2
	v_add_co_ci_u32_e64 v3, null, s3, v3, s1
	v_add_co_u32 v4, s1, v4, v8
	v_add_co_ci_u32_e64 v5, null, 0, v5, s1
	v_mov_b32_e32 v8, 0
	v_add_co_u32 v4, s1, s18, v4
	v_add_co_ci_u32_e64 v5, null, s19, v5, s1
	v_mov_b32_e32 v12, 0
	s_lshl_b64 s[2:3], s[6:7], 5
	s_branch .LBB288_6
.LBB288_5:                              ;   in Loop: Header=BB288_6 Depth=1
	s_or_b32 exec_lo, exec_lo, s1
	s_waitcnt vmcnt(0) lgkmcnt(0)
	ds_write_b32 v14, v17
	s_waitcnt lgkmcnt(0)
	s_barrier
	buffer_gl0_inv
	ds_read_b128 v[16:19], v15
	ds_read2_b32 v[32:33], v10 offset1:16
	ds_read_b128 v[20:23], v15 offset:512
	ds_read2_b32 v[34:35], v10 offset0:32 offset1:48
	ds_read2_b32 v[36:37], v10 offset0:64 offset1:80
	;; [unrolled: 1-line block ×3, first 2 shown]
	ds_read_b128 v[24:27], v15 offset:16
	ds_read2_b32 v[40:41], v10 offset0:128 offset1:144
	ds_read_b128 v[28:31], v15 offset:528
	v_add_co_u32 v2, s1, v2, s2
	v_add_co_ci_u32_e64 v3, null, s3, v3, s1
	v_add_co_u32 v4, s1, v4, 32
	v_add_co_ci_u32_e64 v5, null, 0, v5, s1
	s_add_i32 s9, s9, 8
	s_cmp_lt_i32 s9, s11
	s_waitcnt lgkmcnt(7)
	v_fmac_f32_e32 v12, v32, v16
	v_fmac_f32_e32 v8, v33, v16
	s_waitcnt lgkmcnt(6)
	v_fmac_f32_e32 v7, v32, v20
	v_fmac_f32_e32 v6, v33, v20
	ds_read2_b32 v[32:33], v10 offset0:160 offset1:176
	s_waitcnt lgkmcnt(6)
	v_fmac_f32_e32 v12, v34, v17
	v_fmac_f32_e32 v8, v35, v17
	v_fmac_f32_e32 v7, v34, v21
	v_fmac_f32_e32 v6, v35, v21
	ds_read2_b32 v[16:17], v10 offset0:192 offset1:208
	s_waitcnt lgkmcnt(6)
	v_fmac_f32_e32 v12, v36, v18
	v_fmac_f32_e32 v8, v37, v18
	;; [unrolled: 6-line block ×3, first 2 shown]
	v_fmac_f32_e32 v7, v38, v23
	v_fmac_f32_e32 v6, v39, v23
	s_waitcnt lgkmcnt(0)
	v_fmac_f32_e32 v12, v40, v24
	v_fmac_f32_e32 v8, v41, v24
	;; [unrolled: 1-line block ×4, first 2 shown]
	s_barrier
	v_fmac_f32_e32 v12, v32, v25
	v_fmac_f32_e32 v8, v33, v25
	;; [unrolled: 1-line block ×4, first 2 shown]
	buffer_gl0_inv
	v_fmac_f32_e32 v12, v16, v26
	v_fmac_f32_e32 v8, v17, v26
	;; [unrolled: 1-line block ×8, first 2 shown]
	s_cbranch_scc0 .LBB288_10
.LBB288_6:                              ; =>This Inner Loop Header: Depth=1
	v_add_nc_u32_e32 v16, s9, v11
	v_cmp_gt_i32_e64 s1, s11, v16
	v_mov_b32_e32 v16, 0
	s_and_b32 s6, vcc_lo, s1
	s_and_saveexec_b32 s1, s6
	s_cbranch_execz .LBB288_8
; %bb.7:                                ;   in Loop: Header=BB288_6 Depth=1
	flat_load_dword v16, v[2:3]
.LBB288_8:                              ;   in Loop: Header=BB288_6 Depth=1
	s_or_b32 exec_lo, exec_lo, s1
	v_add_nc_u32_e32 v17, s9, v9
	s_waitcnt vmcnt(0) lgkmcnt(0)
	ds_write_b32 v13, v16
	v_cmp_gt_i32_e64 s1, s11, v17
	v_mov_b32_e32 v17, 0
	s_and_b32 s6, s1, s0
	s_and_saveexec_b32 s1, s6
	s_cbranch_execz .LBB288_5
; %bb.9:                                ;   in Loop: Header=BB288_6 Depth=1
	flat_load_dword v17, v[4:5]
	s_branch .LBB288_5
.LBB288_10:
	s_clause 0x1
	s_load_dword s2, s[4:5], 0x50
	s_load_dwordx2 s[4:5], s[4:5], 0x58
	v_add_nc_u32_e32 v10, s24, v1
	v_add_nc_u32_e32 v0, s8, v0
	v_cmp_gt_i32_e64 s0, s10, v10
	v_cmp_le_i32_e32 vcc_lo, v0, v10
	s_waitcnt lgkmcnt(0)
	v_mad_i64_i32 v[1:2], null, v10, s2, 0
	s_lshl_b64 s[4:5], s[4:5], 2
	s_add_u32 s3, s14, s4
	s_addc_u32 s4, s15, s5
	v_cmp_neq_f32_e64 s5, s22, 0
	s_and_b32 s6, s0, vcc_lo
	v_lshlrev_b64 v[2:3], 2, v[1:2]
	v_ashrrev_i32_e32 v1, 31, v0
	v_cndmask_b32_e64 v9, 0, 1, s5
	v_add_co_u32 v4, s1, s3, v2
	v_add_co_ci_u32_e64 v5, null, s4, v3, s1
	s_and_saveexec_b32 s1, s6
	s_cbranch_execz .LBB288_14
; %bb.11:
	v_lshlrev_b64 v[2:3], 2, v[0:1]
	v_mul_f32_e32 v11, s23, v12
	v_add_co_u32 v2, vcc_lo, v4, v2
	v_add_co_ci_u32_e64 v3, null, v5, v3, vcc_lo
	s_andn2_b32 vcc_lo, exec_lo, s5
	s_cbranch_vccnz .LBB288_13
; %bb.12:
	flat_load_dword v12, v[2:3]
	s_waitcnt vmcnt(0) lgkmcnt(0)
	v_fmac_f32_e32 v11, s22, v12
.LBB288_13:
	flat_store_dword v[2:3], v11
.LBB288_14:
	s_or_b32 exec_lo, exec_lo, s1
	v_add_nc_u32_e32 v2, 16, v0
	v_cmp_le_i32_e32 vcc_lo, v2, v10
	v_ashrrev_i32_e32 v3, 31, v2
	s_and_b32 s0, s0, vcc_lo
	s_and_saveexec_b32 s1, s0
	s_cbranch_execz .LBB288_18
; %bb.15:
	v_lshlrev_b64 v[11:12], 2, v[2:3]
	v_cmp_ne_u32_e32 vcc_lo, 1, v9
	v_mul_f32_e32 v8, s23, v8
	v_add_co_u32 v4, s0, v4, v11
	v_add_co_ci_u32_e64 v5, null, v5, v12, s0
	s_cbranch_vccnz .LBB288_17
; %bb.16:
	flat_load_dword v11, v[4:5]
	s_waitcnt vmcnt(0) lgkmcnt(0)
	v_fmac_f32_e32 v8, s22, v11
.LBB288_17:
	flat_store_dword v[4:5], v8
.LBB288_18:
	s_or_b32 exec_lo, exec_lo, s1
	v_add_nc_u32_e32 v8, 16, v10
	v_mad_i64_i32 v[4:5], null, v8, s2, 0
	v_cmp_gt_i32_e64 s0, s10, v8
	v_cmp_le_i32_e32 vcc_lo, v0, v8
	v_lshlrev_b64 v[4:5], 2, v[4:5]
	v_add_co_u32 v4, s1, s3, v4
	v_add_co_ci_u32_e64 v5, null, s4, v5, s1
	s_and_b32 s1, s0, vcc_lo
	s_and_saveexec_b32 s2, s1
	s_cbranch_execz .LBB288_22
; %bb.19:
	v_lshlrev_b64 v[0:1], 2, v[0:1]
	v_cmp_ne_u32_e32 vcc_lo, 1, v9
	v_mul_f32_e32 v7, s23, v7
	v_add_co_u32 v0, s1, v4, v0
	v_add_co_ci_u32_e64 v1, null, v5, v1, s1
	s_cbranch_vccnz .LBB288_21
; %bb.20:
	flat_load_dword v10, v[0:1]
	s_waitcnt vmcnt(0) lgkmcnt(0)
	v_fmac_f32_e32 v7, s22, v10
.LBB288_21:
	flat_store_dword v[0:1], v7
.LBB288_22:
	s_or_b32 exec_lo, exec_lo, s2
	v_cmp_le_i32_e32 vcc_lo, v2, v8
	s_and_b32 s0, s0, vcc_lo
	s_and_saveexec_b32 s1, s0
	s_cbranch_execz .LBB288_26
; %bb.23:
	v_lshlrev_b64 v[0:1], 2, v[2:3]
	v_cmp_ne_u32_e32 vcc_lo, 1, v9
	v_mul_f32_e32 v2, s23, v6
	v_add_co_u32 v0, s0, v4, v0
	v_add_co_ci_u32_e64 v1, null, v5, v1, s0
	s_cbranch_vccnz .LBB288_25
; %bb.24:
	flat_load_dword v3, v[0:1]
	s_waitcnt vmcnt(0) lgkmcnt(0)
	v_fmac_f32_e32 v2, s22, v3
.LBB288_25:
	flat_store_dword v[0:1], v2
.LBB288_26:
	s_endpgm
	.section	.rodata,"a",@progbits
	.p2align	6, 0x0
	.amdhsa_kernel _ZL29rocblas_internal_gemmt_kernelIiLi16ELi32ELi8ELc78ELc78ELc85ELb0ELb0EfPKfPKS1_PKPfEviT_T9_T10_S7_lS9_S7_lS8_T11_S7_li
		.amdhsa_group_segment_fixed_size 2048
		.amdhsa_private_segment_fixed_size 0
		.amdhsa_kernarg_size 100
		.amdhsa_user_sgpr_count 6
		.amdhsa_user_sgpr_private_segment_buffer 1
		.amdhsa_user_sgpr_dispatch_ptr 0
		.amdhsa_user_sgpr_queue_ptr 0
		.amdhsa_user_sgpr_kernarg_segment_ptr 1
		.amdhsa_user_sgpr_dispatch_id 0
		.amdhsa_user_sgpr_flat_scratch_init 0
		.amdhsa_user_sgpr_private_segment_size 0
		.amdhsa_wavefront_size32 1
		.amdhsa_uses_dynamic_stack 0
		.amdhsa_system_sgpr_private_segment_wavefront_offset 0
		.amdhsa_system_sgpr_workgroup_id_x 1
		.amdhsa_system_sgpr_workgroup_id_y 1
		.amdhsa_system_sgpr_workgroup_id_z 1
		.amdhsa_system_sgpr_workgroup_info 0
		.amdhsa_system_vgpr_workitem_id 1
		.amdhsa_next_free_vgpr 42
		.amdhsa_next_free_sgpr 25
		.amdhsa_reserve_vcc 1
		.amdhsa_reserve_flat_scratch 0
		.amdhsa_float_round_mode_32 0
		.amdhsa_float_round_mode_16_64 0
		.amdhsa_float_denorm_mode_32 3
		.amdhsa_float_denorm_mode_16_64 3
		.amdhsa_dx10_clamp 1
		.amdhsa_ieee_mode 1
		.amdhsa_fp16_overflow 0
		.amdhsa_workgroup_processor_mode 1
		.amdhsa_memory_ordered 1
		.amdhsa_forward_progress 1
		.amdhsa_shared_vgpr_count 0
		.amdhsa_exception_fp_ieee_invalid_op 0
		.amdhsa_exception_fp_denorm_src 0
		.amdhsa_exception_fp_ieee_div_zero 0
		.amdhsa_exception_fp_ieee_overflow 0
		.amdhsa_exception_fp_ieee_underflow 0
		.amdhsa_exception_fp_ieee_inexact 0
		.amdhsa_exception_int_div_zero 0
	.end_amdhsa_kernel
	.section	.text._ZL29rocblas_internal_gemmt_kernelIiLi16ELi32ELi8ELc78ELc78ELc85ELb0ELb0EfPKfPKS1_PKPfEviT_T9_T10_S7_lS9_S7_lS8_T11_S7_li,"axG",@progbits,_ZL29rocblas_internal_gemmt_kernelIiLi16ELi32ELi8ELc78ELc78ELc85ELb0ELb0EfPKfPKS1_PKPfEviT_T9_T10_S7_lS9_S7_lS8_T11_S7_li,comdat
.Lfunc_end288:
	.size	_ZL29rocblas_internal_gemmt_kernelIiLi16ELi32ELi8ELc78ELc78ELc85ELb0ELb0EfPKfPKS1_PKPfEviT_T9_T10_S7_lS9_S7_lS8_T11_S7_li, .Lfunc_end288-_ZL29rocblas_internal_gemmt_kernelIiLi16ELi32ELi8ELc78ELc78ELc85ELb0ELb0EfPKfPKS1_PKPfEviT_T9_T10_S7_lS9_S7_lS8_T11_S7_li
                                        ; -- End function
	.set _ZL29rocblas_internal_gemmt_kernelIiLi16ELi32ELi8ELc78ELc78ELc85ELb0ELb0EfPKfPKS1_PKPfEviT_T9_T10_S7_lS9_S7_lS8_T11_S7_li.num_vgpr, 42
	.set _ZL29rocblas_internal_gemmt_kernelIiLi16ELi32ELi8ELc78ELc78ELc85ELb0ELb0EfPKfPKS1_PKPfEviT_T9_T10_S7_lS9_S7_lS8_T11_S7_li.num_agpr, 0
	.set _ZL29rocblas_internal_gemmt_kernelIiLi16ELi32ELi8ELc78ELc78ELc85ELb0ELb0EfPKfPKS1_PKPfEviT_T9_T10_S7_lS9_S7_lS8_T11_S7_li.numbered_sgpr, 25
	.set _ZL29rocblas_internal_gemmt_kernelIiLi16ELi32ELi8ELc78ELc78ELc85ELb0ELb0EfPKfPKS1_PKPfEviT_T9_T10_S7_lS9_S7_lS8_T11_S7_li.num_named_barrier, 0
	.set _ZL29rocblas_internal_gemmt_kernelIiLi16ELi32ELi8ELc78ELc78ELc85ELb0ELb0EfPKfPKS1_PKPfEviT_T9_T10_S7_lS9_S7_lS8_T11_S7_li.private_seg_size, 0
	.set _ZL29rocblas_internal_gemmt_kernelIiLi16ELi32ELi8ELc78ELc78ELc85ELb0ELb0EfPKfPKS1_PKPfEviT_T9_T10_S7_lS9_S7_lS8_T11_S7_li.uses_vcc, 1
	.set _ZL29rocblas_internal_gemmt_kernelIiLi16ELi32ELi8ELc78ELc78ELc85ELb0ELb0EfPKfPKS1_PKPfEviT_T9_T10_S7_lS9_S7_lS8_T11_S7_li.uses_flat_scratch, 0
	.set _ZL29rocblas_internal_gemmt_kernelIiLi16ELi32ELi8ELc78ELc78ELc85ELb0ELb0EfPKfPKS1_PKPfEviT_T9_T10_S7_lS9_S7_lS8_T11_S7_li.has_dyn_sized_stack, 0
	.set _ZL29rocblas_internal_gemmt_kernelIiLi16ELi32ELi8ELc78ELc78ELc85ELb0ELb0EfPKfPKS1_PKPfEviT_T9_T10_S7_lS9_S7_lS8_T11_S7_li.has_recursion, 0
	.set _ZL29rocblas_internal_gemmt_kernelIiLi16ELi32ELi8ELc78ELc78ELc85ELb0ELb0EfPKfPKS1_PKPfEviT_T9_T10_S7_lS9_S7_lS8_T11_S7_li.has_indirect_call, 0
	.section	.AMDGPU.csdata,"",@progbits
; Kernel info:
; codeLenInByte = 1428
; TotalNumSgprs: 27
; NumVgprs: 42
; ScratchSize: 0
; MemoryBound: 0
; FloatMode: 240
; IeeeMode: 1
; LDSByteSize: 2048 bytes/workgroup (compile time only)
; SGPRBlocks: 0
; VGPRBlocks: 5
; NumSGPRsForWavesPerEU: 27
; NumVGPRsForWavesPerEU: 42
; Occupancy: 16
; WaveLimiterHint : 1
; COMPUTE_PGM_RSRC2:SCRATCH_EN: 0
; COMPUTE_PGM_RSRC2:USER_SGPR: 6
; COMPUTE_PGM_RSRC2:TRAP_HANDLER: 0
; COMPUTE_PGM_RSRC2:TGID_X_EN: 1
; COMPUTE_PGM_RSRC2:TGID_Y_EN: 1
; COMPUTE_PGM_RSRC2:TGID_Z_EN: 1
; COMPUTE_PGM_RSRC2:TIDIG_COMP_CNT: 1
	.section	.text._ZL29rocblas_internal_gemmt_kernelIiLi16ELi32ELi8ELc78ELc84ELc85ELb0ELb0EfPKfPKS1_PKPfEviT_T9_T10_S7_lS9_S7_lS8_T11_S7_li,"axG",@progbits,_ZL29rocblas_internal_gemmt_kernelIiLi16ELi32ELi8ELc78ELc84ELc85ELb0ELb0EfPKfPKS1_PKPfEviT_T9_T10_S7_lS9_S7_lS8_T11_S7_li,comdat
	.globl	_ZL29rocblas_internal_gemmt_kernelIiLi16ELi32ELi8ELc78ELc84ELc85ELb0ELb0EfPKfPKS1_PKPfEviT_T9_T10_S7_lS9_S7_lS8_T11_S7_li ; -- Begin function _ZL29rocblas_internal_gemmt_kernelIiLi16ELi32ELi8ELc78ELc84ELc85ELb0ELb0EfPKfPKS1_PKPfEviT_T9_T10_S7_lS9_S7_lS8_T11_S7_li
	.p2align	8
	.type	_ZL29rocblas_internal_gemmt_kernelIiLi16ELi32ELi8ELc78ELc84ELc85ELb0ELb0EfPKfPKS1_PKPfEviT_T9_T10_S7_lS9_S7_lS8_T11_S7_li,@function
_ZL29rocblas_internal_gemmt_kernelIiLi16ELi32ELi8ELc78ELc84ELc85ELb0ELb0EfPKfPKS1_PKPfEviT_T9_T10_S7_lS9_S7_lS8_T11_S7_li: ; @_ZL29rocblas_internal_gemmt_kernelIiLi16ELi32ELi8ELc78ELc84ELc85ELb0ELb0EfPKfPKS1_PKPfEviT_T9_T10_S7_lS9_S7_lS8_T11_S7_li
; %bb.0:
	s_clause 0x1
	s_load_dwordx4 s[12:15], s[4:5], 0x38
	s_load_dwordx4 s[0:3], s[4:5], 0x8
	s_waitcnt lgkmcnt(0)
	s_load_dword s24, s[14:15], 0x0
	s_load_dwordx2 s[10:11], s[4:5], 0x0
	s_load_dword s25, s[0:1], 0x0
	s_waitcnt lgkmcnt(0)
	v_cmp_neq_f32_e64 s0, s24, 1.0
	s_and_b32 vcc_lo, exec_lo, s0
	s_cbranch_vccnz .LBB289_2
; %bb.1:
	v_cmp_neq_f32_e64 s0, s25, 0
	s_cmp_lg_u32 s11, 0
	s_cselect_b32 s1, -1, 0
	s_and_b32 s0, s1, s0
.LBB289_2:
	s_andn2_b32 vcc_lo, exec_lo, s0
	s_cbranch_vccnz .LBB289_26
; %bb.3:
	s_load_dwordx2 s[0:1], s[4:5], 0x48
	s_mov_b32 s9, 0
	v_mov_b32_e32 v13, 0
	s_lshl_b64 s[22:23], s[8:9], 3
	v_mov_b32_e32 v9, 0
	v_mov_b32_e32 v7, 0
	;; [unrolled: 1-line block ×3, first 2 shown]
	s_waitcnt lgkmcnt(0)
	s_add_u32 s0, s0, s22
	s_addc_u32 s1, s1, s23
	s_lshl_b32 s8, s6, 5
	s_load_dwordx2 s[14:15], s[0:1], 0x0
	s_lshl_b32 s26, s7, 5
	v_cmp_eq_f32_e64 s0, s25, 0
	s_cmp_lt_i32 s11, 1
	s_cselect_b32 s1, -1, 0
	s_or_b32 s0, s0, s1
	s_and_b32 vcc_lo, exec_lo, s0
	s_cbranch_vccnz .LBB289_10
; %bb.4:
	s_clause 0x2
	s_load_dword s6, s[4:5], 0x18
	s_load_dword s20, s[4:5], 0x30
	s_load_dwordx4 s[16:19], s[4:5], 0x20
	v_lshl_add_u32 v2, v1, 4, v0
	v_and_b32_e32 v8, 7, v0
	v_lshlrev_b32_e32 v14, 2, v0
	v_lshl_add_u32 v15, v1, 5, 0x400
	v_and_b32_e32 v9, 31, v2
	v_lshrrev_b32_e32 v3, 3, v2
	v_lshlrev_b32_e32 v4, 2, v8
	v_lshrrev_b32_e32 v10, 5, v2
	v_or_b32_e32 v5, s8, v9
	v_lshlrev_b32_e32 v6, 2, v9
	v_add_nc_u32_e32 v2, s26, v3
	v_lshl_or_b32 v3, v3, 5, v4
	v_add_nc_u32_e32 v16, s8, v9
	v_cmp_gt_i32_e32 vcc_lo, s10, v5
	v_lshl_or_b32 v11, v10, 7, v6
	s_waitcnt lgkmcnt(0)
	v_mad_i64_i32 v[4:5], null, v10, s6, 0
	s_ashr_i32 s7, s6, 31
	s_ashr_i32 s21, s20, 31
	s_add_u32 s18, s18, s22
	s_addc_u32 s19, s19, s23
	s_add_u32 s2, s2, s22
	v_mad_i64_i32 v[6:7], null, s20, v8, 0
	s_addc_u32 s3, s3, s23
	s_load_dwordx2 s[18:19], s[18:19], 0x0
	s_load_dwordx2 s[2:3], s[2:3], 0x0
	v_lshlrev_b64 v[4:5], 2, v[4:5]
	v_ashrrev_i32_e32 v17, 31, v16
	s_lshl_b64 s[16:17], s[16:17], 2
	v_add_nc_u32_e32 v12, 0x400, v3
	v_ashrrev_i32_e32 v3, 31, v2
	v_lshlrev_b64 v[6:7], 2, v[6:7]
	v_add_co_u32 v9, s1, v4, s16
	v_add_co_ci_u32_e64 v13, null, s17, v5, s1
	v_lshlrev_b64 v[4:5], 2, v[16:17]
	s_lshl_b64 s[12:13], s[12:13], 2
	v_cmp_gt_i32_e64 s0, s10, v2
	v_lshlrev_b64 v[2:3], 2, v[2:3]
	v_add_co_u32 v6, s1, v6, s12
	v_add_co_ci_u32_e64 v7, null, s13, v7, s1
	v_add_co_u32 v4, s1, v9, v4
	v_add_co_ci_u32_e64 v5, null, v13, v5, s1
	;; [unrolled: 2-line block ×3, first 2 shown]
	s_waitcnt lgkmcnt(0)
	v_add_co_u32 v2, s1, s2, v4
	v_add_co_ci_u32_e64 v3, null, s3, v5, s1
	v_add_co_u32 v4, s1, s18, v6
	v_add_co_ci_u32_e64 v5, null, s19, v7, s1
	v_mov_b32_e32 v6, 0
	v_mov_b32_e32 v7, 0
	;; [unrolled: 1-line block ×4, first 2 shown]
	s_lshl_b64 s[2:3], s[6:7], 5
	s_lshl_b64 s[6:7], s[20:21], 5
	s_branch .LBB289_6
.LBB289_5:                              ;   in Loop: Header=BB289_6 Depth=1
	s_or_b32 exec_lo, exec_lo, s1
	s_waitcnt vmcnt(0) lgkmcnt(0)
	ds_write_b32 v12, v17
	s_waitcnt lgkmcnt(0)
	s_barrier
	buffer_gl0_inv
	ds_read_b128 v[16:19], v15
	ds_read2_b32 v[32:33], v14 offset1:16
	ds_read_b128 v[20:23], v15 offset:512
	ds_read2_b32 v[34:35], v14 offset0:32 offset1:48
	ds_read2_b32 v[36:37], v14 offset0:64 offset1:80
	;; [unrolled: 1-line block ×3, first 2 shown]
	ds_read_b128 v[24:27], v15 offset:16
	ds_read2_b32 v[40:41], v14 offset0:128 offset1:144
	ds_read_b128 v[28:31], v15 offset:528
	v_add_co_u32 v2, s1, v2, s2
	v_add_co_ci_u32_e64 v3, null, s3, v3, s1
	v_add_co_u32 v4, s1, v4, s6
	v_add_co_ci_u32_e64 v5, null, s7, v5, s1
	s_add_i32 s9, s9, 8
	s_cmp_lt_i32 s9, s11
	s_waitcnt lgkmcnt(7)
	v_fmac_f32_e32 v13, v32, v16
	v_fmac_f32_e32 v9, v33, v16
	s_waitcnt lgkmcnt(6)
	v_fmac_f32_e32 v7, v32, v20
	v_fmac_f32_e32 v6, v33, v20
	ds_read2_b32 v[32:33], v14 offset0:160 offset1:176
	s_waitcnt lgkmcnt(6)
	v_fmac_f32_e32 v13, v34, v17
	v_fmac_f32_e32 v9, v35, v17
	v_fmac_f32_e32 v7, v34, v21
	v_fmac_f32_e32 v6, v35, v21
	ds_read2_b32 v[16:17], v14 offset0:192 offset1:208
	s_waitcnt lgkmcnt(6)
	v_fmac_f32_e32 v13, v36, v18
	v_fmac_f32_e32 v9, v37, v18
	;; [unrolled: 6-line block ×3, first 2 shown]
	v_fmac_f32_e32 v7, v38, v23
	v_fmac_f32_e32 v6, v39, v23
	s_waitcnt lgkmcnt(0)
	v_fmac_f32_e32 v13, v40, v24
	v_fmac_f32_e32 v9, v41, v24
	;; [unrolled: 1-line block ×4, first 2 shown]
	s_barrier
	v_fmac_f32_e32 v13, v32, v25
	v_fmac_f32_e32 v9, v33, v25
	;; [unrolled: 1-line block ×4, first 2 shown]
	buffer_gl0_inv
	v_fmac_f32_e32 v13, v16, v26
	v_fmac_f32_e32 v9, v17, v26
	;; [unrolled: 1-line block ×8, first 2 shown]
	s_cbranch_scc0 .LBB289_10
.LBB289_6:                              ; =>This Inner Loop Header: Depth=1
	v_add_nc_u32_e32 v16, s9, v10
	v_cmp_gt_i32_e64 s1, s11, v16
	v_mov_b32_e32 v16, 0
	s_and_b32 s12, vcc_lo, s1
	s_and_saveexec_b32 s1, s12
	s_cbranch_execz .LBB289_8
; %bb.7:                                ;   in Loop: Header=BB289_6 Depth=1
	flat_load_dword v16, v[2:3]
.LBB289_8:                              ;   in Loop: Header=BB289_6 Depth=1
	s_or_b32 exec_lo, exec_lo, s1
	v_add_nc_u32_e32 v17, s9, v8
	s_waitcnt vmcnt(0) lgkmcnt(0)
	ds_write_b32 v11, v16
	v_cmp_gt_i32_e64 s1, s11, v17
	v_mov_b32_e32 v17, 0
	s_and_b32 s12, s1, s0
	s_and_saveexec_b32 s1, s12
	s_cbranch_execz .LBB289_5
; %bb.9:                                ;   in Loop: Header=BB289_6 Depth=1
	flat_load_dword v17, v[4:5]
	s_branch .LBB289_5
.LBB289_10:
	s_clause 0x1
	s_load_dword s2, s[4:5], 0x50
	s_load_dwordx2 s[4:5], s[4:5], 0x58
	v_add_nc_u32_e32 v10, s26, v1
	v_add_nc_u32_e32 v0, s8, v0
	v_cmp_gt_i32_e64 s0, s10, v10
	v_cmp_le_i32_e32 vcc_lo, v0, v10
	s_waitcnt lgkmcnt(0)
	v_mad_i64_i32 v[1:2], null, v10, s2, 0
	s_lshl_b64 s[4:5], s[4:5], 2
	s_add_u32 s3, s14, s4
	s_addc_u32 s4, s15, s5
	v_cmp_neq_f32_e64 s5, s24, 0
	s_and_b32 s6, s0, vcc_lo
	v_lshlrev_b64 v[2:3], 2, v[1:2]
	v_ashrrev_i32_e32 v1, 31, v0
	v_cndmask_b32_e64 v8, 0, 1, s5
	v_add_co_u32 v4, s1, s3, v2
	v_add_co_ci_u32_e64 v5, null, s4, v3, s1
	s_and_saveexec_b32 s1, s6
	s_cbranch_execz .LBB289_14
; %bb.11:
	v_lshlrev_b64 v[2:3], 2, v[0:1]
	v_mul_f32_e32 v11, s25, v13
	v_add_co_u32 v2, vcc_lo, v4, v2
	v_add_co_ci_u32_e64 v3, null, v5, v3, vcc_lo
	s_andn2_b32 vcc_lo, exec_lo, s5
	s_cbranch_vccnz .LBB289_13
; %bb.12:
	flat_load_dword v12, v[2:3]
	s_waitcnt vmcnt(0) lgkmcnt(0)
	v_fmac_f32_e32 v11, s24, v12
.LBB289_13:
	flat_store_dword v[2:3], v11
.LBB289_14:
	s_or_b32 exec_lo, exec_lo, s1
	v_add_nc_u32_e32 v2, 16, v0
	v_cmp_le_i32_e32 vcc_lo, v2, v10
	v_ashrrev_i32_e32 v3, 31, v2
	s_and_b32 s0, s0, vcc_lo
	s_and_saveexec_b32 s1, s0
	s_cbranch_execz .LBB289_18
; %bb.15:
	v_lshlrev_b64 v[11:12], 2, v[2:3]
	v_cmp_ne_u32_e32 vcc_lo, 1, v8
	v_mul_f32_e32 v9, s25, v9
	v_add_co_u32 v4, s0, v4, v11
	v_add_co_ci_u32_e64 v5, null, v5, v12, s0
	s_cbranch_vccnz .LBB289_17
; %bb.16:
	flat_load_dword v11, v[4:5]
	s_waitcnt vmcnt(0) lgkmcnt(0)
	v_fmac_f32_e32 v9, s24, v11
.LBB289_17:
	flat_store_dword v[4:5], v9
.LBB289_18:
	s_or_b32 exec_lo, exec_lo, s1
	v_add_nc_u32_e32 v9, 16, v10
	v_mad_i64_i32 v[4:5], null, v9, s2, 0
	v_cmp_gt_i32_e64 s0, s10, v9
	v_cmp_le_i32_e32 vcc_lo, v0, v9
	v_lshlrev_b64 v[4:5], 2, v[4:5]
	v_add_co_u32 v4, s1, s3, v4
	v_add_co_ci_u32_e64 v5, null, s4, v5, s1
	s_and_b32 s1, s0, vcc_lo
	s_and_saveexec_b32 s2, s1
	s_cbranch_execz .LBB289_22
; %bb.19:
	v_lshlrev_b64 v[0:1], 2, v[0:1]
	v_cmp_ne_u32_e32 vcc_lo, 1, v8
	v_mul_f32_e32 v7, s25, v7
	v_add_co_u32 v0, s1, v4, v0
	v_add_co_ci_u32_e64 v1, null, v5, v1, s1
	s_cbranch_vccnz .LBB289_21
; %bb.20:
	flat_load_dword v10, v[0:1]
	s_waitcnt vmcnt(0) lgkmcnt(0)
	v_fmac_f32_e32 v7, s24, v10
.LBB289_21:
	flat_store_dword v[0:1], v7
.LBB289_22:
	s_or_b32 exec_lo, exec_lo, s2
	v_cmp_le_i32_e32 vcc_lo, v2, v9
	s_and_b32 s0, s0, vcc_lo
	s_and_saveexec_b32 s1, s0
	s_cbranch_execz .LBB289_26
; %bb.23:
	v_lshlrev_b64 v[0:1], 2, v[2:3]
	v_cmp_ne_u32_e32 vcc_lo, 1, v8
	v_mul_f32_e32 v2, s25, v6
	v_add_co_u32 v0, s0, v4, v0
	v_add_co_ci_u32_e64 v1, null, v5, v1, s0
	s_cbranch_vccnz .LBB289_25
; %bb.24:
	flat_load_dword v3, v[0:1]
	s_waitcnt vmcnt(0) lgkmcnt(0)
	v_fmac_f32_e32 v2, s24, v3
.LBB289_25:
	flat_store_dword v[0:1], v2
.LBB289_26:
	s_endpgm
	.section	.rodata,"a",@progbits
	.p2align	6, 0x0
	.amdhsa_kernel _ZL29rocblas_internal_gemmt_kernelIiLi16ELi32ELi8ELc78ELc84ELc85ELb0ELb0EfPKfPKS1_PKPfEviT_T9_T10_S7_lS9_S7_lS8_T11_S7_li
		.amdhsa_group_segment_fixed_size 2048
		.amdhsa_private_segment_fixed_size 0
		.amdhsa_kernarg_size 100
		.amdhsa_user_sgpr_count 6
		.amdhsa_user_sgpr_private_segment_buffer 1
		.amdhsa_user_sgpr_dispatch_ptr 0
		.amdhsa_user_sgpr_queue_ptr 0
		.amdhsa_user_sgpr_kernarg_segment_ptr 1
		.amdhsa_user_sgpr_dispatch_id 0
		.amdhsa_user_sgpr_flat_scratch_init 0
		.amdhsa_user_sgpr_private_segment_size 0
		.amdhsa_wavefront_size32 1
		.amdhsa_uses_dynamic_stack 0
		.amdhsa_system_sgpr_private_segment_wavefront_offset 0
		.amdhsa_system_sgpr_workgroup_id_x 1
		.amdhsa_system_sgpr_workgroup_id_y 1
		.amdhsa_system_sgpr_workgroup_id_z 1
		.amdhsa_system_sgpr_workgroup_info 0
		.amdhsa_system_vgpr_workitem_id 1
		.amdhsa_next_free_vgpr 42
		.amdhsa_next_free_sgpr 27
		.amdhsa_reserve_vcc 1
		.amdhsa_reserve_flat_scratch 0
		.amdhsa_float_round_mode_32 0
		.amdhsa_float_round_mode_16_64 0
		.amdhsa_float_denorm_mode_32 3
		.amdhsa_float_denorm_mode_16_64 3
		.amdhsa_dx10_clamp 1
		.amdhsa_ieee_mode 1
		.amdhsa_fp16_overflow 0
		.amdhsa_workgroup_processor_mode 1
		.amdhsa_memory_ordered 1
		.amdhsa_forward_progress 1
		.amdhsa_shared_vgpr_count 0
		.amdhsa_exception_fp_ieee_invalid_op 0
		.amdhsa_exception_fp_denorm_src 0
		.amdhsa_exception_fp_ieee_div_zero 0
		.amdhsa_exception_fp_ieee_overflow 0
		.amdhsa_exception_fp_ieee_underflow 0
		.amdhsa_exception_fp_ieee_inexact 0
		.amdhsa_exception_int_div_zero 0
	.end_amdhsa_kernel
	.section	.text._ZL29rocblas_internal_gemmt_kernelIiLi16ELi32ELi8ELc78ELc84ELc85ELb0ELb0EfPKfPKS1_PKPfEviT_T9_T10_S7_lS9_S7_lS8_T11_S7_li,"axG",@progbits,_ZL29rocblas_internal_gemmt_kernelIiLi16ELi32ELi8ELc78ELc84ELc85ELb0ELb0EfPKfPKS1_PKPfEviT_T9_T10_S7_lS9_S7_lS8_T11_S7_li,comdat
.Lfunc_end289:
	.size	_ZL29rocblas_internal_gemmt_kernelIiLi16ELi32ELi8ELc78ELc84ELc85ELb0ELb0EfPKfPKS1_PKPfEviT_T9_T10_S7_lS9_S7_lS8_T11_S7_li, .Lfunc_end289-_ZL29rocblas_internal_gemmt_kernelIiLi16ELi32ELi8ELc78ELc84ELc85ELb0ELb0EfPKfPKS1_PKPfEviT_T9_T10_S7_lS9_S7_lS8_T11_S7_li
                                        ; -- End function
	.set _ZL29rocblas_internal_gemmt_kernelIiLi16ELi32ELi8ELc78ELc84ELc85ELb0ELb0EfPKfPKS1_PKPfEviT_T9_T10_S7_lS9_S7_lS8_T11_S7_li.num_vgpr, 42
	.set _ZL29rocblas_internal_gemmt_kernelIiLi16ELi32ELi8ELc78ELc84ELc85ELb0ELb0EfPKfPKS1_PKPfEviT_T9_T10_S7_lS9_S7_lS8_T11_S7_li.num_agpr, 0
	.set _ZL29rocblas_internal_gemmt_kernelIiLi16ELi32ELi8ELc78ELc84ELc85ELb0ELb0EfPKfPKS1_PKPfEviT_T9_T10_S7_lS9_S7_lS8_T11_S7_li.numbered_sgpr, 27
	.set _ZL29rocblas_internal_gemmt_kernelIiLi16ELi32ELi8ELc78ELc84ELc85ELb0ELb0EfPKfPKS1_PKPfEviT_T9_T10_S7_lS9_S7_lS8_T11_S7_li.num_named_barrier, 0
	.set _ZL29rocblas_internal_gemmt_kernelIiLi16ELi32ELi8ELc78ELc84ELc85ELb0ELb0EfPKfPKS1_PKPfEviT_T9_T10_S7_lS9_S7_lS8_T11_S7_li.private_seg_size, 0
	.set _ZL29rocblas_internal_gemmt_kernelIiLi16ELi32ELi8ELc78ELc84ELc85ELb0ELb0EfPKfPKS1_PKPfEviT_T9_T10_S7_lS9_S7_lS8_T11_S7_li.uses_vcc, 1
	.set _ZL29rocblas_internal_gemmt_kernelIiLi16ELi32ELi8ELc78ELc84ELc85ELb0ELb0EfPKfPKS1_PKPfEviT_T9_T10_S7_lS9_S7_lS8_T11_S7_li.uses_flat_scratch, 0
	.set _ZL29rocblas_internal_gemmt_kernelIiLi16ELi32ELi8ELc78ELc84ELc85ELb0ELb0EfPKfPKS1_PKPfEviT_T9_T10_S7_lS9_S7_lS8_T11_S7_li.has_dyn_sized_stack, 0
	.set _ZL29rocblas_internal_gemmt_kernelIiLi16ELi32ELi8ELc78ELc84ELc85ELb0ELb0EfPKfPKS1_PKPfEviT_T9_T10_S7_lS9_S7_lS8_T11_S7_li.has_recursion, 0
	.set _ZL29rocblas_internal_gemmt_kernelIiLi16ELi32ELi8ELc78ELc84ELc85ELb0ELb0EfPKfPKS1_PKPfEviT_T9_T10_S7_lS9_S7_lS8_T11_S7_li.has_indirect_call, 0
	.section	.AMDGPU.csdata,"",@progbits
; Kernel info:
; codeLenInByte = 1448
; TotalNumSgprs: 29
; NumVgprs: 42
; ScratchSize: 0
; MemoryBound: 0
; FloatMode: 240
; IeeeMode: 1
; LDSByteSize: 2048 bytes/workgroup (compile time only)
; SGPRBlocks: 0
; VGPRBlocks: 5
; NumSGPRsForWavesPerEU: 29
; NumVGPRsForWavesPerEU: 42
; Occupancy: 16
; WaveLimiterHint : 1
; COMPUTE_PGM_RSRC2:SCRATCH_EN: 0
; COMPUTE_PGM_RSRC2:USER_SGPR: 6
; COMPUTE_PGM_RSRC2:TRAP_HANDLER: 0
; COMPUTE_PGM_RSRC2:TGID_X_EN: 1
; COMPUTE_PGM_RSRC2:TGID_Y_EN: 1
; COMPUTE_PGM_RSRC2:TGID_Z_EN: 1
; COMPUTE_PGM_RSRC2:TIDIG_COMP_CNT: 1
	.section	.text._ZL29rocblas_internal_gemmt_kernelIiLi16ELi32ELi8ELc78ELc67ELc85ELb0ELb0EfPKfPKS1_PKPfEviT_T9_T10_S7_lS9_S7_lS8_T11_S7_li,"axG",@progbits,_ZL29rocblas_internal_gemmt_kernelIiLi16ELi32ELi8ELc78ELc67ELc85ELb0ELb0EfPKfPKS1_PKPfEviT_T9_T10_S7_lS9_S7_lS8_T11_S7_li,comdat
	.globl	_ZL29rocblas_internal_gemmt_kernelIiLi16ELi32ELi8ELc78ELc67ELc85ELb0ELb0EfPKfPKS1_PKPfEviT_T9_T10_S7_lS9_S7_lS8_T11_S7_li ; -- Begin function _ZL29rocblas_internal_gemmt_kernelIiLi16ELi32ELi8ELc78ELc67ELc85ELb0ELb0EfPKfPKS1_PKPfEviT_T9_T10_S7_lS9_S7_lS8_T11_S7_li
	.p2align	8
	.type	_ZL29rocblas_internal_gemmt_kernelIiLi16ELi32ELi8ELc78ELc67ELc85ELb0ELb0EfPKfPKS1_PKPfEviT_T9_T10_S7_lS9_S7_lS8_T11_S7_li,@function
_ZL29rocblas_internal_gemmt_kernelIiLi16ELi32ELi8ELc78ELc67ELc85ELb0ELb0EfPKfPKS1_PKPfEviT_T9_T10_S7_lS9_S7_lS8_T11_S7_li: ; @_ZL29rocblas_internal_gemmt_kernelIiLi16ELi32ELi8ELc78ELc67ELc85ELb0ELb0EfPKfPKS1_PKPfEviT_T9_T10_S7_lS9_S7_lS8_T11_S7_li
; %bb.0:
	s_clause 0x1
	s_load_dwordx4 s[12:15], s[4:5], 0x38
	s_load_dwordx4 s[0:3], s[4:5], 0x8
	s_waitcnt lgkmcnt(0)
	s_load_dword s24, s[14:15], 0x0
	s_load_dwordx2 s[10:11], s[4:5], 0x0
	s_load_dword s25, s[0:1], 0x0
	s_waitcnt lgkmcnt(0)
	v_cmp_neq_f32_e64 s0, s24, 1.0
	s_and_b32 vcc_lo, exec_lo, s0
	s_cbranch_vccnz .LBB290_2
; %bb.1:
	v_cmp_neq_f32_e64 s0, s25, 0
	s_cmp_lg_u32 s11, 0
	s_cselect_b32 s1, -1, 0
	s_and_b32 s0, s1, s0
.LBB290_2:
	s_andn2_b32 vcc_lo, exec_lo, s0
	s_cbranch_vccnz .LBB290_26
; %bb.3:
	s_load_dwordx2 s[0:1], s[4:5], 0x48
	s_mov_b32 s9, 0
	v_mov_b32_e32 v13, 0
	s_lshl_b64 s[22:23], s[8:9], 3
	v_mov_b32_e32 v9, 0
	v_mov_b32_e32 v7, 0
	;; [unrolled: 1-line block ×3, first 2 shown]
	s_waitcnt lgkmcnt(0)
	s_add_u32 s0, s0, s22
	s_addc_u32 s1, s1, s23
	s_lshl_b32 s8, s6, 5
	s_load_dwordx2 s[14:15], s[0:1], 0x0
	s_lshl_b32 s26, s7, 5
	v_cmp_eq_f32_e64 s0, s25, 0
	s_cmp_lt_i32 s11, 1
	s_cselect_b32 s1, -1, 0
	s_or_b32 s0, s0, s1
	s_and_b32 vcc_lo, exec_lo, s0
	s_cbranch_vccnz .LBB290_10
; %bb.4:
	s_clause 0x2
	s_load_dword s6, s[4:5], 0x18
	s_load_dword s20, s[4:5], 0x30
	s_load_dwordx4 s[16:19], s[4:5], 0x20
	v_lshl_add_u32 v2, v1, 4, v0
	v_and_b32_e32 v8, 7, v0
	v_lshlrev_b32_e32 v14, 2, v0
	v_lshl_add_u32 v15, v1, 5, 0x400
	v_and_b32_e32 v9, 31, v2
	v_lshrrev_b32_e32 v3, 3, v2
	v_lshlrev_b32_e32 v4, 2, v8
	v_lshrrev_b32_e32 v10, 5, v2
	v_or_b32_e32 v5, s8, v9
	v_lshlrev_b32_e32 v6, 2, v9
	v_add_nc_u32_e32 v2, s26, v3
	v_lshl_or_b32 v3, v3, 5, v4
	v_add_nc_u32_e32 v16, s8, v9
	v_cmp_gt_i32_e32 vcc_lo, s10, v5
	v_lshl_or_b32 v11, v10, 7, v6
	s_waitcnt lgkmcnt(0)
	v_mad_i64_i32 v[4:5], null, v10, s6, 0
	s_ashr_i32 s7, s6, 31
	s_ashr_i32 s21, s20, 31
	s_add_u32 s18, s18, s22
	s_addc_u32 s19, s19, s23
	s_add_u32 s2, s2, s22
	v_mad_i64_i32 v[6:7], null, s20, v8, 0
	s_addc_u32 s3, s3, s23
	s_load_dwordx2 s[18:19], s[18:19], 0x0
	s_load_dwordx2 s[2:3], s[2:3], 0x0
	v_lshlrev_b64 v[4:5], 2, v[4:5]
	v_ashrrev_i32_e32 v17, 31, v16
	s_lshl_b64 s[16:17], s[16:17], 2
	v_add_nc_u32_e32 v12, 0x400, v3
	v_ashrrev_i32_e32 v3, 31, v2
	v_lshlrev_b64 v[6:7], 2, v[6:7]
	v_add_co_u32 v9, s1, v4, s16
	v_add_co_ci_u32_e64 v13, null, s17, v5, s1
	v_lshlrev_b64 v[4:5], 2, v[16:17]
	s_lshl_b64 s[12:13], s[12:13], 2
	v_cmp_gt_i32_e64 s0, s10, v2
	v_lshlrev_b64 v[2:3], 2, v[2:3]
	v_add_co_u32 v6, s1, v6, s12
	v_add_co_ci_u32_e64 v7, null, s13, v7, s1
	v_add_co_u32 v4, s1, v9, v4
	v_add_co_ci_u32_e64 v5, null, v13, v5, s1
	;; [unrolled: 2-line block ×3, first 2 shown]
	s_waitcnt lgkmcnt(0)
	v_add_co_u32 v2, s1, s2, v4
	v_add_co_ci_u32_e64 v3, null, s3, v5, s1
	v_add_co_u32 v4, s1, s18, v6
	v_add_co_ci_u32_e64 v5, null, s19, v7, s1
	v_mov_b32_e32 v6, 0
	v_mov_b32_e32 v7, 0
	;; [unrolled: 1-line block ×4, first 2 shown]
	s_lshl_b64 s[2:3], s[6:7], 5
	s_lshl_b64 s[6:7], s[20:21], 5
	s_branch .LBB290_6
.LBB290_5:                              ;   in Loop: Header=BB290_6 Depth=1
	s_or_b32 exec_lo, exec_lo, s1
	s_waitcnt vmcnt(0) lgkmcnt(0)
	ds_write_b32 v12, v17
	s_waitcnt lgkmcnt(0)
	s_barrier
	buffer_gl0_inv
	ds_read_b128 v[16:19], v15
	ds_read2_b32 v[32:33], v14 offset1:16
	ds_read_b128 v[20:23], v15 offset:512
	ds_read2_b32 v[34:35], v14 offset0:32 offset1:48
	ds_read2_b32 v[36:37], v14 offset0:64 offset1:80
	;; [unrolled: 1-line block ×3, first 2 shown]
	ds_read_b128 v[24:27], v15 offset:16
	ds_read2_b32 v[40:41], v14 offset0:128 offset1:144
	ds_read_b128 v[28:31], v15 offset:528
	v_add_co_u32 v2, s1, v2, s2
	v_add_co_ci_u32_e64 v3, null, s3, v3, s1
	v_add_co_u32 v4, s1, v4, s6
	v_add_co_ci_u32_e64 v5, null, s7, v5, s1
	s_add_i32 s9, s9, 8
	s_cmp_lt_i32 s9, s11
	s_waitcnt lgkmcnt(7)
	v_fmac_f32_e32 v13, v32, v16
	v_fmac_f32_e32 v9, v33, v16
	s_waitcnt lgkmcnt(6)
	v_fmac_f32_e32 v7, v32, v20
	v_fmac_f32_e32 v6, v33, v20
	ds_read2_b32 v[32:33], v14 offset0:160 offset1:176
	s_waitcnt lgkmcnt(6)
	v_fmac_f32_e32 v13, v34, v17
	v_fmac_f32_e32 v9, v35, v17
	v_fmac_f32_e32 v7, v34, v21
	v_fmac_f32_e32 v6, v35, v21
	ds_read2_b32 v[16:17], v14 offset0:192 offset1:208
	s_waitcnt lgkmcnt(6)
	v_fmac_f32_e32 v13, v36, v18
	v_fmac_f32_e32 v9, v37, v18
	;; [unrolled: 6-line block ×3, first 2 shown]
	v_fmac_f32_e32 v7, v38, v23
	v_fmac_f32_e32 v6, v39, v23
	s_waitcnt lgkmcnt(0)
	v_fmac_f32_e32 v13, v40, v24
	v_fmac_f32_e32 v9, v41, v24
	;; [unrolled: 1-line block ×4, first 2 shown]
	s_barrier
	v_fmac_f32_e32 v13, v32, v25
	v_fmac_f32_e32 v9, v33, v25
	;; [unrolled: 1-line block ×4, first 2 shown]
	buffer_gl0_inv
	v_fmac_f32_e32 v13, v16, v26
	v_fmac_f32_e32 v9, v17, v26
	;; [unrolled: 1-line block ×8, first 2 shown]
	s_cbranch_scc0 .LBB290_10
.LBB290_6:                              ; =>This Inner Loop Header: Depth=1
	v_add_nc_u32_e32 v16, s9, v10
	v_cmp_gt_i32_e64 s1, s11, v16
	v_mov_b32_e32 v16, 0
	s_and_b32 s12, vcc_lo, s1
	s_and_saveexec_b32 s1, s12
	s_cbranch_execz .LBB290_8
; %bb.7:                                ;   in Loop: Header=BB290_6 Depth=1
	flat_load_dword v16, v[2:3]
.LBB290_8:                              ;   in Loop: Header=BB290_6 Depth=1
	s_or_b32 exec_lo, exec_lo, s1
	v_add_nc_u32_e32 v17, s9, v8
	s_waitcnt vmcnt(0) lgkmcnt(0)
	ds_write_b32 v11, v16
	v_cmp_gt_i32_e64 s1, s11, v17
	v_mov_b32_e32 v17, 0
	s_and_b32 s12, s1, s0
	s_and_saveexec_b32 s1, s12
	s_cbranch_execz .LBB290_5
; %bb.9:                                ;   in Loop: Header=BB290_6 Depth=1
	flat_load_dword v17, v[4:5]
	s_branch .LBB290_5
.LBB290_10:
	s_clause 0x1
	s_load_dword s2, s[4:5], 0x50
	s_load_dwordx2 s[4:5], s[4:5], 0x58
	v_add_nc_u32_e32 v10, s26, v1
	v_add_nc_u32_e32 v0, s8, v0
	v_cmp_gt_i32_e64 s0, s10, v10
	v_cmp_le_i32_e32 vcc_lo, v0, v10
	s_waitcnt lgkmcnt(0)
	v_mad_i64_i32 v[1:2], null, v10, s2, 0
	s_lshl_b64 s[4:5], s[4:5], 2
	s_add_u32 s3, s14, s4
	s_addc_u32 s4, s15, s5
	v_cmp_neq_f32_e64 s5, s24, 0
	s_and_b32 s6, s0, vcc_lo
	v_lshlrev_b64 v[2:3], 2, v[1:2]
	v_ashrrev_i32_e32 v1, 31, v0
	v_cndmask_b32_e64 v8, 0, 1, s5
	v_add_co_u32 v4, s1, s3, v2
	v_add_co_ci_u32_e64 v5, null, s4, v3, s1
	s_and_saveexec_b32 s1, s6
	s_cbranch_execz .LBB290_14
; %bb.11:
	v_lshlrev_b64 v[2:3], 2, v[0:1]
	v_mul_f32_e32 v11, s25, v13
	v_add_co_u32 v2, vcc_lo, v4, v2
	v_add_co_ci_u32_e64 v3, null, v5, v3, vcc_lo
	s_andn2_b32 vcc_lo, exec_lo, s5
	s_cbranch_vccnz .LBB290_13
; %bb.12:
	flat_load_dword v12, v[2:3]
	s_waitcnt vmcnt(0) lgkmcnt(0)
	v_fmac_f32_e32 v11, s24, v12
.LBB290_13:
	flat_store_dword v[2:3], v11
.LBB290_14:
	s_or_b32 exec_lo, exec_lo, s1
	v_add_nc_u32_e32 v2, 16, v0
	v_cmp_le_i32_e32 vcc_lo, v2, v10
	v_ashrrev_i32_e32 v3, 31, v2
	s_and_b32 s0, s0, vcc_lo
	s_and_saveexec_b32 s1, s0
	s_cbranch_execz .LBB290_18
; %bb.15:
	v_lshlrev_b64 v[11:12], 2, v[2:3]
	v_cmp_ne_u32_e32 vcc_lo, 1, v8
	v_mul_f32_e32 v9, s25, v9
	v_add_co_u32 v4, s0, v4, v11
	v_add_co_ci_u32_e64 v5, null, v5, v12, s0
	s_cbranch_vccnz .LBB290_17
; %bb.16:
	flat_load_dword v11, v[4:5]
	s_waitcnt vmcnt(0) lgkmcnt(0)
	v_fmac_f32_e32 v9, s24, v11
.LBB290_17:
	flat_store_dword v[4:5], v9
.LBB290_18:
	s_or_b32 exec_lo, exec_lo, s1
	v_add_nc_u32_e32 v9, 16, v10
	v_mad_i64_i32 v[4:5], null, v9, s2, 0
	v_cmp_gt_i32_e64 s0, s10, v9
	v_cmp_le_i32_e32 vcc_lo, v0, v9
	v_lshlrev_b64 v[4:5], 2, v[4:5]
	v_add_co_u32 v4, s1, s3, v4
	v_add_co_ci_u32_e64 v5, null, s4, v5, s1
	s_and_b32 s1, s0, vcc_lo
	s_and_saveexec_b32 s2, s1
	s_cbranch_execz .LBB290_22
; %bb.19:
	v_lshlrev_b64 v[0:1], 2, v[0:1]
	v_cmp_ne_u32_e32 vcc_lo, 1, v8
	v_mul_f32_e32 v7, s25, v7
	v_add_co_u32 v0, s1, v4, v0
	v_add_co_ci_u32_e64 v1, null, v5, v1, s1
	s_cbranch_vccnz .LBB290_21
; %bb.20:
	flat_load_dword v10, v[0:1]
	s_waitcnt vmcnt(0) lgkmcnt(0)
	v_fmac_f32_e32 v7, s24, v10
.LBB290_21:
	flat_store_dword v[0:1], v7
.LBB290_22:
	s_or_b32 exec_lo, exec_lo, s2
	v_cmp_le_i32_e32 vcc_lo, v2, v9
	s_and_b32 s0, s0, vcc_lo
	s_and_saveexec_b32 s1, s0
	s_cbranch_execz .LBB290_26
; %bb.23:
	v_lshlrev_b64 v[0:1], 2, v[2:3]
	v_cmp_ne_u32_e32 vcc_lo, 1, v8
	v_mul_f32_e32 v2, s25, v6
	v_add_co_u32 v0, s0, v4, v0
	v_add_co_ci_u32_e64 v1, null, v5, v1, s0
	s_cbranch_vccnz .LBB290_25
; %bb.24:
	flat_load_dword v3, v[0:1]
	s_waitcnt vmcnt(0) lgkmcnt(0)
	v_fmac_f32_e32 v2, s24, v3
.LBB290_25:
	flat_store_dword v[0:1], v2
.LBB290_26:
	s_endpgm
	.section	.rodata,"a",@progbits
	.p2align	6, 0x0
	.amdhsa_kernel _ZL29rocblas_internal_gemmt_kernelIiLi16ELi32ELi8ELc78ELc67ELc85ELb0ELb0EfPKfPKS1_PKPfEviT_T9_T10_S7_lS9_S7_lS8_T11_S7_li
		.amdhsa_group_segment_fixed_size 2048
		.amdhsa_private_segment_fixed_size 0
		.amdhsa_kernarg_size 100
		.amdhsa_user_sgpr_count 6
		.amdhsa_user_sgpr_private_segment_buffer 1
		.amdhsa_user_sgpr_dispatch_ptr 0
		.amdhsa_user_sgpr_queue_ptr 0
		.amdhsa_user_sgpr_kernarg_segment_ptr 1
		.amdhsa_user_sgpr_dispatch_id 0
		.amdhsa_user_sgpr_flat_scratch_init 0
		.amdhsa_user_sgpr_private_segment_size 0
		.amdhsa_wavefront_size32 1
		.amdhsa_uses_dynamic_stack 0
		.amdhsa_system_sgpr_private_segment_wavefront_offset 0
		.amdhsa_system_sgpr_workgroup_id_x 1
		.amdhsa_system_sgpr_workgroup_id_y 1
		.amdhsa_system_sgpr_workgroup_id_z 1
		.amdhsa_system_sgpr_workgroup_info 0
		.amdhsa_system_vgpr_workitem_id 1
		.amdhsa_next_free_vgpr 42
		.amdhsa_next_free_sgpr 27
		.amdhsa_reserve_vcc 1
		.amdhsa_reserve_flat_scratch 0
		.amdhsa_float_round_mode_32 0
		.amdhsa_float_round_mode_16_64 0
		.amdhsa_float_denorm_mode_32 3
		.amdhsa_float_denorm_mode_16_64 3
		.amdhsa_dx10_clamp 1
		.amdhsa_ieee_mode 1
		.amdhsa_fp16_overflow 0
		.amdhsa_workgroup_processor_mode 1
		.amdhsa_memory_ordered 1
		.amdhsa_forward_progress 1
		.amdhsa_shared_vgpr_count 0
		.amdhsa_exception_fp_ieee_invalid_op 0
		.amdhsa_exception_fp_denorm_src 0
		.amdhsa_exception_fp_ieee_div_zero 0
		.amdhsa_exception_fp_ieee_overflow 0
		.amdhsa_exception_fp_ieee_underflow 0
		.amdhsa_exception_fp_ieee_inexact 0
		.amdhsa_exception_int_div_zero 0
	.end_amdhsa_kernel
	.section	.text._ZL29rocblas_internal_gemmt_kernelIiLi16ELi32ELi8ELc78ELc67ELc85ELb0ELb0EfPKfPKS1_PKPfEviT_T9_T10_S7_lS9_S7_lS8_T11_S7_li,"axG",@progbits,_ZL29rocblas_internal_gemmt_kernelIiLi16ELi32ELi8ELc78ELc67ELc85ELb0ELb0EfPKfPKS1_PKPfEviT_T9_T10_S7_lS9_S7_lS8_T11_S7_li,comdat
.Lfunc_end290:
	.size	_ZL29rocblas_internal_gemmt_kernelIiLi16ELi32ELi8ELc78ELc67ELc85ELb0ELb0EfPKfPKS1_PKPfEviT_T9_T10_S7_lS9_S7_lS8_T11_S7_li, .Lfunc_end290-_ZL29rocblas_internal_gemmt_kernelIiLi16ELi32ELi8ELc78ELc67ELc85ELb0ELb0EfPKfPKS1_PKPfEviT_T9_T10_S7_lS9_S7_lS8_T11_S7_li
                                        ; -- End function
	.set _ZL29rocblas_internal_gemmt_kernelIiLi16ELi32ELi8ELc78ELc67ELc85ELb0ELb0EfPKfPKS1_PKPfEviT_T9_T10_S7_lS9_S7_lS8_T11_S7_li.num_vgpr, 42
	.set _ZL29rocblas_internal_gemmt_kernelIiLi16ELi32ELi8ELc78ELc67ELc85ELb0ELb0EfPKfPKS1_PKPfEviT_T9_T10_S7_lS9_S7_lS8_T11_S7_li.num_agpr, 0
	.set _ZL29rocblas_internal_gemmt_kernelIiLi16ELi32ELi8ELc78ELc67ELc85ELb0ELb0EfPKfPKS1_PKPfEviT_T9_T10_S7_lS9_S7_lS8_T11_S7_li.numbered_sgpr, 27
	.set _ZL29rocblas_internal_gemmt_kernelIiLi16ELi32ELi8ELc78ELc67ELc85ELb0ELb0EfPKfPKS1_PKPfEviT_T9_T10_S7_lS9_S7_lS8_T11_S7_li.num_named_barrier, 0
	.set _ZL29rocblas_internal_gemmt_kernelIiLi16ELi32ELi8ELc78ELc67ELc85ELb0ELb0EfPKfPKS1_PKPfEviT_T9_T10_S7_lS9_S7_lS8_T11_S7_li.private_seg_size, 0
	.set _ZL29rocblas_internal_gemmt_kernelIiLi16ELi32ELi8ELc78ELc67ELc85ELb0ELb0EfPKfPKS1_PKPfEviT_T9_T10_S7_lS9_S7_lS8_T11_S7_li.uses_vcc, 1
	.set _ZL29rocblas_internal_gemmt_kernelIiLi16ELi32ELi8ELc78ELc67ELc85ELb0ELb0EfPKfPKS1_PKPfEviT_T9_T10_S7_lS9_S7_lS8_T11_S7_li.uses_flat_scratch, 0
	.set _ZL29rocblas_internal_gemmt_kernelIiLi16ELi32ELi8ELc78ELc67ELc85ELb0ELb0EfPKfPKS1_PKPfEviT_T9_T10_S7_lS9_S7_lS8_T11_S7_li.has_dyn_sized_stack, 0
	.set _ZL29rocblas_internal_gemmt_kernelIiLi16ELi32ELi8ELc78ELc67ELc85ELb0ELb0EfPKfPKS1_PKPfEviT_T9_T10_S7_lS9_S7_lS8_T11_S7_li.has_recursion, 0
	.set _ZL29rocblas_internal_gemmt_kernelIiLi16ELi32ELi8ELc78ELc67ELc85ELb0ELb0EfPKfPKS1_PKPfEviT_T9_T10_S7_lS9_S7_lS8_T11_S7_li.has_indirect_call, 0
	.section	.AMDGPU.csdata,"",@progbits
; Kernel info:
; codeLenInByte = 1448
; TotalNumSgprs: 29
; NumVgprs: 42
; ScratchSize: 0
; MemoryBound: 0
; FloatMode: 240
; IeeeMode: 1
; LDSByteSize: 2048 bytes/workgroup (compile time only)
; SGPRBlocks: 0
; VGPRBlocks: 5
; NumSGPRsForWavesPerEU: 29
; NumVGPRsForWavesPerEU: 42
; Occupancy: 16
; WaveLimiterHint : 1
; COMPUTE_PGM_RSRC2:SCRATCH_EN: 0
; COMPUTE_PGM_RSRC2:USER_SGPR: 6
; COMPUTE_PGM_RSRC2:TRAP_HANDLER: 0
; COMPUTE_PGM_RSRC2:TGID_X_EN: 1
; COMPUTE_PGM_RSRC2:TGID_Y_EN: 1
; COMPUTE_PGM_RSRC2:TGID_Z_EN: 1
; COMPUTE_PGM_RSRC2:TIDIG_COMP_CNT: 1
	.section	.text._ZL29rocblas_internal_gemmt_kernelIiLi16ELi32ELi8ELc84ELc78ELc85ELb0ELb0EfPKfPKS1_PKPfEviT_T9_T10_S7_lS9_S7_lS8_T11_S7_li,"axG",@progbits,_ZL29rocblas_internal_gemmt_kernelIiLi16ELi32ELi8ELc84ELc78ELc85ELb0ELb0EfPKfPKS1_PKPfEviT_T9_T10_S7_lS9_S7_lS8_T11_S7_li,comdat
	.globl	_ZL29rocblas_internal_gemmt_kernelIiLi16ELi32ELi8ELc84ELc78ELc85ELb0ELb0EfPKfPKS1_PKPfEviT_T9_T10_S7_lS9_S7_lS8_T11_S7_li ; -- Begin function _ZL29rocblas_internal_gemmt_kernelIiLi16ELi32ELi8ELc84ELc78ELc85ELb0ELb0EfPKfPKS1_PKPfEviT_T9_T10_S7_lS9_S7_lS8_T11_S7_li
	.p2align	8
	.type	_ZL29rocblas_internal_gemmt_kernelIiLi16ELi32ELi8ELc84ELc78ELc85ELb0ELb0EfPKfPKS1_PKPfEviT_T9_T10_S7_lS9_S7_lS8_T11_S7_li,@function
_ZL29rocblas_internal_gemmt_kernelIiLi16ELi32ELi8ELc84ELc78ELc85ELb0ELb0EfPKfPKS1_PKPfEviT_T9_T10_S7_lS9_S7_lS8_T11_S7_li: ; @_ZL29rocblas_internal_gemmt_kernelIiLi16ELi32ELi8ELc84ELc78ELc85ELb0ELb0EfPKfPKS1_PKPfEviT_T9_T10_S7_lS9_S7_lS8_T11_S7_li
; %bb.0:
	s_clause 0x1
	s_load_dwordx4 s[12:15], s[4:5], 0x38
	s_load_dwordx4 s[0:3], s[4:5], 0x8
	s_waitcnt lgkmcnt(0)
	s_load_dword s22, s[14:15], 0x0
	s_load_dwordx2 s[10:11], s[4:5], 0x0
	s_load_dword s23, s[0:1], 0x0
	s_waitcnt lgkmcnt(0)
	v_cmp_neq_f32_e64 s0, s22, 1.0
	s_and_b32 vcc_lo, exec_lo, s0
	s_cbranch_vccnz .LBB291_2
; %bb.1:
	v_cmp_neq_f32_e64 s0, s23, 0
	s_cmp_lg_u32 s11, 0
	s_cselect_b32 s1, -1, 0
	s_and_b32 s0, s1, s0
.LBB291_2:
	s_andn2_b32 vcc_lo, exec_lo, s0
	s_cbranch_vccnz .LBB291_26
; %bb.3:
	s_load_dwordx2 s[0:1], s[4:5], 0x48
	s_mov_b32 s9, 0
	v_mov_b32_e32 v11, 0
	s_lshl_b64 s[20:21], s[8:9], 3
	v_mov_b32_e32 v8, 0
	v_mov_b32_e32 v7, 0
	;; [unrolled: 1-line block ×3, first 2 shown]
	s_waitcnt lgkmcnt(0)
	s_add_u32 s0, s0, s20
	s_addc_u32 s1, s1, s21
	s_lshl_b32 s6, s6, 5
	s_load_dwordx2 s[14:15], s[0:1], 0x0
	s_lshl_b32 s7, s7, 5
	v_cmp_eq_f32_e64 s0, s23, 0
	s_cmp_lt_i32 s11, 1
	s_cselect_b32 s1, -1, 0
	s_or_b32 s0, s0, s1
	s_and_b32 vcc_lo, exec_lo, s0
	s_cbranch_vccnz .LBB291_10
; %bb.4:
	s_clause 0x2
	s_load_dword s1, s[4:5], 0x18
	s_load_dwordx4 s[16:19], s[4:5], 0x20
	s_load_dword s8, s[4:5], 0x30
	v_lshl_add_u32 v2, v1, 4, v0
	v_and_b32_e32 v9, 7, v0
	v_lshlrev_b32_e32 v10, 2, v0
	v_lshl_add_u32 v12, v1, 5, 0x400
	v_mov_b32_e32 v11, 0
	v_and_b32_e32 v3, 31, v2
	v_lshrrev_b32_e32 v4, 3, v2
	v_lshlrev_b32_e32 v7, 2, v9
	v_lshrrev_b32_e32 v13, 5, v2
	v_or_b32_e32 v2, s6, v3
	v_lshlrev_b32_e32 v5, 2, v3
	v_add_nc_u32_e32 v3, s6, v3
	v_add_nc_u32_e32 v6, s7, v4
	v_lshl_or_b32 v4, v4, 5, v7
	v_cmp_gt_i32_e32 vcc_lo, s10, v2
	v_lshl_or_b32 v14, v13, 7, v5
	s_waitcnt lgkmcnt(0)
	v_mad_i64_i32 v[2:3], null, s1, v3, 0
	s_add_u32 s18, s18, s20
	s_addc_u32 s19, s19, s21
	s_add_u32 s2, s2, s20
	v_add_nc_u32_e32 v15, 0x400, v4
	v_mad_i64_i32 v[4:5], null, s8, v6, 0
	s_addc_u32 s3, s3, s21
	s_load_dwordx2 s[18:19], s[18:19], 0x0
	s_load_dwordx2 s[2:3], s[2:3], 0x0
	v_lshlrev_b64 v[2:3], 2, v[2:3]
	s_lshl_b64 s[16:17], s[16:17], 2
	v_lshlrev_b32_e32 v8, 2, v13
	v_lshlrev_b64 v[4:5], 2, v[4:5]
	s_lshl_b64 s[12:13], s[12:13], 2
	v_cmp_gt_i32_e64 s0, s10, v6
	v_add_co_u32 v2, s1, v2, s16
	v_add_co_ci_u32_e64 v3, null, s17, v3, s1
	v_add_co_u32 v4, s1, v4, s12
	v_add_co_ci_u32_e64 v5, null, s13, v5, s1
	;; [unrolled: 2-line block ×4, first 2 shown]
	s_waitcnt lgkmcnt(0)
	v_add_co_u32 v2, s1, s2, v2
	v_add_co_ci_u32_e64 v3, null, s3, v3, s1
	v_add_co_u32 v4, s1, s18, v4
	v_mov_b32_e32 v6, 0
	v_add_co_ci_u32_e64 v5, null, s19, v5, s1
	v_mov_b32_e32 v7, 0
	v_mov_b32_e32 v8, 0
	s_branch .LBB291_6
.LBB291_5:                              ;   in Loop: Header=BB291_6 Depth=1
	s_or_b32 exec_lo, exec_lo, s1
	s_waitcnt vmcnt(0) lgkmcnt(0)
	ds_write_b32 v15, v17
	s_waitcnt lgkmcnt(0)
	s_barrier
	buffer_gl0_inv
	ds_read_b128 v[16:19], v12
	ds_read2_b32 v[32:33], v10 offset1:16
	ds_read_b128 v[20:23], v12 offset:512
	ds_read2_b32 v[34:35], v10 offset0:32 offset1:48
	ds_read2_b32 v[36:37], v10 offset0:64 offset1:80
	;; [unrolled: 1-line block ×3, first 2 shown]
	ds_read_b128 v[24:27], v12 offset:16
	ds_read2_b32 v[40:41], v10 offset0:128 offset1:144
	ds_read_b128 v[28:31], v12 offset:528
	v_add_co_u32 v2, s1, v2, 32
	v_add_co_ci_u32_e64 v3, null, 0, v3, s1
	v_add_co_u32 v4, s1, v4, 32
	v_add_co_ci_u32_e64 v5, null, 0, v5, s1
	s_add_i32 s9, s9, 8
	s_cmp_lt_i32 s9, s11
	s_waitcnt lgkmcnt(7)
	v_fmac_f32_e32 v11, v32, v16
	v_fmac_f32_e32 v8, v33, v16
	s_waitcnt lgkmcnt(6)
	v_fmac_f32_e32 v7, v32, v20
	v_fmac_f32_e32 v6, v33, v20
	ds_read2_b32 v[32:33], v10 offset0:160 offset1:176
	s_waitcnt lgkmcnt(6)
	v_fmac_f32_e32 v11, v34, v17
	v_fmac_f32_e32 v8, v35, v17
	v_fmac_f32_e32 v7, v34, v21
	v_fmac_f32_e32 v6, v35, v21
	ds_read2_b32 v[16:17], v10 offset0:192 offset1:208
	s_waitcnt lgkmcnt(6)
	v_fmac_f32_e32 v11, v36, v18
	v_fmac_f32_e32 v8, v37, v18
	;; [unrolled: 6-line block ×3, first 2 shown]
	v_fmac_f32_e32 v7, v38, v23
	v_fmac_f32_e32 v6, v39, v23
	s_waitcnt lgkmcnt(0)
	v_fmac_f32_e32 v11, v40, v24
	v_fmac_f32_e32 v8, v41, v24
	;; [unrolled: 1-line block ×4, first 2 shown]
	s_barrier
	v_fmac_f32_e32 v11, v32, v25
	v_fmac_f32_e32 v8, v33, v25
	;; [unrolled: 1-line block ×4, first 2 shown]
	buffer_gl0_inv
	v_fmac_f32_e32 v11, v16, v26
	v_fmac_f32_e32 v8, v17, v26
	;; [unrolled: 1-line block ×8, first 2 shown]
	s_cbranch_scc0 .LBB291_10
.LBB291_6:                              ; =>This Inner Loop Header: Depth=1
	v_add_nc_u32_e32 v16, s9, v13
	v_cmp_gt_i32_e64 s1, s11, v16
	v_mov_b32_e32 v16, 0
	s_and_b32 s2, vcc_lo, s1
	s_and_saveexec_b32 s1, s2
	s_cbranch_execz .LBB291_8
; %bb.7:                                ;   in Loop: Header=BB291_6 Depth=1
	flat_load_dword v16, v[2:3]
.LBB291_8:                              ;   in Loop: Header=BB291_6 Depth=1
	s_or_b32 exec_lo, exec_lo, s1
	v_add_nc_u32_e32 v17, s9, v9
	s_waitcnt vmcnt(0) lgkmcnt(0)
	ds_write_b32 v14, v16
	v_cmp_gt_i32_e64 s1, s11, v17
	v_mov_b32_e32 v17, 0
	s_and_b32 s2, s1, s0
	s_and_saveexec_b32 s1, s2
	s_cbranch_execz .LBB291_5
; %bb.9:                                ;   in Loop: Header=BB291_6 Depth=1
	flat_load_dword v17, v[4:5]
	s_branch .LBB291_5
.LBB291_10:
	s_clause 0x1
	s_load_dword s2, s[4:5], 0x50
	s_load_dwordx2 s[4:5], s[4:5], 0x58
	v_add_nc_u32_e32 v10, s7, v1
	v_add_nc_u32_e32 v0, s6, v0
	v_cmp_gt_i32_e64 s0, s10, v10
	v_cmp_le_i32_e32 vcc_lo, v0, v10
	s_waitcnt lgkmcnt(0)
	v_mad_i64_i32 v[1:2], null, v10, s2, 0
	s_lshl_b64 s[4:5], s[4:5], 2
	s_add_u32 s3, s14, s4
	s_addc_u32 s4, s15, s5
	v_cmp_neq_f32_e64 s5, s22, 0
	s_and_b32 s6, s0, vcc_lo
	v_lshlrev_b64 v[2:3], 2, v[1:2]
	v_ashrrev_i32_e32 v1, 31, v0
	v_cndmask_b32_e64 v9, 0, 1, s5
	v_add_co_u32 v4, s1, s3, v2
	v_add_co_ci_u32_e64 v5, null, s4, v3, s1
	s_and_saveexec_b32 s1, s6
	s_cbranch_execz .LBB291_14
; %bb.11:
	v_lshlrev_b64 v[2:3], 2, v[0:1]
	v_mul_f32_e32 v11, s23, v11
	v_add_co_u32 v2, vcc_lo, v4, v2
	v_add_co_ci_u32_e64 v3, null, v5, v3, vcc_lo
	s_andn2_b32 vcc_lo, exec_lo, s5
	s_cbranch_vccnz .LBB291_13
; %bb.12:
	flat_load_dword v12, v[2:3]
	s_waitcnt vmcnt(0) lgkmcnt(0)
	v_fmac_f32_e32 v11, s22, v12
.LBB291_13:
	flat_store_dword v[2:3], v11
.LBB291_14:
	s_or_b32 exec_lo, exec_lo, s1
	v_add_nc_u32_e32 v2, 16, v0
	v_cmp_le_i32_e32 vcc_lo, v2, v10
	v_ashrrev_i32_e32 v3, 31, v2
	s_and_b32 s0, s0, vcc_lo
	s_and_saveexec_b32 s1, s0
	s_cbranch_execz .LBB291_18
; %bb.15:
	v_lshlrev_b64 v[11:12], 2, v[2:3]
	v_cmp_ne_u32_e32 vcc_lo, 1, v9
	v_mul_f32_e32 v8, s23, v8
	v_add_co_u32 v4, s0, v4, v11
	v_add_co_ci_u32_e64 v5, null, v5, v12, s0
	s_cbranch_vccnz .LBB291_17
; %bb.16:
	flat_load_dword v11, v[4:5]
	s_waitcnt vmcnt(0) lgkmcnt(0)
	v_fmac_f32_e32 v8, s22, v11
.LBB291_17:
	flat_store_dword v[4:5], v8
.LBB291_18:
	s_or_b32 exec_lo, exec_lo, s1
	v_add_nc_u32_e32 v8, 16, v10
	v_mad_i64_i32 v[4:5], null, v8, s2, 0
	v_cmp_gt_i32_e64 s0, s10, v8
	v_cmp_le_i32_e32 vcc_lo, v0, v8
	v_lshlrev_b64 v[4:5], 2, v[4:5]
	v_add_co_u32 v4, s1, s3, v4
	v_add_co_ci_u32_e64 v5, null, s4, v5, s1
	s_and_b32 s1, s0, vcc_lo
	s_and_saveexec_b32 s2, s1
	s_cbranch_execz .LBB291_22
; %bb.19:
	v_lshlrev_b64 v[0:1], 2, v[0:1]
	v_cmp_ne_u32_e32 vcc_lo, 1, v9
	v_mul_f32_e32 v7, s23, v7
	v_add_co_u32 v0, s1, v4, v0
	v_add_co_ci_u32_e64 v1, null, v5, v1, s1
	s_cbranch_vccnz .LBB291_21
; %bb.20:
	flat_load_dword v10, v[0:1]
	s_waitcnt vmcnt(0) lgkmcnt(0)
	v_fmac_f32_e32 v7, s22, v10
.LBB291_21:
	flat_store_dword v[0:1], v7
.LBB291_22:
	s_or_b32 exec_lo, exec_lo, s2
	v_cmp_le_i32_e32 vcc_lo, v2, v8
	s_and_b32 s0, s0, vcc_lo
	s_and_saveexec_b32 s1, s0
	s_cbranch_execz .LBB291_26
; %bb.23:
	v_lshlrev_b64 v[0:1], 2, v[2:3]
	v_cmp_ne_u32_e32 vcc_lo, 1, v9
	v_mul_f32_e32 v2, s23, v6
	v_add_co_u32 v0, s0, v4, v0
	v_add_co_ci_u32_e64 v1, null, v5, v1, s0
	s_cbranch_vccnz .LBB291_25
; %bb.24:
	flat_load_dword v3, v[0:1]
	s_waitcnt vmcnt(0) lgkmcnt(0)
	v_fmac_f32_e32 v2, s22, v3
.LBB291_25:
	flat_store_dword v[0:1], v2
.LBB291_26:
	s_endpgm
	.section	.rodata,"a",@progbits
	.p2align	6, 0x0
	.amdhsa_kernel _ZL29rocblas_internal_gemmt_kernelIiLi16ELi32ELi8ELc84ELc78ELc85ELb0ELb0EfPKfPKS1_PKPfEviT_T9_T10_S7_lS9_S7_lS8_T11_S7_li
		.amdhsa_group_segment_fixed_size 2048
		.amdhsa_private_segment_fixed_size 0
		.amdhsa_kernarg_size 100
		.amdhsa_user_sgpr_count 6
		.amdhsa_user_sgpr_private_segment_buffer 1
		.amdhsa_user_sgpr_dispatch_ptr 0
		.amdhsa_user_sgpr_queue_ptr 0
		.amdhsa_user_sgpr_kernarg_segment_ptr 1
		.amdhsa_user_sgpr_dispatch_id 0
		.amdhsa_user_sgpr_flat_scratch_init 0
		.amdhsa_user_sgpr_private_segment_size 0
		.amdhsa_wavefront_size32 1
		.amdhsa_uses_dynamic_stack 0
		.amdhsa_system_sgpr_private_segment_wavefront_offset 0
		.amdhsa_system_sgpr_workgroup_id_x 1
		.amdhsa_system_sgpr_workgroup_id_y 1
		.amdhsa_system_sgpr_workgroup_id_z 1
		.amdhsa_system_sgpr_workgroup_info 0
		.amdhsa_system_vgpr_workitem_id 1
		.amdhsa_next_free_vgpr 42
		.amdhsa_next_free_sgpr 24
		.amdhsa_reserve_vcc 1
		.amdhsa_reserve_flat_scratch 0
		.amdhsa_float_round_mode_32 0
		.amdhsa_float_round_mode_16_64 0
		.amdhsa_float_denorm_mode_32 3
		.amdhsa_float_denorm_mode_16_64 3
		.amdhsa_dx10_clamp 1
		.amdhsa_ieee_mode 1
		.amdhsa_fp16_overflow 0
		.amdhsa_workgroup_processor_mode 1
		.amdhsa_memory_ordered 1
		.amdhsa_forward_progress 1
		.amdhsa_shared_vgpr_count 0
		.amdhsa_exception_fp_ieee_invalid_op 0
		.amdhsa_exception_fp_denorm_src 0
		.amdhsa_exception_fp_ieee_div_zero 0
		.amdhsa_exception_fp_ieee_overflow 0
		.amdhsa_exception_fp_ieee_underflow 0
		.amdhsa_exception_fp_ieee_inexact 0
		.amdhsa_exception_int_div_zero 0
	.end_amdhsa_kernel
	.section	.text._ZL29rocblas_internal_gemmt_kernelIiLi16ELi32ELi8ELc84ELc78ELc85ELb0ELb0EfPKfPKS1_PKPfEviT_T9_T10_S7_lS9_S7_lS8_T11_S7_li,"axG",@progbits,_ZL29rocblas_internal_gemmt_kernelIiLi16ELi32ELi8ELc84ELc78ELc85ELb0ELb0EfPKfPKS1_PKPfEviT_T9_T10_S7_lS9_S7_lS8_T11_S7_li,comdat
.Lfunc_end291:
	.size	_ZL29rocblas_internal_gemmt_kernelIiLi16ELi32ELi8ELc84ELc78ELc85ELb0ELb0EfPKfPKS1_PKPfEviT_T9_T10_S7_lS9_S7_lS8_T11_S7_li, .Lfunc_end291-_ZL29rocblas_internal_gemmt_kernelIiLi16ELi32ELi8ELc84ELc78ELc85ELb0ELb0EfPKfPKS1_PKPfEviT_T9_T10_S7_lS9_S7_lS8_T11_S7_li
                                        ; -- End function
	.set _ZL29rocblas_internal_gemmt_kernelIiLi16ELi32ELi8ELc84ELc78ELc85ELb0ELb0EfPKfPKS1_PKPfEviT_T9_T10_S7_lS9_S7_lS8_T11_S7_li.num_vgpr, 42
	.set _ZL29rocblas_internal_gemmt_kernelIiLi16ELi32ELi8ELc84ELc78ELc85ELb0ELb0EfPKfPKS1_PKPfEviT_T9_T10_S7_lS9_S7_lS8_T11_S7_li.num_agpr, 0
	.set _ZL29rocblas_internal_gemmt_kernelIiLi16ELi32ELi8ELc84ELc78ELc85ELb0ELb0EfPKfPKS1_PKPfEviT_T9_T10_S7_lS9_S7_lS8_T11_S7_li.numbered_sgpr, 24
	.set _ZL29rocblas_internal_gemmt_kernelIiLi16ELi32ELi8ELc84ELc78ELc85ELb0ELb0EfPKfPKS1_PKPfEviT_T9_T10_S7_lS9_S7_lS8_T11_S7_li.num_named_barrier, 0
	.set _ZL29rocblas_internal_gemmt_kernelIiLi16ELi32ELi8ELc84ELc78ELc85ELb0ELb0EfPKfPKS1_PKPfEviT_T9_T10_S7_lS9_S7_lS8_T11_S7_li.private_seg_size, 0
	.set _ZL29rocblas_internal_gemmt_kernelIiLi16ELi32ELi8ELc84ELc78ELc85ELb0ELb0EfPKfPKS1_PKPfEviT_T9_T10_S7_lS9_S7_lS8_T11_S7_li.uses_vcc, 1
	.set _ZL29rocblas_internal_gemmt_kernelIiLi16ELi32ELi8ELc84ELc78ELc85ELb0ELb0EfPKfPKS1_PKPfEviT_T9_T10_S7_lS9_S7_lS8_T11_S7_li.uses_flat_scratch, 0
	.set _ZL29rocblas_internal_gemmt_kernelIiLi16ELi32ELi8ELc84ELc78ELc85ELb0ELb0EfPKfPKS1_PKPfEviT_T9_T10_S7_lS9_S7_lS8_T11_S7_li.has_dyn_sized_stack, 0
	.set _ZL29rocblas_internal_gemmt_kernelIiLi16ELi32ELi8ELc84ELc78ELc85ELb0ELb0EfPKfPKS1_PKPfEviT_T9_T10_S7_lS9_S7_lS8_T11_S7_li.has_recursion, 0
	.set _ZL29rocblas_internal_gemmt_kernelIiLi16ELi32ELi8ELc84ELc78ELc85ELb0ELb0EfPKfPKS1_PKPfEviT_T9_T10_S7_lS9_S7_lS8_T11_S7_li.has_indirect_call, 0
	.section	.AMDGPU.csdata,"",@progbits
; Kernel info:
; codeLenInByte = 1412
; TotalNumSgprs: 26
; NumVgprs: 42
; ScratchSize: 0
; MemoryBound: 0
; FloatMode: 240
; IeeeMode: 1
; LDSByteSize: 2048 bytes/workgroup (compile time only)
; SGPRBlocks: 0
; VGPRBlocks: 5
; NumSGPRsForWavesPerEU: 26
; NumVGPRsForWavesPerEU: 42
; Occupancy: 16
; WaveLimiterHint : 1
; COMPUTE_PGM_RSRC2:SCRATCH_EN: 0
; COMPUTE_PGM_RSRC2:USER_SGPR: 6
; COMPUTE_PGM_RSRC2:TRAP_HANDLER: 0
; COMPUTE_PGM_RSRC2:TGID_X_EN: 1
; COMPUTE_PGM_RSRC2:TGID_Y_EN: 1
; COMPUTE_PGM_RSRC2:TGID_Z_EN: 1
; COMPUTE_PGM_RSRC2:TIDIG_COMP_CNT: 1
	.section	.text._ZL29rocblas_internal_gemmt_kernelIiLi16ELi32ELi8ELc84ELc84ELc85ELb0ELb0EfPKfPKS1_PKPfEviT_T9_T10_S7_lS9_S7_lS8_T11_S7_li,"axG",@progbits,_ZL29rocblas_internal_gemmt_kernelIiLi16ELi32ELi8ELc84ELc84ELc85ELb0ELb0EfPKfPKS1_PKPfEviT_T9_T10_S7_lS9_S7_lS8_T11_S7_li,comdat
	.globl	_ZL29rocblas_internal_gemmt_kernelIiLi16ELi32ELi8ELc84ELc84ELc85ELb0ELb0EfPKfPKS1_PKPfEviT_T9_T10_S7_lS9_S7_lS8_T11_S7_li ; -- Begin function _ZL29rocblas_internal_gemmt_kernelIiLi16ELi32ELi8ELc84ELc84ELc85ELb0ELb0EfPKfPKS1_PKPfEviT_T9_T10_S7_lS9_S7_lS8_T11_S7_li
	.p2align	8
	.type	_ZL29rocblas_internal_gemmt_kernelIiLi16ELi32ELi8ELc84ELc84ELc85ELb0ELb0EfPKfPKS1_PKPfEviT_T9_T10_S7_lS9_S7_lS8_T11_S7_li,@function
_ZL29rocblas_internal_gemmt_kernelIiLi16ELi32ELi8ELc84ELc84ELc85ELb0ELb0EfPKfPKS1_PKPfEviT_T9_T10_S7_lS9_S7_lS8_T11_S7_li: ; @_ZL29rocblas_internal_gemmt_kernelIiLi16ELi32ELi8ELc84ELc84ELc85ELb0ELb0EfPKfPKS1_PKPfEviT_T9_T10_S7_lS9_S7_lS8_T11_S7_li
; %bb.0:
	s_clause 0x1
	s_load_dwordx4 s[12:15], s[4:5], 0x38
	s_load_dwordx4 s[0:3], s[4:5], 0x8
	s_waitcnt lgkmcnt(0)
	s_load_dword s20, s[14:15], 0x0
	s_load_dwordx2 s[10:11], s[4:5], 0x0
	s_load_dword s21, s[0:1], 0x0
	s_waitcnt lgkmcnt(0)
	v_cmp_neq_f32_e64 s0, s20, 1.0
	s_and_b32 vcc_lo, exec_lo, s0
	s_cbranch_vccnz .LBB292_2
; %bb.1:
	v_cmp_neq_f32_e64 s0, s21, 0
	s_cmp_lg_u32 s11, 0
	s_cselect_b32 s1, -1, 0
	s_and_b32 s0, s1, s0
.LBB292_2:
	s_andn2_b32 vcc_lo, exec_lo, s0
	s_cbranch_vccnz .LBB292_26
; %bb.3:
	s_load_dwordx2 s[14:15], s[4:5], 0x48
	s_mov_b32 s9, 0
	v_mov_b32_e32 v11, 0
	s_lshl_b64 s[0:1], s[8:9], 3
	v_mov_b32_e32 v8, 0
	v_mov_b32_e32 v7, 0
	;; [unrolled: 1-line block ×3, first 2 shown]
	s_waitcnt lgkmcnt(0)
	s_add_u32 s14, s14, s0
	s_addc_u32 s15, s15, s1
	s_lshl_b32 s8, s6, 5
	s_load_dwordx2 s[14:15], s[14:15], 0x0
	s_lshl_b32 s22, s7, 5
	v_cmp_eq_f32_e64 s6, s21, 0
	s_cmp_lt_i32 s11, 1
	s_cselect_b32 s7, -1, 0
	s_or_b32 s6, s6, s7
	s_and_b32 vcc_lo, exec_lo, s6
	s_cbranch_vccnz .LBB292_10
; %bb.4:
	s_clause 0x2
	s_load_dword s6, s[4:5], 0x30
	s_load_dword s23, s[4:5], 0x18
	s_load_dwordx4 s[16:19], s[4:5], 0x20
	v_lshl_add_u32 v2, v1, 4, v0
	v_and_b32_e32 v9, 7, v0
	v_lshlrev_b32_e32 v14, 2, v0
	v_lshl_add_u32 v15, v1, 5, 0x400
	v_and_b32_e32 v3, 31, v2
	v_lshrrev_b32_e32 v4, 3, v2
	v_lshlrev_b32_e32 v5, 2, v9
	v_lshrrev_b32_e32 v10, 5, v2
	v_or_b32_e32 v6, s8, v3
	v_lshlrev_b32_e32 v7, 2, v3
	v_add_nc_u32_e32 v3, s8, v3
	v_add_nc_u32_e32 v2, s22, v4
	v_lshl_or_b32 v8, v4, 5, v5
	v_cmp_gt_i32_e32 vcc_lo, s10, v6
	v_lshl_or_b32 v12, v10, 7, v7
	s_waitcnt lgkmcnt(0)
	s_ashr_i32 s7, s6, 31
	v_mad_i64_i32 v[4:5], null, s23, v3, 0
	s_add_u32 s18, s18, s0
	s_addc_u32 s19, s19, s1
	v_mad_i64_i32 v[6:7], null, s6, v9, 0
	s_add_u32 s0, s2, s0
	s_addc_u32 s1, s3, s1
	s_load_dwordx2 s[2:3], s[18:19], 0x0
	s_load_dwordx2 s[18:19], s[0:1], 0x0
	v_lshlrev_b64 v[4:5], 2, v[4:5]
	v_add_nc_u32_e32 v13, 0x400, v8
	v_ashrrev_i32_e32 v3, 31, v2
	v_lshlrev_b64 v[7:8], 2, v[6:7]
	s_lshl_b64 s[16:17], s[16:17], 2
	v_lshlrev_b32_e32 v11, 2, v10
	v_add_co_u32 v4, s1, v4, s16
	s_lshl_b64 s[12:13], s[12:13], 2
	v_cmp_gt_i32_e64 s0, s10, v2
	v_lshlrev_b64 v[2:3], 2, v[2:3]
	v_add_co_ci_u32_e64 v5, null, s17, v5, s1
	v_add_co_u32 v7, s1, v7, s12
	v_add_co_ci_u32_e64 v8, null, s13, v8, s1
	v_add_co_u32 v4, s1, v4, v11
	;; [unrolled: 2-line block ×3, first 2 shown]
	v_add_co_ci_u32_e64 v8, null, v8, v3, s1
	s_waitcnt lgkmcnt(0)
	v_add_co_u32 v2, s1, s18, v4
	v_add_co_ci_u32_e64 v3, null, s19, v5, s1
	v_add_co_u32 v4, s1, s2, v7
	v_mov_b32_e32 v6, 0
	v_add_co_ci_u32_e64 v5, null, s3, v8, s1
	v_mov_b32_e32 v7, 0
	v_mov_b32_e32 v8, 0
	;; [unrolled: 1-line block ×3, first 2 shown]
	s_lshl_b64 s[2:3], s[6:7], 5
	s_branch .LBB292_6
.LBB292_5:                              ;   in Loop: Header=BB292_6 Depth=1
	s_or_b32 exec_lo, exec_lo, s1
	s_waitcnt vmcnt(0) lgkmcnt(0)
	ds_write_b32 v13, v17
	s_waitcnt lgkmcnt(0)
	s_barrier
	buffer_gl0_inv
	ds_read_b128 v[16:19], v15
	ds_read2_b32 v[32:33], v14 offset1:16
	ds_read_b128 v[20:23], v15 offset:512
	ds_read2_b32 v[34:35], v14 offset0:32 offset1:48
	ds_read2_b32 v[36:37], v14 offset0:64 offset1:80
	;; [unrolled: 1-line block ×3, first 2 shown]
	ds_read_b128 v[24:27], v15 offset:16
	ds_read2_b32 v[40:41], v14 offset0:128 offset1:144
	ds_read_b128 v[28:31], v15 offset:528
	v_add_co_u32 v2, s1, v2, 32
	v_add_co_ci_u32_e64 v3, null, 0, v3, s1
	v_add_co_u32 v4, s1, v4, s2
	v_add_co_ci_u32_e64 v5, null, s3, v5, s1
	s_add_i32 s9, s9, 8
	s_cmp_lt_i32 s9, s11
	s_waitcnt lgkmcnt(7)
	v_fmac_f32_e32 v11, v32, v16
	v_fmac_f32_e32 v8, v33, v16
	s_waitcnt lgkmcnt(6)
	v_fmac_f32_e32 v7, v32, v20
	v_fmac_f32_e32 v6, v33, v20
	ds_read2_b32 v[32:33], v14 offset0:160 offset1:176
	s_waitcnt lgkmcnt(6)
	v_fmac_f32_e32 v11, v34, v17
	v_fmac_f32_e32 v8, v35, v17
	v_fmac_f32_e32 v7, v34, v21
	v_fmac_f32_e32 v6, v35, v21
	ds_read2_b32 v[16:17], v14 offset0:192 offset1:208
	s_waitcnt lgkmcnt(6)
	v_fmac_f32_e32 v11, v36, v18
	v_fmac_f32_e32 v8, v37, v18
	;; [unrolled: 6-line block ×3, first 2 shown]
	v_fmac_f32_e32 v7, v38, v23
	v_fmac_f32_e32 v6, v39, v23
	s_waitcnt lgkmcnt(0)
	v_fmac_f32_e32 v11, v40, v24
	v_fmac_f32_e32 v8, v41, v24
	;; [unrolled: 1-line block ×4, first 2 shown]
	s_barrier
	v_fmac_f32_e32 v11, v32, v25
	v_fmac_f32_e32 v8, v33, v25
	;; [unrolled: 1-line block ×4, first 2 shown]
	buffer_gl0_inv
	v_fmac_f32_e32 v11, v16, v26
	v_fmac_f32_e32 v8, v17, v26
	;; [unrolled: 1-line block ×8, first 2 shown]
	s_cbranch_scc0 .LBB292_10
.LBB292_6:                              ; =>This Inner Loop Header: Depth=1
	v_add_nc_u32_e32 v16, s9, v10
	v_cmp_gt_i32_e64 s1, s11, v16
	v_mov_b32_e32 v16, 0
	s_and_b32 s6, vcc_lo, s1
	s_and_saveexec_b32 s1, s6
	s_cbranch_execz .LBB292_8
; %bb.7:                                ;   in Loop: Header=BB292_6 Depth=1
	flat_load_dword v16, v[2:3]
.LBB292_8:                              ;   in Loop: Header=BB292_6 Depth=1
	s_or_b32 exec_lo, exec_lo, s1
	v_add_nc_u32_e32 v17, s9, v9
	s_waitcnt vmcnt(0) lgkmcnt(0)
	ds_write_b32 v12, v16
	v_cmp_gt_i32_e64 s1, s11, v17
	v_mov_b32_e32 v17, 0
	s_and_b32 s6, s1, s0
	s_and_saveexec_b32 s1, s6
	s_cbranch_execz .LBB292_5
; %bb.9:                                ;   in Loop: Header=BB292_6 Depth=1
	flat_load_dword v17, v[4:5]
	s_branch .LBB292_5
.LBB292_10:
	s_clause 0x1
	s_load_dword s2, s[4:5], 0x50
	s_load_dwordx2 s[4:5], s[4:5], 0x58
	v_add_nc_u32_e32 v10, s22, v1
	v_add_nc_u32_e32 v0, s8, v0
	v_cmp_gt_i32_e64 s0, s10, v10
	v_cmp_le_i32_e32 vcc_lo, v0, v10
	s_waitcnt lgkmcnt(0)
	v_mad_i64_i32 v[1:2], null, v10, s2, 0
	s_lshl_b64 s[4:5], s[4:5], 2
	s_add_u32 s3, s14, s4
	s_addc_u32 s4, s15, s5
	v_cmp_neq_f32_e64 s5, s20, 0
	s_and_b32 s6, s0, vcc_lo
	v_lshlrev_b64 v[2:3], 2, v[1:2]
	v_ashrrev_i32_e32 v1, 31, v0
	v_cndmask_b32_e64 v9, 0, 1, s5
	v_add_co_u32 v4, s1, s3, v2
	v_add_co_ci_u32_e64 v5, null, s4, v3, s1
	s_and_saveexec_b32 s1, s6
	s_cbranch_execz .LBB292_14
; %bb.11:
	v_lshlrev_b64 v[2:3], 2, v[0:1]
	v_mul_f32_e32 v11, s21, v11
	v_add_co_u32 v2, vcc_lo, v4, v2
	v_add_co_ci_u32_e64 v3, null, v5, v3, vcc_lo
	s_andn2_b32 vcc_lo, exec_lo, s5
	s_cbranch_vccnz .LBB292_13
; %bb.12:
	flat_load_dword v12, v[2:3]
	s_waitcnt vmcnt(0) lgkmcnt(0)
	v_fmac_f32_e32 v11, s20, v12
.LBB292_13:
	flat_store_dword v[2:3], v11
.LBB292_14:
	s_or_b32 exec_lo, exec_lo, s1
	v_add_nc_u32_e32 v2, 16, v0
	v_cmp_le_i32_e32 vcc_lo, v2, v10
	v_ashrrev_i32_e32 v3, 31, v2
	s_and_b32 s0, s0, vcc_lo
	s_and_saveexec_b32 s1, s0
	s_cbranch_execz .LBB292_18
; %bb.15:
	v_lshlrev_b64 v[11:12], 2, v[2:3]
	v_cmp_ne_u32_e32 vcc_lo, 1, v9
	v_mul_f32_e32 v8, s21, v8
	v_add_co_u32 v4, s0, v4, v11
	v_add_co_ci_u32_e64 v5, null, v5, v12, s0
	s_cbranch_vccnz .LBB292_17
; %bb.16:
	flat_load_dword v11, v[4:5]
	s_waitcnt vmcnt(0) lgkmcnt(0)
	v_fmac_f32_e32 v8, s20, v11
.LBB292_17:
	flat_store_dword v[4:5], v8
.LBB292_18:
	s_or_b32 exec_lo, exec_lo, s1
	v_add_nc_u32_e32 v8, 16, v10
	v_mad_i64_i32 v[4:5], null, v8, s2, 0
	v_cmp_gt_i32_e64 s0, s10, v8
	v_cmp_le_i32_e32 vcc_lo, v0, v8
	v_lshlrev_b64 v[4:5], 2, v[4:5]
	v_add_co_u32 v4, s1, s3, v4
	v_add_co_ci_u32_e64 v5, null, s4, v5, s1
	s_and_b32 s1, s0, vcc_lo
	s_and_saveexec_b32 s2, s1
	s_cbranch_execz .LBB292_22
; %bb.19:
	v_lshlrev_b64 v[0:1], 2, v[0:1]
	v_cmp_ne_u32_e32 vcc_lo, 1, v9
	v_mul_f32_e32 v7, s21, v7
	v_add_co_u32 v0, s1, v4, v0
	v_add_co_ci_u32_e64 v1, null, v5, v1, s1
	s_cbranch_vccnz .LBB292_21
; %bb.20:
	flat_load_dword v10, v[0:1]
	s_waitcnt vmcnt(0) lgkmcnt(0)
	v_fmac_f32_e32 v7, s20, v10
.LBB292_21:
	flat_store_dword v[0:1], v7
.LBB292_22:
	s_or_b32 exec_lo, exec_lo, s2
	v_cmp_le_i32_e32 vcc_lo, v2, v8
	s_and_b32 s0, s0, vcc_lo
	s_and_saveexec_b32 s1, s0
	s_cbranch_execz .LBB292_26
; %bb.23:
	v_lshlrev_b64 v[0:1], 2, v[2:3]
	v_cmp_ne_u32_e32 vcc_lo, 1, v9
	v_mul_f32_e32 v2, s21, v6
	v_add_co_u32 v0, s0, v4, v0
	v_add_co_ci_u32_e64 v1, null, v5, v1, s0
	s_cbranch_vccnz .LBB292_25
; %bb.24:
	flat_load_dword v3, v[0:1]
	s_waitcnt vmcnt(0) lgkmcnt(0)
	v_fmac_f32_e32 v2, s20, v3
.LBB292_25:
	flat_store_dword v[0:1], v2
.LBB292_26:
	s_endpgm
	.section	.rodata,"a",@progbits
	.p2align	6, 0x0
	.amdhsa_kernel _ZL29rocblas_internal_gemmt_kernelIiLi16ELi32ELi8ELc84ELc84ELc85ELb0ELb0EfPKfPKS1_PKPfEviT_T9_T10_S7_lS9_S7_lS8_T11_S7_li
		.amdhsa_group_segment_fixed_size 2048
		.amdhsa_private_segment_fixed_size 0
		.amdhsa_kernarg_size 100
		.amdhsa_user_sgpr_count 6
		.amdhsa_user_sgpr_private_segment_buffer 1
		.amdhsa_user_sgpr_dispatch_ptr 0
		.amdhsa_user_sgpr_queue_ptr 0
		.amdhsa_user_sgpr_kernarg_segment_ptr 1
		.amdhsa_user_sgpr_dispatch_id 0
		.amdhsa_user_sgpr_flat_scratch_init 0
		.amdhsa_user_sgpr_private_segment_size 0
		.amdhsa_wavefront_size32 1
		.amdhsa_uses_dynamic_stack 0
		.amdhsa_system_sgpr_private_segment_wavefront_offset 0
		.amdhsa_system_sgpr_workgroup_id_x 1
		.amdhsa_system_sgpr_workgroup_id_y 1
		.amdhsa_system_sgpr_workgroup_id_z 1
		.amdhsa_system_sgpr_workgroup_info 0
		.amdhsa_system_vgpr_workitem_id 1
		.amdhsa_next_free_vgpr 42
		.amdhsa_next_free_sgpr 24
		.amdhsa_reserve_vcc 1
		.amdhsa_reserve_flat_scratch 0
		.amdhsa_float_round_mode_32 0
		.amdhsa_float_round_mode_16_64 0
		.amdhsa_float_denorm_mode_32 3
		.amdhsa_float_denorm_mode_16_64 3
		.amdhsa_dx10_clamp 1
		.amdhsa_ieee_mode 1
		.amdhsa_fp16_overflow 0
		.amdhsa_workgroup_processor_mode 1
		.amdhsa_memory_ordered 1
		.amdhsa_forward_progress 1
		.amdhsa_shared_vgpr_count 0
		.amdhsa_exception_fp_ieee_invalid_op 0
		.amdhsa_exception_fp_denorm_src 0
		.amdhsa_exception_fp_ieee_div_zero 0
		.amdhsa_exception_fp_ieee_overflow 0
		.amdhsa_exception_fp_ieee_underflow 0
		.amdhsa_exception_fp_ieee_inexact 0
		.amdhsa_exception_int_div_zero 0
	.end_amdhsa_kernel
	.section	.text._ZL29rocblas_internal_gemmt_kernelIiLi16ELi32ELi8ELc84ELc84ELc85ELb0ELb0EfPKfPKS1_PKPfEviT_T9_T10_S7_lS9_S7_lS8_T11_S7_li,"axG",@progbits,_ZL29rocblas_internal_gemmt_kernelIiLi16ELi32ELi8ELc84ELc84ELc85ELb0ELb0EfPKfPKS1_PKPfEviT_T9_T10_S7_lS9_S7_lS8_T11_S7_li,comdat
.Lfunc_end292:
	.size	_ZL29rocblas_internal_gemmt_kernelIiLi16ELi32ELi8ELc84ELc84ELc85ELb0ELb0EfPKfPKS1_PKPfEviT_T9_T10_S7_lS9_S7_lS8_T11_S7_li, .Lfunc_end292-_ZL29rocblas_internal_gemmt_kernelIiLi16ELi32ELi8ELc84ELc84ELc85ELb0ELb0EfPKfPKS1_PKPfEviT_T9_T10_S7_lS9_S7_lS8_T11_S7_li
                                        ; -- End function
	.set _ZL29rocblas_internal_gemmt_kernelIiLi16ELi32ELi8ELc84ELc84ELc85ELb0ELb0EfPKfPKS1_PKPfEviT_T9_T10_S7_lS9_S7_lS8_T11_S7_li.num_vgpr, 42
	.set _ZL29rocblas_internal_gemmt_kernelIiLi16ELi32ELi8ELc84ELc84ELc85ELb0ELb0EfPKfPKS1_PKPfEviT_T9_T10_S7_lS9_S7_lS8_T11_S7_li.num_agpr, 0
	.set _ZL29rocblas_internal_gemmt_kernelIiLi16ELi32ELi8ELc84ELc84ELc85ELb0ELb0EfPKfPKS1_PKPfEviT_T9_T10_S7_lS9_S7_lS8_T11_S7_li.numbered_sgpr, 24
	.set _ZL29rocblas_internal_gemmt_kernelIiLi16ELi32ELi8ELc84ELc84ELc85ELb0ELb0EfPKfPKS1_PKPfEviT_T9_T10_S7_lS9_S7_lS8_T11_S7_li.num_named_barrier, 0
	.set _ZL29rocblas_internal_gemmt_kernelIiLi16ELi32ELi8ELc84ELc84ELc85ELb0ELb0EfPKfPKS1_PKPfEviT_T9_T10_S7_lS9_S7_lS8_T11_S7_li.private_seg_size, 0
	.set _ZL29rocblas_internal_gemmt_kernelIiLi16ELi32ELi8ELc84ELc84ELc85ELb0ELb0EfPKfPKS1_PKPfEviT_T9_T10_S7_lS9_S7_lS8_T11_S7_li.uses_vcc, 1
	.set _ZL29rocblas_internal_gemmt_kernelIiLi16ELi32ELi8ELc84ELc84ELc85ELb0ELb0EfPKfPKS1_PKPfEviT_T9_T10_S7_lS9_S7_lS8_T11_S7_li.uses_flat_scratch, 0
	.set _ZL29rocblas_internal_gemmt_kernelIiLi16ELi32ELi8ELc84ELc84ELc85ELb0ELb0EfPKfPKS1_PKPfEviT_T9_T10_S7_lS9_S7_lS8_T11_S7_li.has_dyn_sized_stack, 0
	.set _ZL29rocblas_internal_gemmt_kernelIiLi16ELi32ELi8ELc84ELc84ELc85ELb0ELb0EfPKfPKS1_PKPfEviT_T9_T10_S7_lS9_S7_lS8_T11_S7_li.has_recursion, 0
	.set _ZL29rocblas_internal_gemmt_kernelIiLi16ELi32ELi8ELc84ELc84ELc85ELb0ELb0EfPKfPKS1_PKPfEviT_T9_T10_S7_lS9_S7_lS8_T11_S7_li.has_indirect_call, 0
	.section	.AMDGPU.csdata,"",@progbits
; Kernel info:
; codeLenInByte = 1432
; TotalNumSgprs: 26
; NumVgprs: 42
; ScratchSize: 0
; MemoryBound: 0
; FloatMode: 240
; IeeeMode: 1
; LDSByteSize: 2048 bytes/workgroup (compile time only)
; SGPRBlocks: 0
; VGPRBlocks: 5
; NumSGPRsForWavesPerEU: 26
; NumVGPRsForWavesPerEU: 42
; Occupancy: 16
; WaveLimiterHint : 1
; COMPUTE_PGM_RSRC2:SCRATCH_EN: 0
; COMPUTE_PGM_RSRC2:USER_SGPR: 6
; COMPUTE_PGM_RSRC2:TRAP_HANDLER: 0
; COMPUTE_PGM_RSRC2:TGID_X_EN: 1
; COMPUTE_PGM_RSRC2:TGID_Y_EN: 1
; COMPUTE_PGM_RSRC2:TGID_Z_EN: 1
; COMPUTE_PGM_RSRC2:TIDIG_COMP_CNT: 1
	.section	.text._ZL29rocblas_internal_gemmt_kernelIiLi16ELi32ELi8ELc84ELc67ELc85ELb0ELb0EfPKfPKS1_PKPfEviT_T9_T10_S7_lS9_S7_lS8_T11_S7_li,"axG",@progbits,_ZL29rocblas_internal_gemmt_kernelIiLi16ELi32ELi8ELc84ELc67ELc85ELb0ELb0EfPKfPKS1_PKPfEviT_T9_T10_S7_lS9_S7_lS8_T11_S7_li,comdat
	.globl	_ZL29rocblas_internal_gemmt_kernelIiLi16ELi32ELi8ELc84ELc67ELc85ELb0ELb0EfPKfPKS1_PKPfEviT_T9_T10_S7_lS9_S7_lS8_T11_S7_li ; -- Begin function _ZL29rocblas_internal_gemmt_kernelIiLi16ELi32ELi8ELc84ELc67ELc85ELb0ELb0EfPKfPKS1_PKPfEviT_T9_T10_S7_lS9_S7_lS8_T11_S7_li
	.p2align	8
	.type	_ZL29rocblas_internal_gemmt_kernelIiLi16ELi32ELi8ELc84ELc67ELc85ELb0ELb0EfPKfPKS1_PKPfEviT_T9_T10_S7_lS9_S7_lS8_T11_S7_li,@function
_ZL29rocblas_internal_gemmt_kernelIiLi16ELi32ELi8ELc84ELc67ELc85ELb0ELb0EfPKfPKS1_PKPfEviT_T9_T10_S7_lS9_S7_lS8_T11_S7_li: ; @_ZL29rocblas_internal_gemmt_kernelIiLi16ELi32ELi8ELc84ELc67ELc85ELb0ELb0EfPKfPKS1_PKPfEviT_T9_T10_S7_lS9_S7_lS8_T11_S7_li
; %bb.0:
	s_clause 0x1
	s_load_dwordx4 s[12:15], s[4:5], 0x38
	s_load_dwordx4 s[0:3], s[4:5], 0x8
	s_waitcnt lgkmcnt(0)
	s_load_dword s20, s[14:15], 0x0
	s_load_dwordx2 s[10:11], s[4:5], 0x0
	s_load_dword s21, s[0:1], 0x0
	s_waitcnt lgkmcnt(0)
	v_cmp_neq_f32_e64 s0, s20, 1.0
	s_and_b32 vcc_lo, exec_lo, s0
	s_cbranch_vccnz .LBB293_2
; %bb.1:
	v_cmp_neq_f32_e64 s0, s21, 0
	s_cmp_lg_u32 s11, 0
	s_cselect_b32 s1, -1, 0
	s_and_b32 s0, s1, s0
.LBB293_2:
	s_andn2_b32 vcc_lo, exec_lo, s0
	s_cbranch_vccnz .LBB293_26
; %bb.3:
	s_load_dwordx2 s[14:15], s[4:5], 0x48
	s_mov_b32 s9, 0
	v_mov_b32_e32 v11, 0
	s_lshl_b64 s[0:1], s[8:9], 3
	v_mov_b32_e32 v8, 0
	v_mov_b32_e32 v7, 0
	v_mov_b32_e32 v6, 0
	s_waitcnt lgkmcnt(0)
	s_add_u32 s14, s14, s0
	s_addc_u32 s15, s15, s1
	s_lshl_b32 s8, s6, 5
	s_load_dwordx2 s[14:15], s[14:15], 0x0
	s_lshl_b32 s22, s7, 5
	v_cmp_eq_f32_e64 s6, s21, 0
	s_cmp_lt_i32 s11, 1
	s_cselect_b32 s7, -1, 0
	s_or_b32 s6, s6, s7
	s_and_b32 vcc_lo, exec_lo, s6
	s_cbranch_vccnz .LBB293_10
; %bb.4:
	s_clause 0x2
	s_load_dword s6, s[4:5], 0x30
	s_load_dword s23, s[4:5], 0x18
	s_load_dwordx4 s[16:19], s[4:5], 0x20
	v_lshl_add_u32 v2, v1, 4, v0
	v_and_b32_e32 v9, 7, v0
	v_lshlrev_b32_e32 v14, 2, v0
	v_lshl_add_u32 v15, v1, 5, 0x400
	v_and_b32_e32 v3, 31, v2
	v_lshrrev_b32_e32 v4, 3, v2
	v_lshlrev_b32_e32 v5, 2, v9
	v_lshrrev_b32_e32 v10, 5, v2
	v_or_b32_e32 v6, s8, v3
	v_lshlrev_b32_e32 v7, 2, v3
	v_add_nc_u32_e32 v3, s8, v3
	v_add_nc_u32_e32 v2, s22, v4
	v_lshl_or_b32 v8, v4, 5, v5
	v_cmp_gt_i32_e32 vcc_lo, s10, v6
	v_lshl_or_b32 v12, v10, 7, v7
	s_waitcnt lgkmcnt(0)
	s_ashr_i32 s7, s6, 31
	v_mad_i64_i32 v[4:5], null, s23, v3, 0
	s_add_u32 s18, s18, s0
	s_addc_u32 s19, s19, s1
	v_mad_i64_i32 v[6:7], null, s6, v9, 0
	s_add_u32 s0, s2, s0
	s_addc_u32 s1, s3, s1
	s_load_dwordx2 s[2:3], s[18:19], 0x0
	s_load_dwordx2 s[18:19], s[0:1], 0x0
	v_lshlrev_b64 v[4:5], 2, v[4:5]
	v_add_nc_u32_e32 v13, 0x400, v8
	v_ashrrev_i32_e32 v3, 31, v2
	v_lshlrev_b64 v[7:8], 2, v[6:7]
	s_lshl_b64 s[16:17], s[16:17], 2
	v_lshlrev_b32_e32 v11, 2, v10
	v_add_co_u32 v4, s1, v4, s16
	s_lshl_b64 s[12:13], s[12:13], 2
	v_cmp_gt_i32_e64 s0, s10, v2
	v_lshlrev_b64 v[2:3], 2, v[2:3]
	v_add_co_ci_u32_e64 v5, null, s17, v5, s1
	v_add_co_u32 v7, s1, v7, s12
	v_add_co_ci_u32_e64 v8, null, s13, v8, s1
	v_add_co_u32 v4, s1, v4, v11
	;; [unrolled: 2-line block ×3, first 2 shown]
	v_add_co_ci_u32_e64 v8, null, v8, v3, s1
	s_waitcnt lgkmcnt(0)
	v_add_co_u32 v2, s1, s18, v4
	v_add_co_ci_u32_e64 v3, null, s19, v5, s1
	v_add_co_u32 v4, s1, s2, v7
	v_mov_b32_e32 v6, 0
	v_add_co_ci_u32_e64 v5, null, s3, v8, s1
	v_mov_b32_e32 v7, 0
	v_mov_b32_e32 v8, 0
	;; [unrolled: 1-line block ×3, first 2 shown]
	s_lshl_b64 s[2:3], s[6:7], 5
	s_branch .LBB293_6
.LBB293_5:                              ;   in Loop: Header=BB293_6 Depth=1
	s_or_b32 exec_lo, exec_lo, s1
	s_waitcnt vmcnt(0) lgkmcnt(0)
	ds_write_b32 v13, v17
	s_waitcnt lgkmcnt(0)
	s_barrier
	buffer_gl0_inv
	ds_read_b128 v[16:19], v15
	ds_read2_b32 v[32:33], v14 offset1:16
	ds_read_b128 v[20:23], v15 offset:512
	ds_read2_b32 v[34:35], v14 offset0:32 offset1:48
	ds_read2_b32 v[36:37], v14 offset0:64 offset1:80
	;; [unrolled: 1-line block ×3, first 2 shown]
	ds_read_b128 v[24:27], v15 offset:16
	ds_read2_b32 v[40:41], v14 offset0:128 offset1:144
	ds_read_b128 v[28:31], v15 offset:528
	v_add_co_u32 v2, s1, v2, 32
	v_add_co_ci_u32_e64 v3, null, 0, v3, s1
	v_add_co_u32 v4, s1, v4, s2
	v_add_co_ci_u32_e64 v5, null, s3, v5, s1
	s_add_i32 s9, s9, 8
	s_cmp_lt_i32 s9, s11
	s_waitcnt lgkmcnt(7)
	v_fmac_f32_e32 v11, v32, v16
	v_fmac_f32_e32 v8, v33, v16
	s_waitcnt lgkmcnt(6)
	v_fmac_f32_e32 v7, v32, v20
	v_fmac_f32_e32 v6, v33, v20
	ds_read2_b32 v[32:33], v14 offset0:160 offset1:176
	s_waitcnt lgkmcnt(6)
	v_fmac_f32_e32 v11, v34, v17
	v_fmac_f32_e32 v8, v35, v17
	v_fmac_f32_e32 v7, v34, v21
	v_fmac_f32_e32 v6, v35, v21
	ds_read2_b32 v[16:17], v14 offset0:192 offset1:208
	s_waitcnt lgkmcnt(6)
	v_fmac_f32_e32 v11, v36, v18
	v_fmac_f32_e32 v8, v37, v18
	;; [unrolled: 6-line block ×3, first 2 shown]
	v_fmac_f32_e32 v7, v38, v23
	v_fmac_f32_e32 v6, v39, v23
	s_waitcnt lgkmcnt(0)
	v_fmac_f32_e32 v11, v40, v24
	v_fmac_f32_e32 v8, v41, v24
	;; [unrolled: 1-line block ×4, first 2 shown]
	s_barrier
	v_fmac_f32_e32 v11, v32, v25
	v_fmac_f32_e32 v8, v33, v25
	;; [unrolled: 1-line block ×4, first 2 shown]
	buffer_gl0_inv
	v_fmac_f32_e32 v11, v16, v26
	v_fmac_f32_e32 v8, v17, v26
	;; [unrolled: 1-line block ×8, first 2 shown]
	s_cbranch_scc0 .LBB293_10
.LBB293_6:                              ; =>This Inner Loop Header: Depth=1
	v_add_nc_u32_e32 v16, s9, v10
	v_cmp_gt_i32_e64 s1, s11, v16
	v_mov_b32_e32 v16, 0
	s_and_b32 s6, vcc_lo, s1
	s_and_saveexec_b32 s1, s6
	s_cbranch_execz .LBB293_8
; %bb.7:                                ;   in Loop: Header=BB293_6 Depth=1
	flat_load_dword v16, v[2:3]
.LBB293_8:                              ;   in Loop: Header=BB293_6 Depth=1
	s_or_b32 exec_lo, exec_lo, s1
	v_add_nc_u32_e32 v17, s9, v9
	s_waitcnt vmcnt(0) lgkmcnt(0)
	ds_write_b32 v12, v16
	v_cmp_gt_i32_e64 s1, s11, v17
	v_mov_b32_e32 v17, 0
	s_and_b32 s6, s1, s0
	s_and_saveexec_b32 s1, s6
	s_cbranch_execz .LBB293_5
; %bb.9:                                ;   in Loop: Header=BB293_6 Depth=1
	flat_load_dword v17, v[4:5]
	s_branch .LBB293_5
.LBB293_10:
	s_clause 0x1
	s_load_dword s2, s[4:5], 0x50
	s_load_dwordx2 s[4:5], s[4:5], 0x58
	v_add_nc_u32_e32 v10, s22, v1
	v_add_nc_u32_e32 v0, s8, v0
	v_cmp_gt_i32_e64 s0, s10, v10
	v_cmp_le_i32_e32 vcc_lo, v0, v10
	s_waitcnt lgkmcnt(0)
	v_mad_i64_i32 v[1:2], null, v10, s2, 0
	s_lshl_b64 s[4:5], s[4:5], 2
	s_add_u32 s3, s14, s4
	s_addc_u32 s4, s15, s5
	v_cmp_neq_f32_e64 s5, s20, 0
	s_and_b32 s6, s0, vcc_lo
	v_lshlrev_b64 v[2:3], 2, v[1:2]
	v_ashrrev_i32_e32 v1, 31, v0
	v_cndmask_b32_e64 v9, 0, 1, s5
	v_add_co_u32 v4, s1, s3, v2
	v_add_co_ci_u32_e64 v5, null, s4, v3, s1
	s_and_saveexec_b32 s1, s6
	s_cbranch_execz .LBB293_14
; %bb.11:
	v_lshlrev_b64 v[2:3], 2, v[0:1]
	v_mul_f32_e32 v11, s21, v11
	v_add_co_u32 v2, vcc_lo, v4, v2
	v_add_co_ci_u32_e64 v3, null, v5, v3, vcc_lo
	s_andn2_b32 vcc_lo, exec_lo, s5
	s_cbranch_vccnz .LBB293_13
; %bb.12:
	flat_load_dword v12, v[2:3]
	s_waitcnt vmcnt(0) lgkmcnt(0)
	v_fmac_f32_e32 v11, s20, v12
.LBB293_13:
	flat_store_dword v[2:3], v11
.LBB293_14:
	s_or_b32 exec_lo, exec_lo, s1
	v_add_nc_u32_e32 v2, 16, v0
	v_cmp_le_i32_e32 vcc_lo, v2, v10
	v_ashrrev_i32_e32 v3, 31, v2
	s_and_b32 s0, s0, vcc_lo
	s_and_saveexec_b32 s1, s0
	s_cbranch_execz .LBB293_18
; %bb.15:
	v_lshlrev_b64 v[11:12], 2, v[2:3]
	v_cmp_ne_u32_e32 vcc_lo, 1, v9
	v_mul_f32_e32 v8, s21, v8
	v_add_co_u32 v4, s0, v4, v11
	v_add_co_ci_u32_e64 v5, null, v5, v12, s0
	s_cbranch_vccnz .LBB293_17
; %bb.16:
	flat_load_dword v11, v[4:5]
	s_waitcnt vmcnt(0) lgkmcnt(0)
	v_fmac_f32_e32 v8, s20, v11
.LBB293_17:
	flat_store_dword v[4:5], v8
.LBB293_18:
	s_or_b32 exec_lo, exec_lo, s1
	v_add_nc_u32_e32 v8, 16, v10
	v_mad_i64_i32 v[4:5], null, v8, s2, 0
	v_cmp_gt_i32_e64 s0, s10, v8
	v_cmp_le_i32_e32 vcc_lo, v0, v8
	v_lshlrev_b64 v[4:5], 2, v[4:5]
	v_add_co_u32 v4, s1, s3, v4
	v_add_co_ci_u32_e64 v5, null, s4, v5, s1
	s_and_b32 s1, s0, vcc_lo
	s_and_saveexec_b32 s2, s1
	s_cbranch_execz .LBB293_22
; %bb.19:
	v_lshlrev_b64 v[0:1], 2, v[0:1]
	v_cmp_ne_u32_e32 vcc_lo, 1, v9
	v_mul_f32_e32 v7, s21, v7
	v_add_co_u32 v0, s1, v4, v0
	v_add_co_ci_u32_e64 v1, null, v5, v1, s1
	s_cbranch_vccnz .LBB293_21
; %bb.20:
	flat_load_dword v10, v[0:1]
	s_waitcnt vmcnt(0) lgkmcnt(0)
	v_fmac_f32_e32 v7, s20, v10
.LBB293_21:
	flat_store_dword v[0:1], v7
.LBB293_22:
	s_or_b32 exec_lo, exec_lo, s2
	v_cmp_le_i32_e32 vcc_lo, v2, v8
	s_and_b32 s0, s0, vcc_lo
	s_and_saveexec_b32 s1, s0
	s_cbranch_execz .LBB293_26
; %bb.23:
	v_lshlrev_b64 v[0:1], 2, v[2:3]
	v_cmp_ne_u32_e32 vcc_lo, 1, v9
	v_mul_f32_e32 v2, s21, v6
	v_add_co_u32 v0, s0, v4, v0
	v_add_co_ci_u32_e64 v1, null, v5, v1, s0
	s_cbranch_vccnz .LBB293_25
; %bb.24:
	flat_load_dword v3, v[0:1]
	s_waitcnt vmcnt(0) lgkmcnt(0)
	v_fmac_f32_e32 v2, s20, v3
.LBB293_25:
	flat_store_dword v[0:1], v2
.LBB293_26:
	s_endpgm
	.section	.rodata,"a",@progbits
	.p2align	6, 0x0
	.amdhsa_kernel _ZL29rocblas_internal_gemmt_kernelIiLi16ELi32ELi8ELc84ELc67ELc85ELb0ELb0EfPKfPKS1_PKPfEviT_T9_T10_S7_lS9_S7_lS8_T11_S7_li
		.amdhsa_group_segment_fixed_size 2048
		.amdhsa_private_segment_fixed_size 0
		.amdhsa_kernarg_size 100
		.amdhsa_user_sgpr_count 6
		.amdhsa_user_sgpr_private_segment_buffer 1
		.amdhsa_user_sgpr_dispatch_ptr 0
		.amdhsa_user_sgpr_queue_ptr 0
		.amdhsa_user_sgpr_kernarg_segment_ptr 1
		.amdhsa_user_sgpr_dispatch_id 0
		.amdhsa_user_sgpr_flat_scratch_init 0
		.amdhsa_user_sgpr_private_segment_size 0
		.amdhsa_wavefront_size32 1
		.amdhsa_uses_dynamic_stack 0
		.amdhsa_system_sgpr_private_segment_wavefront_offset 0
		.amdhsa_system_sgpr_workgroup_id_x 1
		.amdhsa_system_sgpr_workgroup_id_y 1
		.amdhsa_system_sgpr_workgroup_id_z 1
		.amdhsa_system_sgpr_workgroup_info 0
		.amdhsa_system_vgpr_workitem_id 1
		.amdhsa_next_free_vgpr 42
		.amdhsa_next_free_sgpr 24
		.amdhsa_reserve_vcc 1
		.amdhsa_reserve_flat_scratch 0
		.amdhsa_float_round_mode_32 0
		.amdhsa_float_round_mode_16_64 0
		.amdhsa_float_denorm_mode_32 3
		.amdhsa_float_denorm_mode_16_64 3
		.amdhsa_dx10_clamp 1
		.amdhsa_ieee_mode 1
		.amdhsa_fp16_overflow 0
		.amdhsa_workgroup_processor_mode 1
		.amdhsa_memory_ordered 1
		.amdhsa_forward_progress 1
		.amdhsa_shared_vgpr_count 0
		.amdhsa_exception_fp_ieee_invalid_op 0
		.amdhsa_exception_fp_denorm_src 0
		.amdhsa_exception_fp_ieee_div_zero 0
		.amdhsa_exception_fp_ieee_overflow 0
		.amdhsa_exception_fp_ieee_underflow 0
		.amdhsa_exception_fp_ieee_inexact 0
		.amdhsa_exception_int_div_zero 0
	.end_amdhsa_kernel
	.section	.text._ZL29rocblas_internal_gemmt_kernelIiLi16ELi32ELi8ELc84ELc67ELc85ELb0ELb0EfPKfPKS1_PKPfEviT_T9_T10_S7_lS9_S7_lS8_T11_S7_li,"axG",@progbits,_ZL29rocblas_internal_gemmt_kernelIiLi16ELi32ELi8ELc84ELc67ELc85ELb0ELb0EfPKfPKS1_PKPfEviT_T9_T10_S7_lS9_S7_lS8_T11_S7_li,comdat
.Lfunc_end293:
	.size	_ZL29rocblas_internal_gemmt_kernelIiLi16ELi32ELi8ELc84ELc67ELc85ELb0ELb0EfPKfPKS1_PKPfEviT_T9_T10_S7_lS9_S7_lS8_T11_S7_li, .Lfunc_end293-_ZL29rocblas_internal_gemmt_kernelIiLi16ELi32ELi8ELc84ELc67ELc85ELb0ELb0EfPKfPKS1_PKPfEviT_T9_T10_S7_lS9_S7_lS8_T11_S7_li
                                        ; -- End function
	.set _ZL29rocblas_internal_gemmt_kernelIiLi16ELi32ELi8ELc84ELc67ELc85ELb0ELb0EfPKfPKS1_PKPfEviT_T9_T10_S7_lS9_S7_lS8_T11_S7_li.num_vgpr, 42
	.set _ZL29rocblas_internal_gemmt_kernelIiLi16ELi32ELi8ELc84ELc67ELc85ELb0ELb0EfPKfPKS1_PKPfEviT_T9_T10_S7_lS9_S7_lS8_T11_S7_li.num_agpr, 0
	.set _ZL29rocblas_internal_gemmt_kernelIiLi16ELi32ELi8ELc84ELc67ELc85ELb0ELb0EfPKfPKS1_PKPfEviT_T9_T10_S7_lS9_S7_lS8_T11_S7_li.numbered_sgpr, 24
	.set _ZL29rocblas_internal_gemmt_kernelIiLi16ELi32ELi8ELc84ELc67ELc85ELb0ELb0EfPKfPKS1_PKPfEviT_T9_T10_S7_lS9_S7_lS8_T11_S7_li.num_named_barrier, 0
	.set _ZL29rocblas_internal_gemmt_kernelIiLi16ELi32ELi8ELc84ELc67ELc85ELb0ELb0EfPKfPKS1_PKPfEviT_T9_T10_S7_lS9_S7_lS8_T11_S7_li.private_seg_size, 0
	.set _ZL29rocblas_internal_gemmt_kernelIiLi16ELi32ELi8ELc84ELc67ELc85ELb0ELb0EfPKfPKS1_PKPfEviT_T9_T10_S7_lS9_S7_lS8_T11_S7_li.uses_vcc, 1
	.set _ZL29rocblas_internal_gemmt_kernelIiLi16ELi32ELi8ELc84ELc67ELc85ELb0ELb0EfPKfPKS1_PKPfEviT_T9_T10_S7_lS9_S7_lS8_T11_S7_li.uses_flat_scratch, 0
	.set _ZL29rocblas_internal_gemmt_kernelIiLi16ELi32ELi8ELc84ELc67ELc85ELb0ELb0EfPKfPKS1_PKPfEviT_T9_T10_S7_lS9_S7_lS8_T11_S7_li.has_dyn_sized_stack, 0
	.set _ZL29rocblas_internal_gemmt_kernelIiLi16ELi32ELi8ELc84ELc67ELc85ELb0ELb0EfPKfPKS1_PKPfEviT_T9_T10_S7_lS9_S7_lS8_T11_S7_li.has_recursion, 0
	.set _ZL29rocblas_internal_gemmt_kernelIiLi16ELi32ELi8ELc84ELc67ELc85ELb0ELb0EfPKfPKS1_PKPfEviT_T9_T10_S7_lS9_S7_lS8_T11_S7_li.has_indirect_call, 0
	.section	.AMDGPU.csdata,"",@progbits
; Kernel info:
; codeLenInByte = 1432
; TotalNumSgprs: 26
; NumVgprs: 42
; ScratchSize: 0
; MemoryBound: 0
; FloatMode: 240
; IeeeMode: 1
; LDSByteSize: 2048 bytes/workgroup (compile time only)
; SGPRBlocks: 0
; VGPRBlocks: 5
; NumSGPRsForWavesPerEU: 26
; NumVGPRsForWavesPerEU: 42
; Occupancy: 16
; WaveLimiterHint : 1
; COMPUTE_PGM_RSRC2:SCRATCH_EN: 0
; COMPUTE_PGM_RSRC2:USER_SGPR: 6
; COMPUTE_PGM_RSRC2:TRAP_HANDLER: 0
; COMPUTE_PGM_RSRC2:TGID_X_EN: 1
; COMPUTE_PGM_RSRC2:TGID_Y_EN: 1
; COMPUTE_PGM_RSRC2:TGID_Z_EN: 1
; COMPUTE_PGM_RSRC2:TIDIG_COMP_CNT: 1
	.section	.text._ZL29rocblas_internal_gemmt_kernelIiLi16ELi32ELi8ELc67ELc78ELc85ELb0ELb0EfPKfPKS1_PKPfEviT_T9_T10_S7_lS9_S7_lS8_T11_S7_li,"axG",@progbits,_ZL29rocblas_internal_gemmt_kernelIiLi16ELi32ELi8ELc67ELc78ELc85ELb0ELb0EfPKfPKS1_PKPfEviT_T9_T10_S7_lS9_S7_lS8_T11_S7_li,comdat
	.globl	_ZL29rocblas_internal_gemmt_kernelIiLi16ELi32ELi8ELc67ELc78ELc85ELb0ELb0EfPKfPKS1_PKPfEviT_T9_T10_S7_lS9_S7_lS8_T11_S7_li ; -- Begin function _ZL29rocblas_internal_gemmt_kernelIiLi16ELi32ELi8ELc67ELc78ELc85ELb0ELb0EfPKfPKS1_PKPfEviT_T9_T10_S7_lS9_S7_lS8_T11_S7_li
	.p2align	8
	.type	_ZL29rocblas_internal_gemmt_kernelIiLi16ELi32ELi8ELc67ELc78ELc85ELb0ELb0EfPKfPKS1_PKPfEviT_T9_T10_S7_lS9_S7_lS8_T11_S7_li,@function
_ZL29rocblas_internal_gemmt_kernelIiLi16ELi32ELi8ELc67ELc78ELc85ELb0ELb0EfPKfPKS1_PKPfEviT_T9_T10_S7_lS9_S7_lS8_T11_S7_li: ; @_ZL29rocblas_internal_gemmt_kernelIiLi16ELi32ELi8ELc67ELc78ELc85ELb0ELb0EfPKfPKS1_PKPfEviT_T9_T10_S7_lS9_S7_lS8_T11_S7_li
; %bb.0:
	s_clause 0x1
	s_load_dwordx4 s[12:15], s[4:5], 0x38
	s_load_dwordx4 s[0:3], s[4:5], 0x8
	s_waitcnt lgkmcnt(0)
	s_load_dword s22, s[14:15], 0x0
	s_load_dwordx2 s[10:11], s[4:5], 0x0
	s_load_dword s23, s[0:1], 0x0
	s_waitcnt lgkmcnt(0)
	v_cmp_neq_f32_e64 s0, s22, 1.0
	s_and_b32 vcc_lo, exec_lo, s0
	s_cbranch_vccnz .LBB294_2
; %bb.1:
	v_cmp_neq_f32_e64 s0, s23, 0
	s_cmp_lg_u32 s11, 0
	s_cselect_b32 s1, -1, 0
	s_and_b32 s0, s1, s0
.LBB294_2:
	s_andn2_b32 vcc_lo, exec_lo, s0
	s_cbranch_vccnz .LBB294_26
; %bb.3:
	s_load_dwordx2 s[0:1], s[4:5], 0x48
	s_mov_b32 s9, 0
	v_mov_b32_e32 v11, 0
	s_lshl_b64 s[20:21], s[8:9], 3
	v_mov_b32_e32 v8, 0
	v_mov_b32_e32 v7, 0
	v_mov_b32_e32 v6, 0
	s_waitcnt lgkmcnt(0)
	s_add_u32 s0, s0, s20
	s_addc_u32 s1, s1, s21
	s_lshl_b32 s6, s6, 5
	s_load_dwordx2 s[14:15], s[0:1], 0x0
	s_lshl_b32 s7, s7, 5
	v_cmp_eq_f32_e64 s0, s23, 0
	s_cmp_lt_i32 s11, 1
	s_cselect_b32 s1, -1, 0
	s_or_b32 s0, s0, s1
	s_and_b32 vcc_lo, exec_lo, s0
	s_cbranch_vccnz .LBB294_10
; %bb.4:
	s_clause 0x2
	s_load_dword s1, s[4:5], 0x18
	s_load_dwordx4 s[16:19], s[4:5], 0x20
	s_load_dword s8, s[4:5], 0x30
	v_lshl_add_u32 v2, v1, 4, v0
	v_and_b32_e32 v9, 7, v0
	v_lshlrev_b32_e32 v10, 2, v0
	v_lshl_add_u32 v12, v1, 5, 0x400
	v_mov_b32_e32 v11, 0
	v_and_b32_e32 v3, 31, v2
	v_lshrrev_b32_e32 v4, 3, v2
	v_lshlrev_b32_e32 v7, 2, v9
	v_lshrrev_b32_e32 v13, 5, v2
	v_or_b32_e32 v2, s6, v3
	v_lshlrev_b32_e32 v5, 2, v3
	v_add_nc_u32_e32 v3, s6, v3
	v_add_nc_u32_e32 v6, s7, v4
	v_lshl_or_b32 v4, v4, 5, v7
	v_cmp_gt_i32_e32 vcc_lo, s10, v2
	v_lshl_or_b32 v14, v13, 7, v5
	s_waitcnt lgkmcnt(0)
	v_mad_i64_i32 v[2:3], null, s1, v3, 0
	s_add_u32 s18, s18, s20
	s_addc_u32 s19, s19, s21
	s_add_u32 s2, s2, s20
	v_add_nc_u32_e32 v15, 0x400, v4
	v_mad_i64_i32 v[4:5], null, s8, v6, 0
	s_addc_u32 s3, s3, s21
	s_load_dwordx2 s[18:19], s[18:19], 0x0
	s_load_dwordx2 s[2:3], s[2:3], 0x0
	v_lshlrev_b64 v[2:3], 2, v[2:3]
	s_lshl_b64 s[16:17], s[16:17], 2
	v_lshlrev_b32_e32 v8, 2, v13
	v_lshlrev_b64 v[4:5], 2, v[4:5]
	s_lshl_b64 s[12:13], s[12:13], 2
	v_cmp_gt_i32_e64 s0, s10, v6
	v_add_co_u32 v2, s1, v2, s16
	v_add_co_ci_u32_e64 v3, null, s17, v3, s1
	v_add_co_u32 v4, s1, v4, s12
	v_add_co_ci_u32_e64 v5, null, s13, v5, s1
	;; [unrolled: 2-line block ×4, first 2 shown]
	s_waitcnt lgkmcnt(0)
	v_add_co_u32 v2, s1, s2, v2
	v_add_co_ci_u32_e64 v3, null, s3, v3, s1
	v_add_co_u32 v4, s1, s18, v4
	v_mov_b32_e32 v6, 0
	v_add_co_ci_u32_e64 v5, null, s19, v5, s1
	v_mov_b32_e32 v7, 0
	v_mov_b32_e32 v8, 0
	s_branch .LBB294_6
.LBB294_5:                              ;   in Loop: Header=BB294_6 Depth=1
	s_or_b32 exec_lo, exec_lo, s1
	s_waitcnt vmcnt(0) lgkmcnt(0)
	ds_write_b32 v15, v17
	s_waitcnt lgkmcnt(0)
	s_barrier
	buffer_gl0_inv
	ds_read_b128 v[16:19], v12
	ds_read2_b32 v[32:33], v10 offset1:16
	ds_read_b128 v[20:23], v12 offset:512
	ds_read2_b32 v[34:35], v10 offset0:32 offset1:48
	ds_read2_b32 v[36:37], v10 offset0:64 offset1:80
	;; [unrolled: 1-line block ×3, first 2 shown]
	ds_read_b128 v[24:27], v12 offset:16
	ds_read2_b32 v[40:41], v10 offset0:128 offset1:144
	ds_read_b128 v[28:31], v12 offset:528
	v_add_co_u32 v2, s1, v2, 32
	v_add_co_ci_u32_e64 v3, null, 0, v3, s1
	v_add_co_u32 v4, s1, v4, 32
	v_add_co_ci_u32_e64 v5, null, 0, v5, s1
	s_add_i32 s9, s9, 8
	s_cmp_lt_i32 s9, s11
	s_waitcnt lgkmcnt(7)
	v_fmac_f32_e32 v11, v32, v16
	v_fmac_f32_e32 v8, v33, v16
	s_waitcnt lgkmcnt(6)
	v_fmac_f32_e32 v7, v32, v20
	v_fmac_f32_e32 v6, v33, v20
	ds_read2_b32 v[32:33], v10 offset0:160 offset1:176
	s_waitcnt lgkmcnt(6)
	v_fmac_f32_e32 v11, v34, v17
	v_fmac_f32_e32 v8, v35, v17
	v_fmac_f32_e32 v7, v34, v21
	v_fmac_f32_e32 v6, v35, v21
	ds_read2_b32 v[16:17], v10 offset0:192 offset1:208
	s_waitcnt lgkmcnt(6)
	v_fmac_f32_e32 v11, v36, v18
	v_fmac_f32_e32 v8, v37, v18
	;; [unrolled: 6-line block ×3, first 2 shown]
	v_fmac_f32_e32 v7, v38, v23
	v_fmac_f32_e32 v6, v39, v23
	s_waitcnt lgkmcnt(0)
	v_fmac_f32_e32 v11, v40, v24
	v_fmac_f32_e32 v8, v41, v24
	;; [unrolled: 1-line block ×4, first 2 shown]
	s_barrier
	v_fmac_f32_e32 v11, v32, v25
	v_fmac_f32_e32 v8, v33, v25
	;; [unrolled: 1-line block ×4, first 2 shown]
	buffer_gl0_inv
	v_fmac_f32_e32 v11, v16, v26
	v_fmac_f32_e32 v8, v17, v26
	;; [unrolled: 1-line block ×8, first 2 shown]
	s_cbranch_scc0 .LBB294_10
.LBB294_6:                              ; =>This Inner Loop Header: Depth=1
	v_add_nc_u32_e32 v16, s9, v13
	v_cmp_gt_i32_e64 s1, s11, v16
	v_mov_b32_e32 v16, 0
	s_and_b32 s2, vcc_lo, s1
	s_and_saveexec_b32 s1, s2
	s_cbranch_execz .LBB294_8
; %bb.7:                                ;   in Loop: Header=BB294_6 Depth=1
	flat_load_dword v16, v[2:3]
.LBB294_8:                              ;   in Loop: Header=BB294_6 Depth=1
	s_or_b32 exec_lo, exec_lo, s1
	v_add_nc_u32_e32 v17, s9, v9
	s_waitcnt vmcnt(0) lgkmcnt(0)
	ds_write_b32 v14, v16
	v_cmp_gt_i32_e64 s1, s11, v17
	v_mov_b32_e32 v17, 0
	s_and_b32 s2, s1, s0
	s_and_saveexec_b32 s1, s2
	s_cbranch_execz .LBB294_5
; %bb.9:                                ;   in Loop: Header=BB294_6 Depth=1
	flat_load_dword v17, v[4:5]
	s_branch .LBB294_5
.LBB294_10:
	s_clause 0x1
	s_load_dword s2, s[4:5], 0x50
	s_load_dwordx2 s[4:5], s[4:5], 0x58
	v_add_nc_u32_e32 v10, s7, v1
	v_add_nc_u32_e32 v0, s6, v0
	v_cmp_gt_i32_e64 s0, s10, v10
	v_cmp_le_i32_e32 vcc_lo, v0, v10
	s_waitcnt lgkmcnt(0)
	v_mad_i64_i32 v[1:2], null, v10, s2, 0
	s_lshl_b64 s[4:5], s[4:5], 2
	s_add_u32 s3, s14, s4
	s_addc_u32 s4, s15, s5
	v_cmp_neq_f32_e64 s5, s22, 0
	s_and_b32 s6, s0, vcc_lo
	v_lshlrev_b64 v[2:3], 2, v[1:2]
	v_ashrrev_i32_e32 v1, 31, v0
	v_cndmask_b32_e64 v9, 0, 1, s5
	v_add_co_u32 v4, s1, s3, v2
	v_add_co_ci_u32_e64 v5, null, s4, v3, s1
	s_and_saveexec_b32 s1, s6
	s_cbranch_execz .LBB294_14
; %bb.11:
	v_lshlrev_b64 v[2:3], 2, v[0:1]
	v_mul_f32_e32 v11, s23, v11
	v_add_co_u32 v2, vcc_lo, v4, v2
	v_add_co_ci_u32_e64 v3, null, v5, v3, vcc_lo
	s_andn2_b32 vcc_lo, exec_lo, s5
	s_cbranch_vccnz .LBB294_13
; %bb.12:
	flat_load_dword v12, v[2:3]
	s_waitcnt vmcnt(0) lgkmcnt(0)
	v_fmac_f32_e32 v11, s22, v12
.LBB294_13:
	flat_store_dword v[2:3], v11
.LBB294_14:
	s_or_b32 exec_lo, exec_lo, s1
	v_add_nc_u32_e32 v2, 16, v0
	v_cmp_le_i32_e32 vcc_lo, v2, v10
	v_ashrrev_i32_e32 v3, 31, v2
	s_and_b32 s0, s0, vcc_lo
	s_and_saveexec_b32 s1, s0
	s_cbranch_execz .LBB294_18
; %bb.15:
	v_lshlrev_b64 v[11:12], 2, v[2:3]
	v_cmp_ne_u32_e32 vcc_lo, 1, v9
	v_mul_f32_e32 v8, s23, v8
	v_add_co_u32 v4, s0, v4, v11
	v_add_co_ci_u32_e64 v5, null, v5, v12, s0
	s_cbranch_vccnz .LBB294_17
; %bb.16:
	flat_load_dword v11, v[4:5]
	s_waitcnt vmcnt(0) lgkmcnt(0)
	v_fmac_f32_e32 v8, s22, v11
.LBB294_17:
	flat_store_dword v[4:5], v8
.LBB294_18:
	s_or_b32 exec_lo, exec_lo, s1
	v_add_nc_u32_e32 v8, 16, v10
	v_mad_i64_i32 v[4:5], null, v8, s2, 0
	v_cmp_gt_i32_e64 s0, s10, v8
	v_cmp_le_i32_e32 vcc_lo, v0, v8
	v_lshlrev_b64 v[4:5], 2, v[4:5]
	v_add_co_u32 v4, s1, s3, v4
	v_add_co_ci_u32_e64 v5, null, s4, v5, s1
	s_and_b32 s1, s0, vcc_lo
	s_and_saveexec_b32 s2, s1
	s_cbranch_execz .LBB294_22
; %bb.19:
	v_lshlrev_b64 v[0:1], 2, v[0:1]
	v_cmp_ne_u32_e32 vcc_lo, 1, v9
	v_mul_f32_e32 v7, s23, v7
	v_add_co_u32 v0, s1, v4, v0
	v_add_co_ci_u32_e64 v1, null, v5, v1, s1
	s_cbranch_vccnz .LBB294_21
; %bb.20:
	flat_load_dword v10, v[0:1]
	s_waitcnt vmcnt(0) lgkmcnt(0)
	v_fmac_f32_e32 v7, s22, v10
.LBB294_21:
	flat_store_dword v[0:1], v7
.LBB294_22:
	s_or_b32 exec_lo, exec_lo, s2
	v_cmp_le_i32_e32 vcc_lo, v2, v8
	s_and_b32 s0, s0, vcc_lo
	s_and_saveexec_b32 s1, s0
	s_cbranch_execz .LBB294_26
; %bb.23:
	v_lshlrev_b64 v[0:1], 2, v[2:3]
	v_cmp_ne_u32_e32 vcc_lo, 1, v9
	v_mul_f32_e32 v2, s23, v6
	v_add_co_u32 v0, s0, v4, v0
	v_add_co_ci_u32_e64 v1, null, v5, v1, s0
	s_cbranch_vccnz .LBB294_25
; %bb.24:
	flat_load_dword v3, v[0:1]
	s_waitcnt vmcnt(0) lgkmcnt(0)
	v_fmac_f32_e32 v2, s22, v3
.LBB294_25:
	flat_store_dword v[0:1], v2
.LBB294_26:
	s_endpgm
	.section	.rodata,"a",@progbits
	.p2align	6, 0x0
	.amdhsa_kernel _ZL29rocblas_internal_gemmt_kernelIiLi16ELi32ELi8ELc67ELc78ELc85ELb0ELb0EfPKfPKS1_PKPfEviT_T9_T10_S7_lS9_S7_lS8_T11_S7_li
		.amdhsa_group_segment_fixed_size 2048
		.amdhsa_private_segment_fixed_size 0
		.amdhsa_kernarg_size 100
		.amdhsa_user_sgpr_count 6
		.amdhsa_user_sgpr_private_segment_buffer 1
		.amdhsa_user_sgpr_dispatch_ptr 0
		.amdhsa_user_sgpr_queue_ptr 0
		.amdhsa_user_sgpr_kernarg_segment_ptr 1
		.amdhsa_user_sgpr_dispatch_id 0
		.amdhsa_user_sgpr_flat_scratch_init 0
		.amdhsa_user_sgpr_private_segment_size 0
		.amdhsa_wavefront_size32 1
		.amdhsa_uses_dynamic_stack 0
		.amdhsa_system_sgpr_private_segment_wavefront_offset 0
		.amdhsa_system_sgpr_workgroup_id_x 1
		.amdhsa_system_sgpr_workgroup_id_y 1
		.amdhsa_system_sgpr_workgroup_id_z 1
		.amdhsa_system_sgpr_workgroup_info 0
		.amdhsa_system_vgpr_workitem_id 1
		.amdhsa_next_free_vgpr 42
		.amdhsa_next_free_sgpr 24
		.amdhsa_reserve_vcc 1
		.amdhsa_reserve_flat_scratch 0
		.amdhsa_float_round_mode_32 0
		.amdhsa_float_round_mode_16_64 0
		.amdhsa_float_denorm_mode_32 3
		.amdhsa_float_denorm_mode_16_64 3
		.amdhsa_dx10_clamp 1
		.amdhsa_ieee_mode 1
		.amdhsa_fp16_overflow 0
		.amdhsa_workgroup_processor_mode 1
		.amdhsa_memory_ordered 1
		.amdhsa_forward_progress 1
		.amdhsa_shared_vgpr_count 0
		.amdhsa_exception_fp_ieee_invalid_op 0
		.amdhsa_exception_fp_denorm_src 0
		.amdhsa_exception_fp_ieee_div_zero 0
		.amdhsa_exception_fp_ieee_overflow 0
		.amdhsa_exception_fp_ieee_underflow 0
		.amdhsa_exception_fp_ieee_inexact 0
		.amdhsa_exception_int_div_zero 0
	.end_amdhsa_kernel
	.section	.text._ZL29rocblas_internal_gemmt_kernelIiLi16ELi32ELi8ELc67ELc78ELc85ELb0ELb0EfPKfPKS1_PKPfEviT_T9_T10_S7_lS9_S7_lS8_T11_S7_li,"axG",@progbits,_ZL29rocblas_internal_gemmt_kernelIiLi16ELi32ELi8ELc67ELc78ELc85ELb0ELb0EfPKfPKS1_PKPfEviT_T9_T10_S7_lS9_S7_lS8_T11_S7_li,comdat
.Lfunc_end294:
	.size	_ZL29rocblas_internal_gemmt_kernelIiLi16ELi32ELi8ELc67ELc78ELc85ELb0ELb0EfPKfPKS1_PKPfEviT_T9_T10_S7_lS9_S7_lS8_T11_S7_li, .Lfunc_end294-_ZL29rocblas_internal_gemmt_kernelIiLi16ELi32ELi8ELc67ELc78ELc85ELb0ELb0EfPKfPKS1_PKPfEviT_T9_T10_S7_lS9_S7_lS8_T11_S7_li
                                        ; -- End function
	.set _ZL29rocblas_internal_gemmt_kernelIiLi16ELi32ELi8ELc67ELc78ELc85ELb0ELb0EfPKfPKS1_PKPfEviT_T9_T10_S7_lS9_S7_lS8_T11_S7_li.num_vgpr, 42
	.set _ZL29rocblas_internal_gemmt_kernelIiLi16ELi32ELi8ELc67ELc78ELc85ELb0ELb0EfPKfPKS1_PKPfEviT_T9_T10_S7_lS9_S7_lS8_T11_S7_li.num_agpr, 0
	.set _ZL29rocblas_internal_gemmt_kernelIiLi16ELi32ELi8ELc67ELc78ELc85ELb0ELb0EfPKfPKS1_PKPfEviT_T9_T10_S7_lS9_S7_lS8_T11_S7_li.numbered_sgpr, 24
	.set _ZL29rocblas_internal_gemmt_kernelIiLi16ELi32ELi8ELc67ELc78ELc85ELb0ELb0EfPKfPKS1_PKPfEviT_T9_T10_S7_lS9_S7_lS8_T11_S7_li.num_named_barrier, 0
	.set _ZL29rocblas_internal_gemmt_kernelIiLi16ELi32ELi8ELc67ELc78ELc85ELb0ELb0EfPKfPKS1_PKPfEviT_T9_T10_S7_lS9_S7_lS8_T11_S7_li.private_seg_size, 0
	.set _ZL29rocblas_internal_gemmt_kernelIiLi16ELi32ELi8ELc67ELc78ELc85ELb0ELb0EfPKfPKS1_PKPfEviT_T9_T10_S7_lS9_S7_lS8_T11_S7_li.uses_vcc, 1
	.set _ZL29rocblas_internal_gemmt_kernelIiLi16ELi32ELi8ELc67ELc78ELc85ELb0ELb0EfPKfPKS1_PKPfEviT_T9_T10_S7_lS9_S7_lS8_T11_S7_li.uses_flat_scratch, 0
	.set _ZL29rocblas_internal_gemmt_kernelIiLi16ELi32ELi8ELc67ELc78ELc85ELb0ELb0EfPKfPKS1_PKPfEviT_T9_T10_S7_lS9_S7_lS8_T11_S7_li.has_dyn_sized_stack, 0
	.set _ZL29rocblas_internal_gemmt_kernelIiLi16ELi32ELi8ELc67ELc78ELc85ELb0ELb0EfPKfPKS1_PKPfEviT_T9_T10_S7_lS9_S7_lS8_T11_S7_li.has_recursion, 0
	.set _ZL29rocblas_internal_gemmt_kernelIiLi16ELi32ELi8ELc67ELc78ELc85ELb0ELb0EfPKfPKS1_PKPfEviT_T9_T10_S7_lS9_S7_lS8_T11_S7_li.has_indirect_call, 0
	.section	.AMDGPU.csdata,"",@progbits
; Kernel info:
; codeLenInByte = 1412
; TotalNumSgprs: 26
; NumVgprs: 42
; ScratchSize: 0
; MemoryBound: 0
; FloatMode: 240
; IeeeMode: 1
; LDSByteSize: 2048 bytes/workgroup (compile time only)
; SGPRBlocks: 0
; VGPRBlocks: 5
; NumSGPRsForWavesPerEU: 26
; NumVGPRsForWavesPerEU: 42
; Occupancy: 16
; WaveLimiterHint : 1
; COMPUTE_PGM_RSRC2:SCRATCH_EN: 0
; COMPUTE_PGM_RSRC2:USER_SGPR: 6
; COMPUTE_PGM_RSRC2:TRAP_HANDLER: 0
; COMPUTE_PGM_RSRC2:TGID_X_EN: 1
; COMPUTE_PGM_RSRC2:TGID_Y_EN: 1
; COMPUTE_PGM_RSRC2:TGID_Z_EN: 1
; COMPUTE_PGM_RSRC2:TIDIG_COMP_CNT: 1
	.section	.text._ZL29rocblas_internal_gemmt_kernelIiLi16ELi32ELi8ELc67ELc84ELc85ELb0ELb0EfPKfPKS1_PKPfEviT_T9_T10_S7_lS9_S7_lS8_T11_S7_li,"axG",@progbits,_ZL29rocblas_internal_gemmt_kernelIiLi16ELi32ELi8ELc67ELc84ELc85ELb0ELb0EfPKfPKS1_PKPfEviT_T9_T10_S7_lS9_S7_lS8_T11_S7_li,comdat
	.globl	_ZL29rocblas_internal_gemmt_kernelIiLi16ELi32ELi8ELc67ELc84ELc85ELb0ELb0EfPKfPKS1_PKPfEviT_T9_T10_S7_lS9_S7_lS8_T11_S7_li ; -- Begin function _ZL29rocblas_internal_gemmt_kernelIiLi16ELi32ELi8ELc67ELc84ELc85ELb0ELb0EfPKfPKS1_PKPfEviT_T9_T10_S7_lS9_S7_lS8_T11_S7_li
	.p2align	8
	.type	_ZL29rocblas_internal_gemmt_kernelIiLi16ELi32ELi8ELc67ELc84ELc85ELb0ELb0EfPKfPKS1_PKPfEviT_T9_T10_S7_lS9_S7_lS8_T11_S7_li,@function
_ZL29rocblas_internal_gemmt_kernelIiLi16ELi32ELi8ELc67ELc84ELc85ELb0ELb0EfPKfPKS1_PKPfEviT_T9_T10_S7_lS9_S7_lS8_T11_S7_li: ; @_ZL29rocblas_internal_gemmt_kernelIiLi16ELi32ELi8ELc67ELc84ELc85ELb0ELb0EfPKfPKS1_PKPfEviT_T9_T10_S7_lS9_S7_lS8_T11_S7_li
; %bb.0:
	s_clause 0x1
	s_load_dwordx4 s[12:15], s[4:5], 0x38
	s_load_dwordx4 s[0:3], s[4:5], 0x8
	s_waitcnt lgkmcnt(0)
	s_load_dword s20, s[14:15], 0x0
	s_load_dwordx2 s[10:11], s[4:5], 0x0
	s_load_dword s21, s[0:1], 0x0
	s_waitcnt lgkmcnt(0)
	v_cmp_neq_f32_e64 s0, s20, 1.0
	s_and_b32 vcc_lo, exec_lo, s0
	s_cbranch_vccnz .LBB295_2
; %bb.1:
	v_cmp_neq_f32_e64 s0, s21, 0
	s_cmp_lg_u32 s11, 0
	s_cselect_b32 s1, -1, 0
	s_and_b32 s0, s1, s0
.LBB295_2:
	s_andn2_b32 vcc_lo, exec_lo, s0
	s_cbranch_vccnz .LBB295_26
; %bb.3:
	s_load_dwordx2 s[14:15], s[4:5], 0x48
	s_mov_b32 s9, 0
	v_mov_b32_e32 v11, 0
	s_lshl_b64 s[0:1], s[8:9], 3
	v_mov_b32_e32 v8, 0
	v_mov_b32_e32 v7, 0
	;; [unrolled: 1-line block ×3, first 2 shown]
	s_waitcnt lgkmcnt(0)
	s_add_u32 s14, s14, s0
	s_addc_u32 s15, s15, s1
	s_lshl_b32 s8, s6, 5
	s_load_dwordx2 s[14:15], s[14:15], 0x0
	s_lshl_b32 s22, s7, 5
	v_cmp_eq_f32_e64 s6, s21, 0
	s_cmp_lt_i32 s11, 1
	s_cselect_b32 s7, -1, 0
	s_or_b32 s6, s6, s7
	s_and_b32 vcc_lo, exec_lo, s6
	s_cbranch_vccnz .LBB295_10
; %bb.4:
	s_clause 0x2
	s_load_dword s6, s[4:5], 0x30
	s_load_dword s23, s[4:5], 0x18
	s_load_dwordx4 s[16:19], s[4:5], 0x20
	v_lshl_add_u32 v2, v1, 4, v0
	v_and_b32_e32 v9, 7, v0
	v_lshlrev_b32_e32 v14, 2, v0
	v_lshl_add_u32 v15, v1, 5, 0x400
	v_and_b32_e32 v3, 31, v2
	v_lshrrev_b32_e32 v4, 3, v2
	v_lshlrev_b32_e32 v5, 2, v9
	v_lshrrev_b32_e32 v10, 5, v2
	v_or_b32_e32 v6, s8, v3
	v_lshlrev_b32_e32 v7, 2, v3
	v_add_nc_u32_e32 v3, s8, v3
	v_add_nc_u32_e32 v2, s22, v4
	v_lshl_or_b32 v8, v4, 5, v5
	v_cmp_gt_i32_e32 vcc_lo, s10, v6
	v_lshl_or_b32 v12, v10, 7, v7
	s_waitcnt lgkmcnt(0)
	s_ashr_i32 s7, s6, 31
	v_mad_i64_i32 v[4:5], null, s23, v3, 0
	s_add_u32 s18, s18, s0
	s_addc_u32 s19, s19, s1
	v_mad_i64_i32 v[6:7], null, s6, v9, 0
	s_add_u32 s0, s2, s0
	s_addc_u32 s1, s3, s1
	s_load_dwordx2 s[2:3], s[18:19], 0x0
	s_load_dwordx2 s[18:19], s[0:1], 0x0
	v_lshlrev_b64 v[4:5], 2, v[4:5]
	v_add_nc_u32_e32 v13, 0x400, v8
	v_ashrrev_i32_e32 v3, 31, v2
	v_lshlrev_b64 v[7:8], 2, v[6:7]
	s_lshl_b64 s[16:17], s[16:17], 2
	v_lshlrev_b32_e32 v11, 2, v10
	v_add_co_u32 v4, s1, v4, s16
	s_lshl_b64 s[12:13], s[12:13], 2
	v_cmp_gt_i32_e64 s0, s10, v2
	v_lshlrev_b64 v[2:3], 2, v[2:3]
	v_add_co_ci_u32_e64 v5, null, s17, v5, s1
	v_add_co_u32 v7, s1, v7, s12
	v_add_co_ci_u32_e64 v8, null, s13, v8, s1
	v_add_co_u32 v4, s1, v4, v11
	v_add_co_ci_u32_e64 v5, null, 0, v5, s1
	v_add_co_u32 v7, s1, v7, v2
	v_add_co_ci_u32_e64 v8, null, v8, v3, s1
	s_waitcnt lgkmcnt(0)
	v_add_co_u32 v2, s1, s18, v4
	v_add_co_ci_u32_e64 v3, null, s19, v5, s1
	v_add_co_u32 v4, s1, s2, v7
	v_mov_b32_e32 v6, 0
	v_add_co_ci_u32_e64 v5, null, s3, v8, s1
	v_mov_b32_e32 v7, 0
	v_mov_b32_e32 v8, 0
	;; [unrolled: 1-line block ×3, first 2 shown]
	s_lshl_b64 s[2:3], s[6:7], 5
	s_branch .LBB295_6
.LBB295_5:                              ;   in Loop: Header=BB295_6 Depth=1
	s_or_b32 exec_lo, exec_lo, s1
	s_waitcnt vmcnt(0) lgkmcnt(0)
	ds_write_b32 v13, v17
	s_waitcnt lgkmcnt(0)
	s_barrier
	buffer_gl0_inv
	ds_read_b128 v[16:19], v15
	ds_read2_b32 v[32:33], v14 offset1:16
	ds_read_b128 v[20:23], v15 offset:512
	ds_read2_b32 v[34:35], v14 offset0:32 offset1:48
	ds_read2_b32 v[36:37], v14 offset0:64 offset1:80
	;; [unrolled: 1-line block ×3, first 2 shown]
	ds_read_b128 v[24:27], v15 offset:16
	ds_read2_b32 v[40:41], v14 offset0:128 offset1:144
	ds_read_b128 v[28:31], v15 offset:528
	v_add_co_u32 v2, s1, v2, 32
	v_add_co_ci_u32_e64 v3, null, 0, v3, s1
	v_add_co_u32 v4, s1, v4, s2
	v_add_co_ci_u32_e64 v5, null, s3, v5, s1
	s_add_i32 s9, s9, 8
	s_cmp_lt_i32 s9, s11
	s_waitcnt lgkmcnt(7)
	v_fmac_f32_e32 v11, v32, v16
	v_fmac_f32_e32 v8, v33, v16
	s_waitcnt lgkmcnt(6)
	v_fmac_f32_e32 v7, v32, v20
	v_fmac_f32_e32 v6, v33, v20
	ds_read2_b32 v[32:33], v14 offset0:160 offset1:176
	s_waitcnt lgkmcnt(6)
	v_fmac_f32_e32 v11, v34, v17
	v_fmac_f32_e32 v8, v35, v17
	v_fmac_f32_e32 v7, v34, v21
	v_fmac_f32_e32 v6, v35, v21
	ds_read2_b32 v[16:17], v14 offset0:192 offset1:208
	s_waitcnt lgkmcnt(6)
	v_fmac_f32_e32 v11, v36, v18
	v_fmac_f32_e32 v8, v37, v18
	v_fmac_f32_e32 v7, v36, v22
	v_fmac_f32_e32 v6, v37, v22
	ds_read2_b32 v[20:21], v14 offset0:224 offset1:240
	s_waitcnt lgkmcnt(6)
	v_fmac_f32_e32 v11, v38, v19
	v_fmac_f32_e32 v8, v39, v19
	v_fmac_f32_e32 v7, v38, v23
	v_fmac_f32_e32 v6, v39, v23
	s_waitcnt lgkmcnt(0)
	v_fmac_f32_e32 v11, v40, v24
	v_fmac_f32_e32 v8, v41, v24
	;; [unrolled: 1-line block ×4, first 2 shown]
	s_barrier
	v_fmac_f32_e32 v11, v32, v25
	v_fmac_f32_e32 v8, v33, v25
	;; [unrolled: 1-line block ×4, first 2 shown]
	buffer_gl0_inv
	v_fmac_f32_e32 v11, v16, v26
	v_fmac_f32_e32 v8, v17, v26
	;; [unrolled: 1-line block ×8, first 2 shown]
	s_cbranch_scc0 .LBB295_10
.LBB295_6:                              ; =>This Inner Loop Header: Depth=1
	v_add_nc_u32_e32 v16, s9, v10
	v_cmp_gt_i32_e64 s1, s11, v16
	v_mov_b32_e32 v16, 0
	s_and_b32 s6, vcc_lo, s1
	s_and_saveexec_b32 s1, s6
	s_cbranch_execz .LBB295_8
; %bb.7:                                ;   in Loop: Header=BB295_6 Depth=1
	flat_load_dword v16, v[2:3]
.LBB295_8:                              ;   in Loop: Header=BB295_6 Depth=1
	s_or_b32 exec_lo, exec_lo, s1
	v_add_nc_u32_e32 v17, s9, v9
	s_waitcnt vmcnt(0) lgkmcnt(0)
	ds_write_b32 v12, v16
	v_cmp_gt_i32_e64 s1, s11, v17
	v_mov_b32_e32 v17, 0
	s_and_b32 s6, s1, s0
	s_and_saveexec_b32 s1, s6
	s_cbranch_execz .LBB295_5
; %bb.9:                                ;   in Loop: Header=BB295_6 Depth=1
	flat_load_dword v17, v[4:5]
	s_branch .LBB295_5
.LBB295_10:
	s_clause 0x1
	s_load_dword s2, s[4:5], 0x50
	s_load_dwordx2 s[4:5], s[4:5], 0x58
	v_add_nc_u32_e32 v10, s22, v1
	v_add_nc_u32_e32 v0, s8, v0
	v_cmp_gt_i32_e64 s0, s10, v10
	v_cmp_le_i32_e32 vcc_lo, v0, v10
	s_waitcnt lgkmcnt(0)
	v_mad_i64_i32 v[1:2], null, v10, s2, 0
	s_lshl_b64 s[4:5], s[4:5], 2
	s_add_u32 s3, s14, s4
	s_addc_u32 s4, s15, s5
	v_cmp_neq_f32_e64 s5, s20, 0
	s_and_b32 s6, s0, vcc_lo
	v_lshlrev_b64 v[2:3], 2, v[1:2]
	v_ashrrev_i32_e32 v1, 31, v0
	v_cndmask_b32_e64 v9, 0, 1, s5
	v_add_co_u32 v4, s1, s3, v2
	v_add_co_ci_u32_e64 v5, null, s4, v3, s1
	s_and_saveexec_b32 s1, s6
	s_cbranch_execz .LBB295_14
; %bb.11:
	v_lshlrev_b64 v[2:3], 2, v[0:1]
	v_mul_f32_e32 v11, s21, v11
	v_add_co_u32 v2, vcc_lo, v4, v2
	v_add_co_ci_u32_e64 v3, null, v5, v3, vcc_lo
	s_andn2_b32 vcc_lo, exec_lo, s5
	s_cbranch_vccnz .LBB295_13
; %bb.12:
	flat_load_dword v12, v[2:3]
	s_waitcnt vmcnt(0) lgkmcnt(0)
	v_fmac_f32_e32 v11, s20, v12
.LBB295_13:
	flat_store_dword v[2:3], v11
.LBB295_14:
	s_or_b32 exec_lo, exec_lo, s1
	v_add_nc_u32_e32 v2, 16, v0
	v_cmp_le_i32_e32 vcc_lo, v2, v10
	v_ashrrev_i32_e32 v3, 31, v2
	s_and_b32 s0, s0, vcc_lo
	s_and_saveexec_b32 s1, s0
	s_cbranch_execz .LBB295_18
; %bb.15:
	v_lshlrev_b64 v[11:12], 2, v[2:3]
	v_cmp_ne_u32_e32 vcc_lo, 1, v9
	v_mul_f32_e32 v8, s21, v8
	v_add_co_u32 v4, s0, v4, v11
	v_add_co_ci_u32_e64 v5, null, v5, v12, s0
	s_cbranch_vccnz .LBB295_17
; %bb.16:
	flat_load_dword v11, v[4:5]
	s_waitcnt vmcnt(0) lgkmcnt(0)
	v_fmac_f32_e32 v8, s20, v11
.LBB295_17:
	flat_store_dword v[4:5], v8
.LBB295_18:
	s_or_b32 exec_lo, exec_lo, s1
	v_add_nc_u32_e32 v8, 16, v10
	v_mad_i64_i32 v[4:5], null, v8, s2, 0
	v_cmp_gt_i32_e64 s0, s10, v8
	v_cmp_le_i32_e32 vcc_lo, v0, v8
	v_lshlrev_b64 v[4:5], 2, v[4:5]
	v_add_co_u32 v4, s1, s3, v4
	v_add_co_ci_u32_e64 v5, null, s4, v5, s1
	s_and_b32 s1, s0, vcc_lo
	s_and_saveexec_b32 s2, s1
	s_cbranch_execz .LBB295_22
; %bb.19:
	v_lshlrev_b64 v[0:1], 2, v[0:1]
	v_cmp_ne_u32_e32 vcc_lo, 1, v9
	v_mul_f32_e32 v7, s21, v7
	v_add_co_u32 v0, s1, v4, v0
	v_add_co_ci_u32_e64 v1, null, v5, v1, s1
	s_cbranch_vccnz .LBB295_21
; %bb.20:
	flat_load_dword v10, v[0:1]
	s_waitcnt vmcnt(0) lgkmcnt(0)
	v_fmac_f32_e32 v7, s20, v10
.LBB295_21:
	flat_store_dword v[0:1], v7
.LBB295_22:
	s_or_b32 exec_lo, exec_lo, s2
	v_cmp_le_i32_e32 vcc_lo, v2, v8
	s_and_b32 s0, s0, vcc_lo
	s_and_saveexec_b32 s1, s0
	s_cbranch_execz .LBB295_26
; %bb.23:
	v_lshlrev_b64 v[0:1], 2, v[2:3]
	v_cmp_ne_u32_e32 vcc_lo, 1, v9
	v_mul_f32_e32 v2, s21, v6
	v_add_co_u32 v0, s0, v4, v0
	v_add_co_ci_u32_e64 v1, null, v5, v1, s0
	s_cbranch_vccnz .LBB295_25
; %bb.24:
	flat_load_dword v3, v[0:1]
	s_waitcnt vmcnt(0) lgkmcnt(0)
	v_fmac_f32_e32 v2, s20, v3
.LBB295_25:
	flat_store_dword v[0:1], v2
.LBB295_26:
	s_endpgm
	.section	.rodata,"a",@progbits
	.p2align	6, 0x0
	.amdhsa_kernel _ZL29rocblas_internal_gemmt_kernelIiLi16ELi32ELi8ELc67ELc84ELc85ELb0ELb0EfPKfPKS1_PKPfEviT_T9_T10_S7_lS9_S7_lS8_T11_S7_li
		.amdhsa_group_segment_fixed_size 2048
		.amdhsa_private_segment_fixed_size 0
		.amdhsa_kernarg_size 100
		.amdhsa_user_sgpr_count 6
		.amdhsa_user_sgpr_private_segment_buffer 1
		.amdhsa_user_sgpr_dispatch_ptr 0
		.amdhsa_user_sgpr_queue_ptr 0
		.amdhsa_user_sgpr_kernarg_segment_ptr 1
		.amdhsa_user_sgpr_dispatch_id 0
		.amdhsa_user_sgpr_flat_scratch_init 0
		.amdhsa_user_sgpr_private_segment_size 0
		.amdhsa_wavefront_size32 1
		.amdhsa_uses_dynamic_stack 0
		.amdhsa_system_sgpr_private_segment_wavefront_offset 0
		.amdhsa_system_sgpr_workgroup_id_x 1
		.amdhsa_system_sgpr_workgroup_id_y 1
		.amdhsa_system_sgpr_workgroup_id_z 1
		.amdhsa_system_sgpr_workgroup_info 0
		.amdhsa_system_vgpr_workitem_id 1
		.amdhsa_next_free_vgpr 42
		.amdhsa_next_free_sgpr 24
		.amdhsa_reserve_vcc 1
		.amdhsa_reserve_flat_scratch 0
		.amdhsa_float_round_mode_32 0
		.amdhsa_float_round_mode_16_64 0
		.amdhsa_float_denorm_mode_32 3
		.amdhsa_float_denorm_mode_16_64 3
		.amdhsa_dx10_clamp 1
		.amdhsa_ieee_mode 1
		.amdhsa_fp16_overflow 0
		.amdhsa_workgroup_processor_mode 1
		.amdhsa_memory_ordered 1
		.amdhsa_forward_progress 1
		.amdhsa_shared_vgpr_count 0
		.amdhsa_exception_fp_ieee_invalid_op 0
		.amdhsa_exception_fp_denorm_src 0
		.amdhsa_exception_fp_ieee_div_zero 0
		.amdhsa_exception_fp_ieee_overflow 0
		.amdhsa_exception_fp_ieee_underflow 0
		.amdhsa_exception_fp_ieee_inexact 0
		.amdhsa_exception_int_div_zero 0
	.end_amdhsa_kernel
	.section	.text._ZL29rocblas_internal_gemmt_kernelIiLi16ELi32ELi8ELc67ELc84ELc85ELb0ELb0EfPKfPKS1_PKPfEviT_T9_T10_S7_lS9_S7_lS8_T11_S7_li,"axG",@progbits,_ZL29rocblas_internal_gemmt_kernelIiLi16ELi32ELi8ELc67ELc84ELc85ELb0ELb0EfPKfPKS1_PKPfEviT_T9_T10_S7_lS9_S7_lS8_T11_S7_li,comdat
.Lfunc_end295:
	.size	_ZL29rocblas_internal_gemmt_kernelIiLi16ELi32ELi8ELc67ELc84ELc85ELb0ELb0EfPKfPKS1_PKPfEviT_T9_T10_S7_lS9_S7_lS8_T11_S7_li, .Lfunc_end295-_ZL29rocblas_internal_gemmt_kernelIiLi16ELi32ELi8ELc67ELc84ELc85ELb0ELb0EfPKfPKS1_PKPfEviT_T9_T10_S7_lS9_S7_lS8_T11_S7_li
                                        ; -- End function
	.set _ZL29rocblas_internal_gemmt_kernelIiLi16ELi32ELi8ELc67ELc84ELc85ELb0ELb0EfPKfPKS1_PKPfEviT_T9_T10_S7_lS9_S7_lS8_T11_S7_li.num_vgpr, 42
	.set _ZL29rocblas_internal_gemmt_kernelIiLi16ELi32ELi8ELc67ELc84ELc85ELb0ELb0EfPKfPKS1_PKPfEviT_T9_T10_S7_lS9_S7_lS8_T11_S7_li.num_agpr, 0
	.set _ZL29rocblas_internal_gemmt_kernelIiLi16ELi32ELi8ELc67ELc84ELc85ELb0ELb0EfPKfPKS1_PKPfEviT_T9_T10_S7_lS9_S7_lS8_T11_S7_li.numbered_sgpr, 24
	.set _ZL29rocblas_internal_gemmt_kernelIiLi16ELi32ELi8ELc67ELc84ELc85ELb0ELb0EfPKfPKS1_PKPfEviT_T9_T10_S7_lS9_S7_lS8_T11_S7_li.num_named_barrier, 0
	.set _ZL29rocblas_internal_gemmt_kernelIiLi16ELi32ELi8ELc67ELc84ELc85ELb0ELb0EfPKfPKS1_PKPfEviT_T9_T10_S7_lS9_S7_lS8_T11_S7_li.private_seg_size, 0
	.set _ZL29rocblas_internal_gemmt_kernelIiLi16ELi32ELi8ELc67ELc84ELc85ELb0ELb0EfPKfPKS1_PKPfEviT_T9_T10_S7_lS9_S7_lS8_T11_S7_li.uses_vcc, 1
	.set _ZL29rocblas_internal_gemmt_kernelIiLi16ELi32ELi8ELc67ELc84ELc85ELb0ELb0EfPKfPKS1_PKPfEviT_T9_T10_S7_lS9_S7_lS8_T11_S7_li.uses_flat_scratch, 0
	.set _ZL29rocblas_internal_gemmt_kernelIiLi16ELi32ELi8ELc67ELc84ELc85ELb0ELb0EfPKfPKS1_PKPfEviT_T9_T10_S7_lS9_S7_lS8_T11_S7_li.has_dyn_sized_stack, 0
	.set _ZL29rocblas_internal_gemmt_kernelIiLi16ELi32ELi8ELc67ELc84ELc85ELb0ELb0EfPKfPKS1_PKPfEviT_T9_T10_S7_lS9_S7_lS8_T11_S7_li.has_recursion, 0
	.set _ZL29rocblas_internal_gemmt_kernelIiLi16ELi32ELi8ELc67ELc84ELc85ELb0ELb0EfPKfPKS1_PKPfEviT_T9_T10_S7_lS9_S7_lS8_T11_S7_li.has_indirect_call, 0
	.section	.AMDGPU.csdata,"",@progbits
; Kernel info:
; codeLenInByte = 1432
; TotalNumSgprs: 26
; NumVgprs: 42
; ScratchSize: 0
; MemoryBound: 0
; FloatMode: 240
; IeeeMode: 1
; LDSByteSize: 2048 bytes/workgroup (compile time only)
; SGPRBlocks: 0
; VGPRBlocks: 5
; NumSGPRsForWavesPerEU: 26
; NumVGPRsForWavesPerEU: 42
; Occupancy: 16
; WaveLimiterHint : 1
; COMPUTE_PGM_RSRC2:SCRATCH_EN: 0
; COMPUTE_PGM_RSRC2:USER_SGPR: 6
; COMPUTE_PGM_RSRC2:TRAP_HANDLER: 0
; COMPUTE_PGM_RSRC2:TGID_X_EN: 1
; COMPUTE_PGM_RSRC2:TGID_Y_EN: 1
; COMPUTE_PGM_RSRC2:TGID_Z_EN: 1
; COMPUTE_PGM_RSRC2:TIDIG_COMP_CNT: 1
	.section	.text._ZL29rocblas_internal_gemmt_kernelIiLi16ELi32ELi8ELc67ELc67ELc85ELb0ELb0EfPKfPKS1_PKPfEviT_T9_T10_S7_lS9_S7_lS8_T11_S7_li,"axG",@progbits,_ZL29rocblas_internal_gemmt_kernelIiLi16ELi32ELi8ELc67ELc67ELc85ELb0ELb0EfPKfPKS1_PKPfEviT_T9_T10_S7_lS9_S7_lS8_T11_S7_li,comdat
	.globl	_ZL29rocblas_internal_gemmt_kernelIiLi16ELi32ELi8ELc67ELc67ELc85ELb0ELb0EfPKfPKS1_PKPfEviT_T9_T10_S7_lS9_S7_lS8_T11_S7_li ; -- Begin function _ZL29rocblas_internal_gemmt_kernelIiLi16ELi32ELi8ELc67ELc67ELc85ELb0ELb0EfPKfPKS1_PKPfEviT_T9_T10_S7_lS9_S7_lS8_T11_S7_li
	.p2align	8
	.type	_ZL29rocblas_internal_gemmt_kernelIiLi16ELi32ELi8ELc67ELc67ELc85ELb0ELb0EfPKfPKS1_PKPfEviT_T9_T10_S7_lS9_S7_lS8_T11_S7_li,@function
_ZL29rocblas_internal_gemmt_kernelIiLi16ELi32ELi8ELc67ELc67ELc85ELb0ELb0EfPKfPKS1_PKPfEviT_T9_T10_S7_lS9_S7_lS8_T11_S7_li: ; @_ZL29rocblas_internal_gemmt_kernelIiLi16ELi32ELi8ELc67ELc67ELc85ELb0ELb0EfPKfPKS1_PKPfEviT_T9_T10_S7_lS9_S7_lS8_T11_S7_li
; %bb.0:
	s_clause 0x1
	s_load_dwordx4 s[12:15], s[4:5], 0x38
	s_load_dwordx4 s[0:3], s[4:5], 0x8
	s_waitcnt lgkmcnt(0)
	s_load_dword s20, s[14:15], 0x0
	s_load_dwordx2 s[10:11], s[4:5], 0x0
	s_load_dword s21, s[0:1], 0x0
	s_waitcnt lgkmcnt(0)
	v_cmp_neq_f32_e64 s0, s20, 1.0
	s_and_b32 vcc_lo, exec_lo, s0
	s_cbranch_vccnz .LBB296_2
; %bb.1:
	v_cmp_neq_f32_e64 s0, s21, 0
	s_cmp_lg_u32 s11, 0
	s_cselect_b32 s1, -1, 0
	s_and_b32 s0, s1, s0
.LBB296_2:
	s_andn2_b32 vcc_lo, exec_lo, s0
	s_cbranch_vccnz .LBB296_26
; %bb.3:
	s_load_dwordx2 s[14:15], s[4:5], 0x48
	s_mov_b32 s9, 0
	v_mov_b32_e32 v11, 0
	s_lshl_b64 s[0:1], s[8:9], 3
	v_mov_b32_e32 v8, 0
	v_mov_b32_e32 v7, 0
	;; [unrolled: 1-line block ×3, first 2 shown]
	s_waitcnt lgkmcnt(0)
	s_add_u32 s14, s14, s0
	s_addc_u32 s15, s15, s1
	s_lshl_b32 s8, s6, 5
	s_load_dwordx2 s[14:15], s[14:15], 0x0
	s_lshl_b32 s22, s7, 5
	v_cmp_eq_f32_e64 s6, s21, 0
	s_cmp_lt_i32 s11, 1
	s_cselect_b32 s7, -1, 0
	s_or_b32 s6, s6, s7
	s_and_b32 vcc_lo, exec_lo, s6
	s_cbranch_vccnz .LBB296_10
; %bb.4:
	s_clause 0x2
	s_load_dword s6, s[4:5], 0x30
	s_load_dword s23, s[4:5], 0x18
	s_load_dwordx4 s[16:19], s[4:5], 0x20
	v_lshl_add_u32 v2, v1, 4, v0
	v_and_b32_e32 v9, 7, v0
	v_lshlrev_b32_e32 v14, 2, v0
	v_lshl_add_u32 v15, v1, 5, 0x400
	v_and_b32_e32 v3, 31, v2
	v_lshrrev_b32_e32 v4, 3, v2
	v_lshlrev_b32_e32 v5, 2, v9
	v_lshrrev_b32_e32 v10, 5, v2
	v_or_b32_e32 v6, s8, v3
	v_lshlrev_b32_e32 v7, 2, v3
	v_add_nc_u32_e32 v3, s8, v3
	v_add_nc_u32_e32 v2, s22, v4
	v_lshl_or_b32 v8, v4, 5, v5
	v_cmp_gt_i32_e32 vcc_lo, s10, v6
	v_lshl_or_b32 v12, v10, 7, v7
	s_waitcnt lgkmcnt(0)
	s_ashr_i32 s7, s6, 31
	v_mad_i64_i32 v[4:5], null, s23, v3, 0
	s_add_u32 s18, s18, s0
	s_addc_u32 s19, s19, s1
	v_mad_i64_i32 v[6:7], null, s6, v9, 0
	s_add_u32 s0, s2, s0
	s_addc_u32 s1, s3, s1
	s_load_dwordx2 s[2:3], s[18:19], 0x0
	s_load_dwordx2 s[18:19], s[0:1], 0x0
	v_lshlrev_b64 v[4:5], 2, v[4:5]
	v_add_nc_u32_e32 v13, 0x400, v8
	v_ashrrev_i32_e32 v3, 31, v2
	v_lshlrev_b64 v[7:8], 2, v[6:7]
	s_lshl_b64 s[16:17], s[16:17], 2
	v_lshlrev_b32_e32 v11, 2, v10
	v_add_co_u32 v4, s1, v4, s16
	s_lshl_b64 s[12:13], s[12:13], 2
	v_cmp_gt_i32_e64 s0, s10, v2
	v_lshlrev_b64 v[2:3], 2, v[2:3]
	v_add_co_ci_u32_e64 v5, null, s17, v5, s1
	v_add_co_u32 v7, s1, v7, s12
	v_add_co_ci_u32_e64 v8, null, s13, v8, s1
	v_add_co_u32 v4, s1, v4, v11
	;; [unrolled: 2-line block ×3, first 2 shown]
	v_add_co_ci_u32_e64 v8, null, v8, v3, s1
	s_waitcnt lgkmcnt(0)
	v_add_co_u32 v2, s1, s18, v4
	v_add_co_ci_u32_e64 v3, null, s19, v5, s1
	v_add_co_u32 v4, s1, s2, v7
	v_mov_b32_e32 v6, 0
	v_add_co_ci_u32_e64 v5, null, s3, v8, s1
	v_mov_b32_e32 v7, 0
	v_mov_b32_e32 v8, 0
	;; [unrolled: 1-line block ×3, first 2 shown]
	s_lshl_b64 s[2:3], s[6:7], 5
	s_branch .LBB296_6
.LBB296_5:                              ;   in Loop: Header=BB296_6 Depth=1
	s_or_b32 exec_lo, exec_lo, s1
	s_waitcnt vmcnt(0) lgkmcnt(0)
	ds_write_b32 v13, v17
	s_waitcnt lgkmcnt(0)
	s_barrier
	buffer_gl0_inv
	ds_read_b128 v[16:19], v15
	ds_read2_b32 v[32:33], v14 offset1:16
	ds_read_b128 v[20:23], v15 offset:512
	ds_read2_b32 v[34:35], v14 offset0:32 offset1:48
	ds_read2_b32 v[36:37], v14 offset0:64 offset1:80
	;; [unrolled: 1-line block ×3, first 2 shown]
	ds_read_b128 v[24:27], v15 offset:16
	ds_read2_b32 v[40:41], v14 offset0:128 offset1:144
	ds_read_b128 v[28:31], v15 offset:528
	v_add_co_u32 v2, s1, v2, 32
	v_add_co_ci_u32_e64 v3, null, 0, v3, s1
	v_add_co_u32 v4, s1, v4, s2
	v_add_co_ci_u32_e64 v5, null, s3, v5, s1
	s_add_i32 s9, s9, 8
	s_cmp_lt_i32 s9, s11
	s_waitcnt lgkmcnt(7)
	v_fmac_f32_e32 v11, v32, v16
	v_fmac_f32_e32 v8, v33, v16
	s_waitcnt lgkmcnt(6)
	v_fmac_f32_e32 v7, v32, v20
	v_fmac_f32_e32 v6, v33, v20
	ds_read2_b32 v[32:33], v14 offset0:160 offset1:176
	s_waitcnt lgkmcnt(6)
	v_fmac_f32_e32 v11, v34, v17
	v_fmac_f32_e32 v8, v35, v17
	v_fmac_f32_e32 v7, v34, v21
	v_fmac_f32_e32 v6, v35, v21
	ds_read2_b32 v[16:17], v14 offset0:192 offset1:208
	s_waitcnt lgkmcnt(6)
	v_fmac_f32_e32 v11, v36, v18
	v_fmac_f32_e32 v8, v37, v18
	;; [unrolled: 6-line block ×3, first 2 shown]
	v_fmac_f32_e32 v7, v38, v23
	v_fmac_f32_e32 v6, v39, v23
	s_waitcnt lgkmcnt(0)
	v_fmac_f32_e32 v11, v40, v24
	v_fmac_f32_e32 v8, v41, v24
	;; [unrolled: 1-line block ×4, first 2 shown]
	s_barrier
	v_fmac_f32_e32 v11, v32, v25
	v_fmac_f32_e32 v8, v33, v25
	;; [unrolled: 1-line block ×4, first 2 shown]
	buffer_gl0_inv
	v_fmac_f32_e32 v11, v16, v26
	v_fmac_f32_e32 v8, v17, v26
	;; [unrolled: 1-line block ×8, first 2 shown]
	s_cbranch_scc0 .LBB296_10
.LBB296_6:                              ; =>This Inner Loop Header: Depth=1
	v_add_nc_u32_e32 v16, s9, v10
	v_cmp_gt_i32_e64 s1, s11, v16
	v_mov_b32_e32 v16, 0
	s_and_b32 s6, vcc_lo, s1
	s_and_saveexec_b32 s1, s6
	s_cbranch_execz .LBB296_8
; %bb.7:                                ;   in Loop: Header=BB296_6 Depth=1
	flat_load_dword v16, v[2:3]
.LBB296_8:                              ;   in Loop: Header=BB296_6 Depth=1
	s_or_b32 exec_lo, exec_lo, s1
	v_add_nc_u32_e32 v17, s9, v9
	s_waitcnt vmcnt(0) lgkmcnt(0)
	ds_write_b32 v12, v16
	v_cmp_gt_i32_e64 s1, s11, v17
	v_mov_b32_e32 v17, 0
	s_and_b32 s6, s1, s0
	s_and_saveexec_b32 s1, s6
	s_cbranch_execz .LBB296_5
; %bb.9:                                ;   in Loop: Header=BB296_6 Depth=1
	flat_load_dword v17, v[4:5]
	s_branch .LBB296_5
.LBB296_10:
	s_clause 0x1
	s_load_dword s2, s[4:5], 0x50
	s_load_dwordx2 s[4:5], s[4:5], 0x58
	v_add_nc_u32_e32 v10, s22, v1
	v_add_nc_u32_e32 v0, s8, v0
	v_cmp_gt_i32_e64 s0, s10, v10
	v_cmp_le_i32_e32 vcc_lo, v0, v10
	s_waitcnt lgkmcnt(0)
	v_mad_i64_i32 v[1:2], null, v10, s2, 0
	s_lshl_b64 s[4:5], s[4:5], 2
	s_add_u32 s3, s14, s4
	s_addc_u32 s4, s15, s5
	v_cmp_neq_f32_e64 s5, s20, 0
	s_and_b32 s6, s0, vcc_lo
	v_lshlrev_b64 v[2:3], 2, v[1:2]
	v_ashrrev_i32_e32 v1, 31, v0
	v_cndmask_b32_e64 v9, 0, 1, s5
	v_add_co_u32 v4, s1, s3, v2
	v_add_co_ci_u32_e64 v5, null, s4, v3, s1
	s_and_saveexec_b32 s1, s6
	s_cbranch_execz .LBB296_14
; %bb.11:
	v_lshlrev_b64 v[2:3], 2, v[0:1]
	v_mul_f32_e32 v11, s21, v11
	v_add_co_u32 v2, vcc_lo, v4, v2
	v_add_co_ci_u32_e64 v3, null, v5, v3, vcc_lo
	s_andn2_b32 vcc_lo, exec_lo, s5
	s_cbranch_vccnz .LBB296_13
; %bb.12:
	flat_load_dword v12, v[2:3]
	s_waitcnt vmcnt(0) lgkmcnt(0)
	v_fmac_f32_e32 v11, s20, v12
.LBB296_13:
	flat_store_dword v[2:3], v11
.LBB296_14:
	s_or_b32 exec_lo, exec_lo, s1
	v_add_nc_u32_e32 v2, 16, v0
	v_cmp_le_i32_e32 vcc_lo, v2, v10
	v_ashrrev_i32_e32 v3, 31, v2
	s_and_b32 s0, s0, vcc_lo
	s_and_saveexec_b32 s1, s0
	s_cbranch_execz .LBB296_18
; %bb.15:
	v_lshlrev_b64 v[11:12], 2, v[2:3]
	v_cmp_ne_u32_e32 vcc_lo, 1, v9
	v_mul_f32_e32 v8, s21, v8
	v_add_co_u32 v4, s0, v4, v11
	v_add_co_ci_u32_e64 v5, null, v5, v12, s0
	s_cbranch_vccnz .LBB296_17
; %bb.16:
	flat_load_dword v11, v[4:5]
	s_waitcnt vmcnt(0) lgkmcnt(0)
	v_fmac_f32_e32 v8, s20, v11
.LBB296_17:
	flat_store_dword v[4:5], v8
.LBB296_18:
	s_or_b32 exec_lo, exec_lo, s1
	v_add_nc_u32_e32 v8, 16, v10
	v_mad_i64_i32 v[4:5], null, v8, s2, 0
	v_cmp_gt_i32_e64 s0, s10, v8
	v_cmp_le_i32_e32 vcc_lo, v0, v8
	v_lshlrev_b64 v[4:5], 2, v[4:5]
	v_add_co_u32 v4, s1, s3, v4
	v_add_co_ci_u32_e64 v5, null, s4, v5, s1
	s_and_b32 s1, s0, vcc_lo
	s_and_saveexec_b32 s2, s1
	s_cbranch_execz .LBB296_22
; %bb.19:
	v_lshlrev_b64 v[0:1], 2, v[0:1]
	v_cmp_ne_u32_e32 vcc_lo, 1, v9
	v_mul_f32_e32 v7, s21, v7
	v_add_co_u32 v0, s1, v4, v0
	v_add_co_ci_u32_e64 v1, null, v5, v1, s1
	s_cbranch_vccnz .LBB296_21
; %bb.20:
	flat_load_dword v10, v[0:1]
	s_waitcnt vmcnt(0) lgkmcnt(0)
	v_fmac_f32_e32 v7, s20, v10
.LBB296_21:
	flat_store_dword v[0:1], v7
.LBB296_22:
	s_or_b32 exec_lo, exec_lo, s2
	v_cmp_le_i32_e32 vcc_lo, v2, v8
	s_and_b32 s0, s0, vcc_lo
	s_and_saveexec_b32 s1, s0
	s_cbranch_execz .LBB296_26
; %bb.23:
	v_lshlrev_b64 v[0:1], 2, v[2:3]
	v_cmp_ne_u32_e32 vcc_lo, 1, v9
	v_mul_f32_e32 v2, s21, v6
	v_add_co_u32 v0, s0, v4, v0
	v_add_co_ci_u32_e64 v1, null, v5, v1, s0
	s_cbranch_vccnz .LBB296_25
; %bb.24:
	flat_load_dword v3, v[0:1]
	s_waitcnt vmcnt(0) lgkmcnt(0)
	v_fmac_f32_e32 v2, s20, v3
.LBB296_25:
	flat_store_dword v[0:1], v2
.LBB296_26:
	s_endpgm
	.section	.rodata,"a",@progbits
	.p2align	6, 0x0
	.amdhsa_kernel _ZL29rocblas_internal_gemmt_kernelIiLi16ELi32ELi8ELc67ELc67ELc85ELb0ELb0EfPKfPKS1_PKPfEviT_T9_T10_S7_lS9_S7_lS8_T11_S7_li
		.amdhsa_group_segment_fixed_size 2048
		.amdhsa_private_segment_fixed_size 0
		.amdhsa_kernarg_size 100
		.amdhsa_user_sgpr_count 6
		.amdhsa_user_sgpr_private_segment_buffer 1
		.amdhsa_user_sgpr_dispatch_ptr 0
		.amdhsa_user_sgpr_queue_ptr 0
		.amdhsa_user_sgpr_kernarg_segment_ptr 1
		.amdhsa_user_sgpr_dispatch_id 0
		.amdhsa_user_sgpr_flat_scratch_init 0
		.amdhsa_user_sgpr_private_segment_size 0
		.amdhsa_wavefront_size32 1
		.amdhsa_uses_dynamic_stack 0
		.amdhsa_system_sgpr_private_segment_wavefront_offset 0
		.amdhsa_system_sgpr_workgroup_id_x 1
		.amdhsa_system_sgpr_workgroup_id_y 1
		.amdhsa_system_sgpr_workgroup_id_z 1
		.amdhsa_system_sgpr_workgroup_info 0
		.amdhsa_system_vgpr_workitem_id 1
		.amdhsa_next_free_vgpr 42
		.amdhsa_next_free_sgpr 24
		.amdhsa_reserve_vcc 1
		.amdhsa_reserve_flat_scratch 0
		.amdhsa_float_round_mode_32 0
		.amdhsa_float_round_mode_16_64 0
		.amdhsa_float_denorm_mode_32 3
		.amdhsa_float_denorm_mode_16_64 3
		.amdhsa_dx10_clamp 1
		.amdhsa_ieee_mode 1
		.amdhsa_fp16_overflow 0
		.amdhsa_workgroup_processor_mode 1
		.amdhsa_memory_ordered 1
		.amdhsa_forward_progress 1
		.amdhsa_shared_vgpr_count 0
		.amdhsa_exception_fp_ieee_invalid_op 0
		.amdhsa_exception_fp_denorm_src 0
		.amdhsa_exception_fp_ieee_div_zero 0
		.amdhsa_exception_fp_ieee_overflow 0
		.amdhsa_exception_fp_ieee_underflow 0
		.amdhsa_exception_fp_ieee_inexact 0
		.amdhsa_exception_int_div_zero 0
	.end_amdhsa_kernel
	.section	.text._ZL29rocblas_internal_gemmt_kernelIiLi16ELi32ELi8ELc67ELc67ELc85ELb0ELb0EfPKfPKS1_PKPfEviT_T9_T10_S7_lS9_S7_lS8_T11_S7_li,"axG",@progbits,_ZL29rocblas_internal_gemmt_kernelIiLi16ELi32ELi8ELc67ELc67ELc85ELb0ELb0EfPKfPKS1_PKPfEviT_T9_T10_S7_lS9_S7_lS8_T11_S7_li,comdat
.Lfunc_end296:
	.size	_ZL29rocblas_internal_gemmt_kernelIiLi16ELi32ELi8ELc67ELc67ELc85ELb0ELb0EfPKfPKS1_PKPfEviT_T9_T10_S7_lS9_S7_lS8_T11_S7_li, .Lfunc_end296-_ZL29rocblas_internal_gemmt_kernelIiLi16ELi32ELi8ELc67ELc67ELc85ELb0ELb0EfPKfPKS1_PKPfEviT_T9_T10_S7_lS9_S7_lS8_T11_S7_li
                                        ; -- End function
	.set _ZL29rocblas_internal_gemmt_kernelIiLi16ELi32ELi8ELc67ELc67ELc85ELb0ELb0EfPKfPKS1_PKPfEviT_T9_T10_S7_lS9_S7_lS8_T11_S7_li.num_vgpr, 42
	.set _ZL29rocblas_internal_gemmt_kernelIiLi16ELi32ELi8ELc67ELc67ELc85ELb0ELb0EfPKfPKS1_PKPfEviT_T9_T10_S7_lS9_S7_lS8_T11_S7_li.num_agpr, 0
	.set _ZL29rocblas_internal_gemmt_kernelIiLi16ELi32ELi8ELc67ELc67ELc85ELb0ELb0EfPKfPKS1_PKPfEviT_T9_T10_S7_lS9_S7_lS8_T11_S7_li.numbered_sgpr, 24
	.set _ZL29rocblas_internal_gemmt_kernelIiLi16ELi32ELi8ELc67ELc67ELc85ELb0ELb0EfPKfPKS1_PKPfEviT_T9_T10_S7_lS9_S7_lS8_T11_S7_li.num_named_barrier, 0
	.set _ZL29rocblas_internal_gemmt_kernelIiLi16ELi32ELi8ELc67ELc67ELc85ELb0ELb0EfPKfPKS1_PKPfEviT_T9_T10_S7_lS9_S7_lS8_T11_S7_li.private_seg_size, 0
	.set _ZL29rocblas_internal_gemmt_kernelIiLi16ELi32ELi8ELc67ELc67ELc85ELb0ELb0EfPKfPKS1_PKPfEviT_T9_T10_S7_lS9_S7_lS8_T11_S7_li.uses_vcc, 1
	.set _ZL29rocblas_internal_gemmt_kernelIiLi16ELi32ELi8ELc67ELc67ELc85ELb0ELb0EfPKfPKS1_PKPfEviT_T9_T10_S7_lS9_S7_lS8_T11_S7_li.uses_flat_scratch, 0
	.set _ZL29rocblas_internal_gemmt_kernelIiLi16ELi32ELi8ELc67ELc67ELc85ELb0ELb0EfPKfPKS1_PKPfEviT_T9_T10_S7_lS9_S7_lS8_T11_S7_li.has_dyn_sized_stack, 0
	.set _ZL29rocblas_internal_gemmt_kernelIiLi16ELi32ELi8ELc67ELc67ELc85ELb0ELb0EfPKfPKS1_PKPfEviT_T9_T10_S7_lS9_S7_lS8_T11_S7_li.has_recursion, 0
	.set _ZL29rocblas_internal_gemmt_kernelIiLi16ELi32ELi8ELc67ELc67ELc85ELb0ELb0EfPKfPKS1_PKPfEviT_T9_T10_S7_lS9_S7_lS8_T11_S7_li.has_indirect_call, 0
	.section	.AMDGPU.csdata,"",@progbits
; Kernel info:
; codeLenInByte = 1432
; TotalNumSgprs: 26
; NumVgprs: 42
; ScratchSize: 0
; MemoryBound: 0
; FloatMode: 240
; IeeeMode: 1
; LDSByteSize: 2048 bytes/workgroup (compile time only)
; SGPRBlocks: 0
; VGPRBlocks: 5
; NumSGPRsForWavesPerEU: 26
; NumVGPRsForWavesPerEU: 42
; Occupancy: 16
; WaveLimiterHint : 1
; COMPUTE_PGM_RSRC2:SCRATCH_EN: 0
; COMPUTE_PGM_RSRC2:USER_SGPR: 6
; COMPUTE_PGM_RSRC2:TRAP_HANDLER: 0
; COMPUTE_PGM_RSRC2:TGID_X_EN: 1
; COMPUTE_PGM_RSRC2:TGID_Y_EN: 1
; COMPUTE_PGM_RSRC2:TGID_Z_EN: 1
; COMPUTE_PGM_RSRC2:TIDIG_COMP_CNT: 1
	.section	.text._ZL29rocblas_internal_gemmt_kernelIiLi16ELi32ELi8ELc78ELc78ELc76ELb0ELb0EfPKfPKS1_PKPfEviT_T9_T10_S7_lS9_S7_lS8_T11_S7_li,"axG",@progbits,_ZL29rocblas_internal_gemmt_kernelIiLi16ELi32ELi8ELc78ELc78ELc76ELb0ELb0EfPKfPKS1_PKPfEviT_T9_T10_S7_lS9_S7_lS8_T11_S7_li,comdat
	.globl	_ZL29rocblas_internal_gemmt_kernelIiLi16ELi32ELi8ELc78ELc78ELc76ELb0ELb0EfPKfPKS1_PKPfEviT_T9_T10_S7_lS9_S7_lS8_T11_S7_li ; -- Begin function _ZL29rocblas_internal_gemmt_kernelIiLi16ELi32ELi8ELc78ELc78ELc76ELb0ELb0EfPKfPKS1_PKPfEviT_T9_T10_S7_lS9_S7_lS8_T11_S7_li
	.p2align	8
	.type	_ZL29rocblas_internal_gemmt_kernelIiLi16ELi32ELi8ELc78ELc78ELc76ELb0ELb0EfPKfPKS1_PKPfEviT_T9_T10_S7_lS9_S7_lS8_T11_S7_li,@function
_ZL29rocblas_internal_gemmt_kernelIiLi16ELi32ELi8ELc78ELc78ELc76ELb0ELb0EfPKfPKS1_PKPfEviT_T9_T10_S7_lS9_S7_lS8_T11_S7_li: ; @_ZL29rocblas_internal_gemmt_kernelIiLi16ELi32ELi8ELc78ELc78ELc76ELb0ELb0EfPKfPKS1_PKPfEviT_T9_T10_S7_lS9_S7_lS8_T11_S7_li
; %bb.0:
	s_clause 0x1
	s_load_dwordx4 s[12:15], s[4:5], 0x38
	s_load_dwordx4 s[0:3], s[4:5], 0x8
	s_waitcnt lgkmcnt(0)
	s_load_dword s22, s[14:15], 0x0
	s_load_dwordx2 s[10:11], s[4:5], 0x0
	s_load_dword s23, s[0:1], 0x0
	s_waitcnt lgkmcnt(0)
	v_cmp_neq_f32_e64 s0, s22, 1.0
	s_and_b32 vcc_lo, exec_lo, s0
	s_cbranch_vccnz .LBB297_2
; %bb.1:
	v_cmp_neq_f32_e64 s0, s23, 0
	s_cmp_lg_u32 s11, 0
	s_cselect_b32 s1, -1, 0
	s_and_b32 s0, s1, s0
.LBB297_2:
	s_andn2_b32 vcc_lo, exec_lo, s0
	s_cbranch_vccnz .LBB297_26
; %bb.3:
	s_load_dwordx2 s[0:1], s[4:5], 0x48
	s_mov_b32 s9, 0
	v_mov_b32_e32 v12, 0
	s_lshl_b64 s[20:21], s[8:9], 3
	v_mov_b32_e32 v8, 0
	v_mov_b32_e32 v7, 0
	;; [unrolled: 1-line block ×3, first 2 shown]
	s_waitcnt lgkmcnt(0)
	s_add_u32 s0, s0, s20
	s_addc_u32 s1, s1, s21
	s_lshl_b32 s8, s6, 5
	s_load_dwordx2 s[14:15], s[0:1], 0x0
	s_lshl_b32 s24, s7, 5
	v_cmp_eq_f32_e64 s0, s23, 0
	s_cmp_lt_i32 s11, 1
	s_cselect_b32 s1, -1, 0
	s_or_b32 s0, s0, s1
	s_and_b32 vcc_lo, exec_lo, s0
	s_cbranch_vccnz .LBB297_10
; %bb.4:
	s_clause 0x1
	s_load_dword s6, s[4:5], 0x18
	s_load_dwordx4 s[16:19], s[4:5], 0x20
	v_lshl_add_u32 v2, v1, 4, v0
	v_and_b32_e32 v9, 7, v0
	s_load_dword s1, s[4:5], 0x30
	v_lshlrev_b32_e32 v10, 2, v0
	v_lshl_add_u32 v15, v1, 5, 0x400
	v_lshrrev_b32_e32 v4, 3, v2
	v_lshlrev_b32_e32 v8, 2, v9
	v_and_b32_e32 v3, 31, v2
	v_lshrrev_b32_e32 v11, 5, v2
	v_add_nc_u32_e32 v7, s24, v4
	v_lshl_or_b32 v4, v4, 5, v8
	v_or_b32_e32 v5, s8, v3
	v_lshlrev_b32_e32 v6, 2, v3
	v_add_nc_u32_e32 v2, s8, v3
	v_cmp_gt_i32_e64 s0, s10, v7
	v_add_nc_u32_e32 v14, 0x400, v4
	v_cmp_gt_i32_e32 vcc_lo, s10, v5
	s_waitcnt lgkmcnt(0)
	v_mad_i64_i32 v[3:4], null, v11, s6, 0
	s_ashr_i32 s7, s6, 31
	s_add_u32 s18, s18, s20
	s_addc_u32 s19, s19, s21
	s_add_u32 s2, s2, s20
	s_addc_u32 s3, s3, s21
	s_load_dwordx2 s[18:19], s[18:19], 0x0
	s_load_dwordx2 s[2:3], s[2:3], 0x0
	v_lshl_or_b32 v13, v11, 7, v6
	v_lshlrev_b64 v[4:5], 2, v[3:4]
	v_mad_i64_i32 v[6:7], null, s1, v7, 0
	v_ashrrev_i32_e32 v3, 31, v2
	s_lshl_b64 s[16:17], s[16:17], 2
	s_lshl_b64 s[12:13], s[12:13], 2
	v_add_co_u32 v12, s1, v4, s16
	v_lshlrev_b64 v[2:3], 2, v[2:3]
	v_add_co_ci_u32_e64 v16, null, s17, v5, s1
	v_lshlrev_b64 v[4:5], 2, v[6:7]
	v_mov_b32_e32 v6, 0
	v_mov_b32_e32 v7, 0
	v_add_co_u32 v2, s1, v12, v2
	v_add_co_ci_u32_e64 v3, null, v16, v3, s1
	v_add_co_u32 v4, s1, v4, s12
	v_add_co_ci_u32_e64 v5, null, s13, v5, s1
	s_waitcnt lgkmcnt(0)
	v_add_co_u32 v2, s1, s2, v2
	v_add_co_ci_u32_e64 v3, null, s3, v3, s1
	v_add_co_u32 v4, s1, v4, v8
	v_add_co_ci_u32_e64 v5, null, 0, v5, s1
	v_mov_b32_e32 v8, 0
	v_add_co_u32 v4, s1, s18, v4
	v_add_co_ci_u32_e64 v5, null, s19, v5, s1
	v_mov_b32_e32 v12, 0
	s_lshl_b64 s[2:3], s[6:7], 5
	s_branch .LBB297_6
.LBB297_5:                              ;   in Loop: Header=BB297_6 Depth=1
	s_or_b32 exec_lo, exec_lo, s1
	s_waitcnt vmcnt(0) lgkmcnt(0)
	ds_write_b32 v14, v17
	s_waitcnt lgkmcnt(0)
	s_barrier
	buffer_gl0_inv
	ds_read_b128 v[16:19], v15
	ds_read2_b32 v[32:33], v10 offset1:16
	ds_read_b128 v[20:23], v15 offset:512
	ds_read2_b32 v[34:35], v10 offset0:32 offset1:48
	ds_read2_b32 v[36:37], v10 offset0:64 offset1:80
	;; [unrolled: 1-line block ×3, first 2 shown]
	ds_read_b128 v[24:27], v15 offset:16
	ds_read2_b32 v[40:41], v10 offset0:128 offset1:144
	ds_read_b128 v[28:31], v15 offset:528
	v_add_co_u32 v2, s1, v2, s2
	v_add_co_ci_u32_e64 v3, null, s3, v3, s1
	v_add_co_u32 v4, s1, v4, 32
	v_add_co_ci_u32_e64 v5, null, 0, v5, s1
	s_add_i32 s9, s9, 8
	s_cmp_lt_i32 s9, s11
	s_waitcnt lgkmcnt(7)
	v_fmac_f32_e32 v12, v32, v16
	v_fmac_f32_e32 v8, v33, v16
	s_waitcnt lgkmcnt(6)
	v_fmac_f32_e32 v7, v32, v20
	v_fmac_f32_e32 v6, v33, v20
	ds_read2_b32 v[32:33], v10 offset0:160 offset1:176
	s_waitcnt lgkmcnt(6)
	v_fmac_f32_e32 v12, v34, v17
	v_fmac_f32_e32 v8, v35, v17
	v_fmac_f32_e32 v7, v34, v21
	v_fmac_f32_e32 v6, v35, v21
	ds_read2_b32 v[16:17], v10 offset0:192 offset1:208
	s_waitcnt lgkmcnt(6)
	v_fmac_f32_e32 v12, v36, v18
	v_fmac_f32_e32 v8, v37, v18
	;; [unrolled: 6-line block ×3, first 2 shown]
	v_fmac_f32_e32 v7, v38, v23
	v_fmac_f32_e32 v6, v39, v23
	s_waitcnt lgkmcnt(0)
	v_fmac_f32_e32 v12, v40, v24
	v_fmac_f32_e32 v8, v41, v24
	;; [unrolled: 1-line block ×4, first 2 shown]
	s_barrier
	v_fmac_f32_e32 v12, v32, v25
	v_fmac_f32_e32 v8, v33, v25
	;; [unrolled: 1-line block ×4, first 2 shown]
	buffer_gl0_inv
	v_fmac_f32_e32 v12, v16, v26
	v_fmac_f32_e32 v8, v17, v26
	;; [unrolled: 1-line block ×8, first 2 shown]
	s_cbranch_scc0 .LBB297_10
.LBB297_6:                              ; =>This Inner Loop Header: Depth=1
	v_add_nc_u32_e32 v16, s9, v11
	v_cmp_gt_i32_e64 s1, s11, v16
	v_mov_b32_e32 v16, 0
	s_and_b32 s6, vcc_lo, s1
	s_and_saveexec_b32 s1, s6
	s_cbranch_execz .LBB297_8
; %bb.7:                                ;   in Loop: Header=BB297_6 Depth=1
	flat_load_dword v16, v[2:3]
.LBB297_8:                              ;   in Loop: Header=BB297_6 Depth=1
	s_or_b32 exec_lo, exec_lo, s1
	v_add_nc_u32_e32 v17, s9, v9
	s_waitcnt vmcnt(0) lgkmcnt(0)
	ds_write_b32 v13, v16
	v_cmp_gt_i32_e64 s1, s11, v17
	v_mov_b32_e32 v17, 0
	s_and_b32 s6, s1, s0
	s_and_saveexec_b32 s1, s6
	s_cbranch_execz .LBB297_5
; %bb.9:                                ;   in Loop: Header=BB297_6 Depth=1
	flat_load_dword v17, v[4:5]
	s_branch .LBB297_5
.LBB297_10:
	s_clause 0x1
	s_load_dword s3, s[4:5], 0x50
	s_load_dwordx2 s[4:5], s[4:5], 0x58
	v_add_nc_u32_e32 v10, s24, v1
	v_add_nc_u32_e32 v0, s8, v0
	v_cmp_neq_f32_e64 s2, s22, 0
	v_cmp_le_i32_e32 vcc_lo, v10, v0
	v_cmp_gt_i32_e64 s0, s10, v0
	v_cndmask_b32_e64 v9, 0, 1, s2
	s_waitcnt lgkmcnt(0)
	v_mad_i64_i32 v[1:2], null, v10, s3, 0
	s_lshl_b64 s[4:5], s[4:5], 2
	s_add_u32 s4, s14, s4
	s_addc_u32 s5, s15, s5
	s_and_b32 s6, vcc_lo, s0
	v_lshlrev_b64 v[2:3], 2, v[1:2]
	v_ashrrev_i32_e32 v1, 31, v0
	v_add_co_u32 v4, s1, s4, v2
	v_add_co_ci_u32_e64 v5, null, s5, v3, s1
	s_and_saveexec_b32 s1, s6
	s_cbranch_execz .LBB297_14
; %bb.11:
	v_lshlrev_b64 v[2:3], 2, v[0:1]
	v_mul_f32_e32 v11, s23, v12
	v_add_co_u32 v2, vcc_lo, v4, v2
	v_add_co_ci_u32_e64 v3, null, v5, v3, vcc_lo
	s_andn2_b32 vcc_lo, exec_lo, s2
	s_cbranch_vccnz .LBB297_13
; %bb.12:
	flat_load_dword v12, v[2:3]
	s_waitcnt vmcnt(0) lgkmcnt(0)
	v_fmac_f32_e32 v11, s22, v12
.LBB297_13:
	flat_store_dword v[2:3], v11
.LBB297_14:
	s_or_b32 exec_lo, exec_lo, s1
	v_add_nc_u32_e32 v2, 16, v0
	v_cmp_le_i32_e32 vcc_lo, v10, v2
	v_cmp_gt_i32_e64 s1, s10, v2
	v_ashrrev_i32_e32 v3, 31, v2
	s_and_b32 s2, vcc_lo, s1
	s_and_saveexec_b32 s6, s2
	s_cbranch_execz .LBB297_18
; %bb.15:
	v_lshlrev_b64 v[11:12], 2, v[2:3]
	v_cmp_ne_u32_e32 vcc_lo, 1, v9
	v_mul_f32_e32 v8, s23, v8
	v_add_co_u32 v4, s2, v4, v11
	v_add_co_ci_u32_e64 v5, null, v5, v12, s2
	s_cbranch_vccnz .LBB297_17
; %bb.16:
	flat_load_dword v11, v[4:5]
	s_waitcnt vmcnt(0) lgkmcnt(0)
	v_fmac_f32_e32 v8, s22, v11
.LBB297_17:
	flat_store_dword v[4:5], v8
.LBB297_18:
	s_or_b32 exec_lo, exec_lo, s6
	v_add_nc_u32_e32 v8, 16, v10
	v_mad_i64_i32 v[4:5], null, v8, s3, 0
	v_cmp_le_i32_e32 vcc_lo, v8, v0
	s_and_b32 s0, vcc_lo, s0
	v_lshlrev_b64 v[4:5], 2, v[4:5]
	v_add_co_u32 v4, s2, s4, v4
	v_add_co_ci_u32_e64 v5, null, s5, v5, s2
	s_and_saveexec_b32 s2, s0
	s_cbranch_execz .LBB297_22
; %bb.19:
	v_lshlrev_b64 v[0:1], 2, v[0:1]
	v_cmp_ne_u32_e32 vcc_lo, 1, v9
	v_mul_f32_e32 v7, s23, v7
	v_add_co_u32 v0, s0, v4, v0
	v_add_co_ci_u32_e64 v1, null, v5, v1, s0
	s_cbranch_vccnz .LBB297_21
; %bb.20:
	flat_load_dword v10, v[0:1]
	s_waitcnt vmcnt(0) lgkmcnt(0)
	v_fmac_f32_e32 v7, s22, v10
.LBB297_21:
	flat_store_dword v[0:1], v7
.LBB297_22:
	s_or_b32 exec_lo, exec_lo, s2
	v_cmp_le_i32_e32 vcc_lo, v8, v2
	s_and_b32 s0, vcc_lo, s1
	s_and_saveexec_b32 s1, s0
	s_cbranch_execz .LBB297_26
; %bb.23:
	v_lshlrev_b64 v[0:1], 2, v[2:3]
	v_cmp_ne_u32_e32 vcc_lo, 1, v9
	v_mul_f32_e32 v2, s23, v6
	v_add_co_u32 v0, s0, v4, v0
	v_add_co_ci_u32_e64 v1, null, v5, v1, s0
	s_cbranch_vccnz .LBB297_25
; %bb.24:
	flat_load_dword v3, v[0:1]
	s_waitcnt vmcnt(0) lgkmcnt(0)
	v_fmac_f32_e32 v2, s22, v3
.LBB297_25:
	flat_store_dword v[0:1], v2
.LBB297_26:
	s_endpgm
	.section	.rodata,"a",@progbits
	.p2align	6, 0x0
	.amdhsa_kernel _ZL29rocblas_internal_gemmt_kernelIiLi16ELi32ELi8ELc78ELc78ELc76ELb0ELb0EfPKfPKS1_PKPfEviT_T9_T10_S7_lS9_S7_lS8_T11_S7_li
		.amdhsa_group_segment_fixed_size 2048
		.amdhsa_private_segment_fixed_size 0
		.amdhsa_kernarg_size 100
		.amdhsa_user_sgpr_count 6
		.amdhsa_user_sgpr_private_segment_buffer 1
		.amdhsa_user_sgpr_dispatch_ptr 0
		.amdhsa_user_sgpr_queue_ptr 0
		.amdhsa_user_sgpr_kernarg_segment_ptr 1
		.amdhsa_user_sgpr_dispatch_id 0
		.amdhsa_user_sgpr_flat_scratch_init 0
		.amdhsa_user_sgpr_private_segment_size 0
		.amdhsa_wavefront_size32 1
		.amdhsa_uses_dynamic_stack 0
		.amdhsa_system_sgpr_private_segment_wavefront_offset 0
		.amdhsa_system_sgpr_workgroup_id_x 1
		.amdhsa_system_sgpr_workgroup_id_y 1
		.amdhsa_system_sgpr_workgroup_id_z 1
		.amdhsa_system_sgpr_workgroup_info 0
		.amdhsa_system_vgpr_workitem_id 1
		.amdhsa_next_free_vgpr 42
		.amdhsa_next_free_sgpr 25
		.amdhsa_reserve_vcc 1
		.amdhsa_reserve_flat_scratch 0
		.amdhsa_float_round_mode_32 0
		.amdhsa_float_round_mode_16_64 0
		.amdhsa_float_denorm_mode_32 3
		.amdhsa_float_denorm_mode_16_64 3
		.amdhsa_dx10_clamp 1
		.amdhsa_ieee_mode 1
		.amdhsa_fp16_overflow 0
		.amdhsa_workgroup_processor_mode 1
		.amdhsa_memory_ordered 1
		.amdhsa_forward_progress 1
		.amdhsa_shared_vgpr_count 0
		.amdhsa_exception_fp_ieee_invalid_op 0
		.amdhsa_exception_fp_denorm_src 0
		.amdhsa_exception_fp_ieee_div_zero 0
		.amdhsa_exception_fp_ieee_overflow 0
		.amdhsa_exception_fp_ieee_underflow 0
		.amdhsa_exception_fp_ieee_inexact 0
		.amdhsa_exception_int_div_zero 0
	.end_amdhsa_kernel
	.section	.text._ZL29rocblas_internal_gemmt_kernelIiLi16ELi32ELi8ELc78ELc78ELc76ELb0ELb0EfPKfPKS1_PKPfEviT_T9_T10_S7_lS9_S7_lS8_T11_S7_li,"axG",@progbits,_ZL29rocblas_internal_gemmt_kernelIiLi16ELi32ELi8ELc78ELc78ELc76ELb0ELb0EfPKfPKS1_PKPfEviT_T9_T10_S7_lS9_S7_lS8_T11_S7_li,comdat
.Lfunc_end297:
	.size	_ZL29rocblas_internal_gemmt_kernelIiLi16ELi32ELi8ELc78ELc78ELc76ELb0ELb0EfPKfPKS1_PKPfEviT_T9_T10_S7_lS9_S7_lS8_T11_S7_li, .Lfunc_end297-_ZL29rocblas_internal_gemmt_kernelIiLi16ELi32ELi8ELc78ELc78ELc76ELb0ELb0EfPKfPKS1_PKPfEviT_T9_T10_S7_lS9_S7_lS8_T11_S7_li
                                        ; -- End function
	.set _ZL29rocblas_internal_gemmt_kernelIiLi16ELi32ELi8ELc78ELc78ELc76ELb0ELb0EfPKfPKS1_PKPfEviT_T9_T10_S7_lS9_S7_lS8_T11_S7_li.num_vgpr, 42
	.set _ZL29rocblas_internal_gemmt_kernelIiLi16ELi32ELi8ELc78ELc78ELc76ELb0ELb0EfPKfPKS1_PKPfEviT_T9_T10_S7_lS9_S7_lS8_T11_S7_li.num_agpr, 0
	.set _ZL29rocblas_internal_gemmt_kernelIiLi16ELi32ELi8ELc78ELc78ELc76ELb0ELb0EfPKfPKS1_PKPfEviT_T9_T10_S7_lS9_S7_lS8_T11_S7_li.numbered_sgpr, 25
	.set _ZL29rocblas_internal_gemmt_kernelIiLi16ELi32ELi8ELc78ELc78ELc76ELb0ELb0EfPKfPKS1_PKPfEviT_T9_T10_S7_lS9_S7_lS8_T11_S7_li.num_named_barrier, 0
	.set _ZL29rocblas_internal_gemmt_kernelIiLi16ELi32ELi8ELc78ELc78ELc76ELb0ELb0EfPKfPKS1_PKPfEviT_T9_T10_S7_lS9_S7_lS8_T11_S7_li.private_seg_size, 0
	.set _ZL29rocblas_internal_gemmt_kernelIiLi16ELi32ELi8ELc78ELc78ELc76ELb0ELb0EfPKfPKS1_PKPfEviT_T9_T10_S7_lS9_S7_lS8_T11_S7_li.uses_vcc, 1
	.set _ZL29rocblas_internal_gemmt_kernelIiLi16ELi32ELi8ELc78ELc78ELc76ELb0ELb0EfPKfPKS1_PKPfEviT_T9_T10_S7_lS9_S7_lS8_T11_S7_li.uses_flat_scratch, 0
	.set _ZL29rocblas_internal_gemmt_kernelIiLi16ELi32ELi8ELc78ELc78ELc76ELb0ELb0EfPKfPKS1_PKPfEviT_T9_T10_S7_lS9_S7_lS8_T11_S7_li.has_dyn_sized_stack, 0
	.set _ZL29rocblas_internal_gemmt_kernelIiLi16ELi32ELi8ELc78ELc78ELc76ELb0ELb0EfPKfPKS1_PKPfEviT_T9_T10_S7_lS9_S7_lS8_T11_S7_li.has_recursion, 0
	.set _ZL29rocblas_internal_gemmt_kernelIiLi16ELi32ELi8ELc78ELc78ELc76ELb0ELb0EfPKfPKS1_PKPfEviT_T9_T10_S7_lS9_S7_lS8_T11_S7_li.has_indirect_call, 0
	.section	.AMDGPU.csdata,"",@progbits
; Kernel info:
; codeLenInByte = 1428
; TotalNumSgprs: 27
; NumVgprs: 42
; ScratchSize: 0
; MemoryBound: 0
; FloatMode: 240
; IeeeMode: 1
; LDSByteSize: 2048 bytes/workgroup (compile time only)
; SGPRBlocks: 0
; VGPRBlocks: 5
; NumSGPRsForWavesPerEU: 27
; NumVGPRsForWavesPerEU: 42
; Occupancy: 16
; WaveLimiterHint : 1
; COMPUTE_PGM_RSRC2:SCRATCH_EN: 0
; COMPUTE_PGM_RSRC2:USER_SGPR: 6
; COMPUTE_PGM_RSRC2:TRAP_HANDLER: 0
; COMPUTE_PGM_RSRC2:TGID_X_EN: 1
; COMPUTE_PGM_RSRC2:TGID_Y_EN: 1
; COMPUTE_PGM_RSRC2:TGID_Z_EN: 1
; COMPUTE_PGM_RSRC2:TIDIG_COMP_CNT: 1
	.section	.text._ZL29rocblas_internal_gemmt_kernelIiLi16ELi32ELi8ELc78ELc84ELc76ELb0ELb0EfPKfPKS1_PKPfEviT_T9_T10_S7_lS9_S7_lS8_T11_S7_li,"axG",@progbits,_ZL29rocblas_internal_gemmt_kernelIiLi16ELi32ELi8ELc78ELc84ELc76ELb0ELb0EfPKfPKS1_PKPfEviT_T9_T10_S7_lS9_S7_lS8_T11_S7_li,comdat
	.globl	_ZL29rocblas_internal_gemmt_kernelIiLi16ELi32ELi8ELc78ELc84ELc76ELb0ELb0EfPKfPKS1_PKPfEviT_T9_T10_S7_lS9_S7_lS8_T11_S7_li ; -- Begin function _ZL29rocblas_internal_gemmt_kernelIiLi16ELi32ELi8ELc78ELc84ELc76ELb0ELb0EfPKfPKS1_PKPfEviT_T9_T10_S7_lS9_S7_lS8_T11_S7_li
	.p2align	8
	.type	_ZL29rocblas_internal_gemmt_kernelIiLi16ELi32ELi8ELc78ELc84ELc76ELb0ELb0EfPKfPKS1_PKPfEviT_T9_T10_S7_lS9_S7_lS8_T11_S7_li,@function
_ZL29rocblas_internal_gemmt_kernelIiLi16ELi32ELi8ELc78ELc84ELc76ELb0ELb0EfPKfPKS1_PKPfEviT_T9_T10_S7_lS9_S7_lS8_T11_S7_li: ; @_ZL29rocblas_internal_gemmt_kernelIiLi16ELi32ELi8ELc78ELc84ELc76ELb0ELb0EfPKfPKS1_PKPfEviT_T9_T10_S7_lS9_S7_lS8_T11_S7_li
; %bb.0:
	s_clause 0x1
	s_load_dwordx4 s[12:15], s[4:5], 0x38
	s_load_dwordx4 s[0:3], s[4:5], 0x8
	s_waitcnt lgkmcnt(0)
	s_load_dword s24, s[14:15], 0x0
	s_load_dwordx2 s[10:11], s[4:5], 0x0
	s_load_dword s25, s[0:1], 0x0
	s_waitcnt lgkmcnt(0)
	v_cmp_neq_f32_e64 s0, s24, 1.0
	s_and_b32 vcc_lo, exec_lo, s0
	s_cbranch_vccnz .LBB298_2
; %bb.1:
	v_cmp_neq_f32_e64 s0, s25, 0
	s_cmp_lg_u32 s11, 0
	s_cselect_b32 s1, -1, 0
	s_and_b32 s0, s1, s0
.LBB298_2:
	s_andn2_b32 vcc_lo, exec_lo, s0
	s_cbranch_vccnz .LBB298_26
; %bb.3:
	s_load_dwordx2 s[0:1], s[4:5], 0x48
	s_mov_b32 s9, 0
	v_mov_b32_e32 v13, 0
	s_lshl_b64 s[22:23], s[8:9], 3
	v_mov_b32_e32 v9, 0
	v_mov_b32_e32 v7, 0
	;; [unrolled: 1-line block ×3, first 2 shown]
	s_waitcnt lgkmcnt(0)
	s_add_u32 s0, s0, s22
	s_addc_u32 s1, s1, s23
	s_lshl_b32 s8, s6, 5
	s_load_dwordx2 s[14:15], s[0:1], 0x0
	s_lshl_b32 s26, s7, 5
	v_cmp_eq_f32_e64 s0, s25, 0
	s_cmp_lt_i32 s11, 1
	s_cselect_b32 s1, -1, 0
	s_or_b32 s0, s0, s1
	s_and_b32 vcc_lo, exec_lo, s0
	s_cbranch_vccnz .LBB298_10
; %bb.4:
	s_clause 0x2
	s_load_dword s6, s[4:5], 0x18
	s_load_dword s20, s[4:5], 0x30
	s_load_dwordx4 s[16:19], s[4:5], 0x20
	v_lshl_add_u32 v2, v1, 4, v0
	v_and_b32_e32 v8, 7, v0
	v_lshlrev_b32_e32 v14, 2, v0
	v_lshl_add_u32 v15, v1, 5, 0x400
	v_and_b32_e32 v9, 31, v2
	v_lshrrev_b32_e32 v3, 3, v2
	v_lshlrev_b32_e32 v4, 2, v8
	v_lshrrev_b32_e32 v10, 5, v2
	v_or_b32_e32 v5, s8, v9
	v_lshlrev_b32_e32 v6, 2, v9
	v_add_nc_u32_e32 v2, s26, v3
	v_lshl_or_b32 v3, v3, 5, v4
	v_add_nc_u32_e32 v16, s8, v9
	v_cmp_gt_i32_e32 vcc_lo, s10, v5
	v_lshl_or_b32 v11, v10, 7, v6
	s_waitcnt lgkmcnt(0)
	v_mad_i64_i32 v[4:5], null, v10, s6, 0
	s_ashr_i32 s7, s6, 31
	s_ashr_i32 s21, s20, 31
	s_add_u32 s18, s18, s22
	s_addc_u32 s19, s19, s23
	s_add_u32 s2, s2, s22
	v_mad_i64_i32 v[6:7], null, s20, v8, 0
	s_addc_u32 s3, s3, s23
	s_load_dwordx2 s[18:19], s[18:19], 0x0
	s_load_dwordx2 s[2:3], s[2:3], 0x0
	v_lshlrev_b64 v[4:5], 2, v[4:5]
	v_ashrrev_i32_e32 v17, 31, v16
	s_lshl_b64 s[16:17], s[16:17], 2
	v_add_nc_u32_e32 v12, 0x400, v3
	v_ashrrev_i32_e32 v3, 31, v2
	v_lshlrev_b64 v[6:7], 2, v[6:7]
	v_add_co_u32 v9, s1, v4, s16
	v_add_co_ci_u32_e64 v13, null, s17, v5, s1
	v_lshlrev_b64 v[4:5], 2, v[16:17]
	s_lshl_b64 s[12:13], s[12:13], 2
	v_cmp_gt_i32_e64 s0, s10, v2
	v_lshlrev_b64 v[2:3], 2, v[2:3]
	v_add_co_u32 v6, s1, v6, s12
	v_add_co_ci_u32_e64 v7, null, s13, v7, s1
	v_add_co_u32 v4, s1, v9, v4
	v_add_co_ci_u32_e64 v5, null, v13, v5, s1
	;; [unrolled: 2-line block ×3, first 2 shown]
	s_waitcnt lgkmcnt(0)
	v_add_co_u32 v2, s1, s2, v4
	v_add_co_ci_u32_e64 v3, null, s3, v5, s1
	v_add_co_u32 v4, s1, s18, v6
	v_add_co_ci_u32_e64 v5, null, s19, v7, s1
	v_mov_b32_e32 v6, 0
	v_mov_b32_e32 v7, 0
	;; [unrolled: 1-line block ×4, first 2 shown]
	s_lshl_b64 s[2:3], s[6:7], 5
	s_lshl_b64 s[6:7], s[20:21], 5
	s_branch .LBB298_6
.LBB298_5:                              ;   in Loop: Header=BB298_6 Depth=1
	s_or_b32 exec_lo, exec_lo, s1
	s_waitcnt vmcnt(0) lgkmcnt(0)
	ds_write_b32 v12, v17
	s_waitcnt lgkmcnt(0)
	s_barrier
	buffer_gl0_inv
	ds_read_b128 v[16:19], v15
	ds_read2_b32 v[32:33], v14 offset1:16
	ds_read_b128 v[20:23], v15 offset:512
	ds_read2_b32 v[34:35], v14 offset0:32 offset1:48
	ds_read2_b32 v[36:37], v14 offset0:64 offset1:80
	;; [unrolled: 1-line block ×3, first 2 shown]
	ds_read_b128 v[24:27], v15 offset:16
	ds_read2_b32 v[40:41], v14 offset0:128 offset1:144
	ds_read_b128 v[28:31], v15 offset:528
	v_add_co_u32 v2, s1, v2, s2
	v_add_co_ci_u32_e64 v3, null, s3, v3, s1
	v_add_co_u32 v4, s1, v4, s6
	v_add_co_ci_u32_e64 v5, null, s7, v5, s1
	s_add_i32 s9, s9, 8
	s_cmp_lt_i32 s9, s11
	s_waitcnt lgkmcnt(7)
	v_fmac_f32_e32 v13, v32, v16
	v_fmac_f32_e32 v9, v33, v16
	s_waitcnt lgkmcnt(6)
	v_fmac_f32_e32 v7, v32, v20
	v_fmac_f32_e32 v6, v33, v20
	ds_read2_b32 v[32:33], v14 offset0:160 offset1:176
	s_waitcnt lgkmcnt(6)
	v_fmac_f32_e32 v13, v34, v17
	v_fmac_f32_e32 v9, v35, v17
	v_fmac_f32_e32 v7, v34, v21
	v_fmac_f32_e32 v6, v35, v21
	ds_read2_b32 v[16:17], v14 offset0:192 offset1:208
	s_waitcnt lgkmcnt(6)
	v_fmac_f32_e32 v13, v36, v18
	v_fmac_f32_e32 v9, v37, v18
	;; [unrolled: 6-line block ×3, first 2 shown]
	v_fmac_f32_e32 v7, v38, v23
	v_fmac_f32_e32 v6, v39, v23
	s_waitcnt lgkmcnt(0)
	v_fmac_f32_e32 v13, v40, v24
	v_fmac_f32_e32 v9, v41, v24
	v_fmac_f32_e32 v7, v40, v28
	v_fmac_f32_e32 v6, v41, v28
	s_barrier
	v_fmac_f32_e32 v13, v32, v25
	v_fmac_f32_e32 v9, v33, v25
	;; [unrolled: 1-line block ×4, first 2 shown]
	buffer_gl0_inv
	v_fmac_f32_e32 v13, v16, v26
	v_fmac_f32_e32 v9, v17, v26
	;; [unrolled: 1-line block ×8, first 2 shown]
	s_cbranch_scc0 .LBB298_10
.LBB298_6:                              ; =>This Inner Loop Header: Depth=1
	v_add_nc_u32_e32 v16, s9, v10
	v_cmp_gt_i32_e64 s1, s11, v16
	v_mov_b32_e32 v16, 0
	s_and_b32 s12, vcc_lo, s1
	s_and_saveexec_b32 s1, s12
	s_cbranch_execz .LBB298_8
; %bb.7:                                ;   in Loop: Header=BB298_6 Depth=1
	flat_load_dword v16, v[2:3]
.LBB298_8:                              ;   in Loop: Header=BB298_6 Depth=1
	s_or_b32 exec_lo, exec_lo, s1
	v_add_nc_u32_e32 v17, s9, v8
	s_waitcnt vmcnt(0) lgkmcnt(0)
	ds_write_b32 v11, v16
	v_cmp_gt_i32_e64 s1, s11, v17
	v_mov_b32_e32 v17, 0
	s_and_b32 s12, s1, s0
	s_and_saveexec_b32 s1, s12
	s_cbranch_execz .LBB298_5
; %bb.9:                                ;   in Loop: Header=BB298_6 Depth=1
	flat_load_dword v17, v[4:5]
	s_branch .LBB298_5
.LBB298_10:
	s_clause 0x1
	s_load_dword s3, s[4:5], 0x50
	s_load_dwordx2 s[4:5], s[4:5], 0x58
	v_add_nc_u32_e32 v10, s26, v1
	v_add_nc_u32_e32 v0, s8, v0
	v_cmp_neq_f32_e64 s2, s24, 0
	v_cmp_le_i32_e32 vcc_lo, v10, v0
	v_cmp_gt_i32_e64 s0, s10, v0
	v_cndmask_b32_e64 v8, 0, 1, s2
	s_waitcnt lgkmcnt(0)
	v_mad_i64_i32 v[1:2], null, v10, s3, 0
	s_lshl_b64 s[4:5], s[4:5], 2
	s_add_u32 s4, s14, s4
	s_addc_u32 s5, s15, s5
	s_and_b32 s6, vcc_lo, s0
	v_lshlrev_b64 v[2:3], 2, v[1:2]
	v_ashrrev_i32_e32 v1, 31, v0
	v_add_co_u32 v4, s1, s4, v2
	v_add_co_ci_u32_e64 v5, null, s5, v3, s1
	s_and_saveexec_b32 s1, s6
	s_cbranch_execz .LBB298_14
; %bb.11:
	v_lshlrev_b64 v[2:3], 2, v[0:1]
	v_mul_f32_e32 v11, s25, v13
	v_add_co_u32 v2, vcc_lo, v4, v2
	v_add_co_ci_u32_e64 v3, null, v5, v3, vcc_lo
	s_andn2_b32 vcc_lo, exec_lo, s2
	s_cbranch_vccnz .LBB298_13
; %bb.12:
	flat_load_dword v12, v[2:3]
	s_waitcnt vmcnt(0) lgkmcnt(0)
	v_fmac_f32_e32 v11, s24, v12
.LBB298_13:
	flat_store_dword v[2:3], v11
.LBB298_14:
	s_or_b32 exec_lo, exec_lo, s1
	v_add_nc_u32_e32 v2, 16, v0
	v_cmp_le_i32_e32 vcc_lo, v10, v2
	v_cmp_gt_i32_e64 s1, s10, v2
	v_ashrrev_i32_e32 v3, 31, v2
	s_and_b32 s2, vcc_lo, s1
	s_and_saveexec_b32 s6, s2
	s_cbranch_execz .LBB298_18
; %bb.15:
	v_lshlrev_b64 v[11:12], 2, v[2:3]
	v_cmp_ne_u32_e32 vcc_lo, 1, v8
	v_mul_f32_e32 v9, s25, v9
	v_add_co_u32 v4, s2, v4, v11
	v_add_co_ci_u32_e64 v5, null, v5, v12, s2
	s_cbranch_vccnz .LBB298_17
; %bb.16:
	flat_load_dword v11, v[4:5]
	s_waitcnt vmcnt(0) lgkmcnt(0)
	v_fmac_f32_e32 v9, s24, v11
.LBB298_17:
	flat_store_dword v[4:5], v9
.LBB298_18:
	s_or_b32 exec_lo, exec_lo, s6
	v_add_nc_u32_e32 v9, 16, v10
	v_mad_i64_i32 v[4:5], null, v9, s3, 0
	v_cmp_le_i32_e32 vcc_lo, v9, v0
	s_and_b32 s0, vcc_lo, s0
	v_lshlrev_b64 v[4:5], 2, v[4:5]
	v_add_co_u32 v4, s2, s4, v4
	v_add_co_ci_u32_e64 v5, null, s5, v5, s2
	s_and_saveexec_b32 s2, s0
	s_cbranch_execz .LBB298_22
; %bb.19:
	v_lshlrev_b64 v[0:1], 2, v[0:1]
	v_cmp_ne_u32_e32 vcc_lo, 1, v8
	v_mul_f32_e32 v7, s25, v7
	v_add_co_u32 v0, s0, v4, v0
	v_add_co_ci_u32_e64 v1, null, v5, v1, s0
	s_cbranch_vccnz .LBB298_21
; %bb.20:
	flat_load_dword v10, v[0:1]
	s_waitcnt vmcnt(0) lgkmcnt(0)
	v_fmac_f32_e32 v7, s24, v10
.LBB298_21:
	flat_store_dword v[0:1], v7
.LBB298_22:
	s_or_b32 exec_lo, exec_lo, s2
	v_cmp_le_i32_e32 vcc_lo, v9, v2
	s_and_b32 s0, vcc_lo, s1
	s_and_saveexec_b32 s1, s0
	s_cbranch_execz .LBB298_26
; %bb.23:
	v_lshlrev_b64 v[0:1], 2, v[2:3]
	v_cmp_ne_u32_e32 vcc_lo, 1, v8
	v_mul_f32_e32 v2, s25, v6
	v_add_co_u32 v0, s0, v4, v0
	v_add_co_ci_u32_e64 v1, null, v5, v1, s0
	s_cbranch_vccnz .LBB298_25
; %bb.24:
	flat_load_dword v3, v[0:1]
	s_waitcnt vmcnt(0) lgkmcnt(0)
	v_fmac_f32_e32 v2, s24, v3
.LBB298_25:
	flat_store_dword v[0:1], v2
.LBB298_26:
	s_endpgm
	.section	.rodata,"a",@progbits
	.p2align	6, 0x0
	.amdhsa_kernel _ZL29rocblas_internal_gemmt_kernelIiLi16ELi32ELi8ELc78ELc84ELc76ELb0ELb0EfPKfPKS1_PKPfEviT_T9_T10_S7_lS9_S7_lS8_T11_S7_li
		.amdhsa_group_segment_fixed_size 2048
		.amdhsa_private_segment_fixed_size 0
		.amdhsa_kernarg_size 100
		.amdhsa_user_sgpr_count 6
		.amdhsa_user_sgpr_private_segment_buffer 1
		.amdhsa_user_sgpr_dispatch_ptr 0
		.amdhsa_user_sgpr_queue_ptr 0
		.amdhsa_user_sgpr_kernarg_segment_ptr 1
		.amdhsa_user_sgpr_dispatch_id 0
		.amdhsa_user_sgpr_flat_scratch_init 0
		.amdhsa_user_sgpr_private_segment_size 0
		.amdhsa_wavefront_size32 1
		.amdhsa_uses_dynamic_stack 0
		.amdhsa_system_sgpr_private_segment_wavefront_offset 0
		.amdhsa_system_sgpr_workgroup_id_x 1
		.amdhsa_system_sgpr_workgroup_id_y 1
		.amdhsa_system_sgpr_workgroup_id_z 1
		.amdhsa_system_sgpr_workgroup_info 0
		.amdhsa_system_vgpr_workitem_id 1
		.amdhsa_next_free_vgpr 42
		.amdhsa_next_free_sgpr 27
		.amdhsa_reserve_vcc 1
		.amdhsa_reserve_flat_scratch 0
		.amdhsa_float_round_mode_32 0
		.amdhsa_float_round_mode_16_64 0
		.amdhsa_float_denorm_mode_32 3
		.amdhsa_float_denorm_mode_16_64 3
		.amdhsa_dx10_clamp 1
		.amdhsa_ieee_mode 1
		.amdhsa_fp16_overflow 0
		.amdhsa_workgroup_processor_mode 1
		.amdhsa_memory_ordered 1
		.amdhsa_forward_progress 1
		.amdhsa_shared_vgpr_count 0
		.amdhsa_exception_fp_ieee_invalid_op 0
		.amdhsa_exception_fp_denorm_src 0
		.amdhsa_exception_fp_ieee_div_zero 0
		.amdhsa_exception_fp_ieee_overflow 0
		.amdhsa_exception_fp_ieee_underflow 0
		.amdhsa_exception_fp_ieee_inexact 0
		.amdhsa_exception_int_div_zero 0
	.end_amdhsa_kernel
	.section	.text._ZL29rocblas_internal_gemmt_kernelIiLi16ELi32ELi8ELc78ELc84ELc76ELb0ELb0EfPKfPKS1_PKPfEviT_T9_T10_S7_lS9_S7_lS8_T11_S7_li,"axG",@progbits,_ZL29rocblas_internal_gemmt_kernelIiLi16ELi32ELi8ELc78ELc84ELc76ELb0ELb0EfPKfPKS1_PKPfEviT_T9_T10_S7_lS9_S7_lS8_T11_S7_li,comdat
.Lfunc_end298:
	.size	_ZL29rocblas_internal_gemmt_kernelIiLi16ELi32ELi8ELc78ELc84ELc76ELb0ELb0EfPKfPKS1_PKPfEviT_T9_T10_S7_lS9_S7_lS8_T11_S7_li, .Lfunc_end298-_ZL29rocblas_internal_gemmt_kernelIiLi16ELi32ELi8ELc78ELc84ELc76ELb0ELb0EfPKfPKS1_PKPfEviT_T9_T10_S7_lS9_S7_lS8_T11_S7_li
                                        ; -- End function
	.set _ZL29rocblas_internal_gemmt_kernelIiLi16ELi32ELi8ELc78ELc84ELc76ELb0ELb0EfPKfPKS1_PKPfEviT_T9_T10_S7_lS9_S7_lS8_T11_S7_li.num_vgpr, 42
	.set _ZL29rocblas_internal_gemmt_kernelIiLi16ELi32ELi8ELc78ELc84ELc76ELb0ELb0EfPKfPKS1_PKPfEviT_T9_T10_S7_lS9_S7_lS8_T11_S7_li.num_agpr, 0
	.set _ZL29rocblas_internal_gemmt_kernelIiLi16ELi32ELi8ELc78ELc84ELc76ELb0ELb0EfPKfPKS1_PKPfEviT_T9_T10_S7_lS9_S7_lS8_T11_S7_li.numbered_sgpr, 27
	.set _ZL29rocblas_internal_gemmt_kernelIiLi16ELi32ELi8ELc78ELc84ELc76ELb0ELb0EfPKfPKS1_PKPfEviT_T9_T10_S7_lS9_S7_lS8_T11_S7_li.num_named_barrier, 0
	.set _ZL29rocblas_internal_gemmt_kernelIiLi16ELi32ELi8ELc78ELc84ELc76ELb0ELb0EfPKfPKS1_PKPfEviT_T9_T10_S7_lS9_S7_lS8_T11_S7_li.private_seg_size, 0
	.set _ZL29rocblas_internal_gemmt_kernelIiLi16ELi32ELi8ELc78ELc84ELc76ELb0ELb0EfPKfPKS1_PKPfEviT_T9_T10_S7_lS9_S7_lS8_T11_S7_li.uses_vcc, 1
	.set _ZL29rocblas_internal_gemmt_kernelIiLi16ELi32ELi8ELc78ELc84ELc76ELb0ELb0EfPKfPKS1_PKPfEviT_T9_T10_S7_lS9_S7_lS8_T11_S7_li.uses_flat_scratch, 0
	.set _ZL29rocblas_internal_gemmt_kernelIiLi16ELi32ELi8ELc78ELc84ELc76ELb0ELb0EfPKfPKS1_PKPfEviT_T9_T10_S7_lS9_S7_lS8_T11_S7_li.has_dyn_sized_stack, 0
	.set _ZL29rocblas_internal_gemmt_kernelIiLi16ELi32ELi8ELc78ELc84ELc76ELb0ELb0EfPKfPKS1_PKPfEviT_T9_T10_S7_lS9_S7_lS8_T11_S7_li.has_recursion, 0
	.set _ZL29rocblas_internal_gemmt_kernelIiLi16ELi32ELi8ELc78ELc84ELc76ELb0ELb0EfPKfPKS1_PKPfEviT_T9_T10_S7_lS9_S7_lS8_T11_S7_li.has_indirect_call, 0
	.section	.AMDGPU.csdata,"",@progbits
; Kernel info:
; codeLenInByte = 1448
; TotalNumSgprs: 29
; NumVgprs: 42
; ScratchSize: 0
; MemoryBound: 0
; FloatMode: 240
; IeeeMode: 1
; LDSByteSize: 2048 bytes/workgroup (compile time only)
; SGPRBlocks: 0
; VGPRBlocks: 5
; NumSGPRsForWavesPerEU: 29
; NumVGPRsForWavesPerEU: 42
; Occupancy: 16
; WaveLimiterHint : 1
; COMPUTE_PGM_RSRC2:SCRATCH_EN: 0
; COMPUTE_PGM_RSRC2:USER_SGPR: 6
; COMPUTE_PGM_RSRC2:TRAP_HANDLER: 0
; COMPUTE_PGM_RSRC2:TGID_X_EN: 1
; COMPUTE_PGM_RSRC2:TGID_Y_EN: 1
; COMPUTE_PGM_RSRC2:TGID_Z_EN: 1
; COMPUTE_PGM_RSRC2:TIDIG_COMP_CNT: 1
	.section	.text._ZL29rocblas_internal_gemmt_kernelIiLi16ELi32ELi8ELc78ELc67ELc76ELb0ELb0EfPKfPKS1_PKPfEviT_T9_T10_S7_lS9_S7_lS8_T11_S7_li,"axG",@progbits,_ZL29rocblas_internal_gemmt_kernelIiLi16ELi32ELi8ELc78ELc67ELc76ELb0ELb0EfPKfPKS1_PKPfEviT_T9_T10_S7_lS9_S7_lS8_T11_S7_li,comdat
	.globl	_ZL29rocblas_internal_gemmt_kernelIiLi16ELi32ELi8ELc78ELc67ELc76ELb0ELb0EfPKfPKS1_PKPfEviT_T9_T10_S7_lS9_S7_lS8_T11_S7_li ; -- Begin function _ZL29rocblas_internal_gemmt_kernelIiLi16ELi32ELi8ELc78ELc67ELc76ELb0ELb0EfPKfPKS1_PKPfEviT_T9_T10_S7_lS9_S7_lS8_T11_S7_li
	.p2align	8
	.type	_ZL29rocblas_internal_gemmt_kernelIiLi16ELi32ELi8ELc78ELc67ELc76ELb0ELb0EfPKfPKS1_PKPfEviT_T9_T10_S7_lS9_S7_lS8_T11_S7_li,@function
_ZL29rocblas_internal_gemmt_kernelIiLi16ELi32ELi8ELc78ELc67ELc76ELb0ELb0EfPKfPKS1_PKPfEviT_T9_T10_S7_lS9_S7_lS8_T11_S7_li: ; @_ZL29rocblas_internal_gemmt_kernelIiLi16ELi32ELi8ELc78ELc67ELc76ELb0ELb0EfPKfPKS1_PKPfEviT_T9_T10_S7_lS9_S7_lS8_T11_S7_li
; %bb.0:
	s_clause 0x1
	s_load_dwordx4 s[12:15], s[4:5], 0x38
	s_load_dwordx4 s[0:3], s[4:5], 0x8
	s_waitcnt lgkmcnt(0)
	s_load_dword s24, s[14:15], 0x0
	s_load_dwordx2 s[10:11], s[4:5], 0x0
	s_load_dword s25, s[0:1], 0x0
	s_waitcnt lgkmcnt(0)
	v_cmp_neq_f32_e64 s0, s24, 1.0
	s_and_b32 vcc_lo, exec_lo, s0
	s_cbranch_vccnz .LBB299_2
; %bb.1:
	v_cmp_neq_f32_e64 s0, s25, 0
	s_cmp_lg_u32 s11, 0
	s_cselect_b32 s1, -1, 0
	s_and_b32 s0, s1, s0
.LBB299_2:
	s_andn2_b32 vcc_lo, exec_lo, s0
	s_cbranch_vccnz .LBB299_26
; %bb.3:
	s_load_dwordx2 s[0:1], s[4:5], 0x48
	s_mov_b32 s9, 0
	v_mov_b32_e32 v13, 0
	s_lshl_b64 s[22:23], s[8:9], 3
	v_mov_b32_e32 v9, 0
	v_mov_b32_e32 v7, 0
	;; [unrolled: 1-line block ×3, first 2 shown]
	s_waitcnt lgkmcnt(0)
	s_add_u32 s0, s0, s22
	s_addc_u32 s1, s1, s23
	s_lshl_b32 s8, s6, 5
	s_load_dwordx2 s[14:15], s[0:1], 0x0
	s_lshl_b32 s26, s7, 5
	v_cmp_eq_f32_e64 s0, s25, 0
	s_cmp_lt_i32 s11, 1
	s_cselect_b32 s1, -1, 0
	s_or_b32 s0, s0, s1
	s_and_b32 vcc_lo, exec_lo, s0
	s_cbranch_vccnz .LBB299_10
; %bb.4:
	s_clause 0x2
	s_load_dword s6, s[4:5], 0x18
	s_load_dword s20, s[4:5], 0x30
	s_load_dwordx4 s[16:19], s[4:5], 0x20
	v_lshl_add_u32 v2, v1, 4, v0
	v_and_b32_e32 v8, 7, v0
	v_lshlrev_b32_e32 v14, 2, v0
	v_lshl_add_u32 v15, v1, 5, 0x400
	v_and_b32_e32 v9, 31, v2
	v_lshrrev_b32_e32 v3, 3, v2
	v_lshlrev_b32_e32 v4, 2, v8
	v_lshrrev_b32_e32 v10, 5, v2
	v_or_b32_e32 v5, s8, v9
	v_lshlrev_b32_e32 v6, 2, v9
	v_add_nc_u32_e32 v2, s26, v3
	v_lshl_or_b32 v3, v3, 5, v4
	v_add_nc_u32_e32 v16, s8, v9
	v_cmp_gt_i32_e32 vcc_lo, s10, v5
	v_lshl_or_b32 v11, v10, 7, v6
	s_waitcnt lgkmcnt(0)
	v_mad_i64_i32 v[4:5], null, v10, s6, 0
	s_ashr_i32 s7, s6, 31
	s_ashr_i32 s21, s20, 31
	s_add_u32 s18, s18, s22
	s_addc_u32 s19, s19, s23
	s_add_u32 s2, s2, s22
	v_mad_i64_i32 v[6:7], null, s20, v8, 0
	s_addc_u32 s3, s3, s23
	s_load_dwordx2 s[18:19], s[18:19], 0x0
	s_load_dwordx2 s[2:3], s[2:3], 0x0
	v_lshlrev_b64 v[4:5], 2, v[4:5]
	v_ashrrev_i32_e32 v17, 31, v16
	s_lshl_b64 s[16:17], s[16:17], 2
	v_add_nc_u32_e32 v12, 0x400, v3
	v_ashrrev_i32_e32 v3, 31, v2
	v_lshlrev_b64 v[6:7], 2, v[6:7]
	v_add_co_u32 v9, s1, v4, s16
	v_add_co_ci_u32_e64 v13, null, s17, v5, s1
	v_lshlrev_b64 v[4:5], 2, v[16:17]
	s_lshl_b64 s[12:13], s[12:13], 2
	v_cmp_gt_i32_e64 s0, s10, v2
	v_lshlrev_b64 v[2:3], 2, v[2:3]
	v_add_co_u32 v6, s1, v6, s12
	v_add_co_ci_u32_e64 v7, null, s13, v7, s1
	v_add_co_u32 v4, s1, v9, v4
	v_add_co_ci_u32_e64 v5, null, v13, v5, s1
	;; [unrolled: 2-line block ×3, first 2 shown]
	s_waitcnt lgkmcnt(0)
	v_add_co_u32 v2, s1, s2, v4
	v_add_co_ci_u32_e64 v3, null, s3, v5, s1
	v_add_co_u32 v4, s1, s18, v6
	v_add_co_ci_u32_e64 v5, null, s19, v7, s1
	v_mov_b32_e32 v6, 0
	v_mov_b32_e32 v7, 0
	;; [unrolled: 1-line block ×4, first 2 shown]
	s_lshl_b64 s[2:3], s[6:7], 5
	s_lshl_b64 s[6:7], s[20:21], 5
	s_branch .LBB299_6
.LBB299_5:                              ;   in Loop: Header=BB299_6 Depth=1
	s_or_b32 exec_lo, exec_lo, s1
	s_waitcnt vmcnt(0) lgkmcnt(0)
	ds_write_b32 v12, v17
	s_waitcnt lgkmcnt(0)
	s_barrier
	buffer_gl0_inv
	ds_read_b128 v[16:19], v15
	ds_read2_b32 v[32:33], v14 offset1:16
	ds_read_b128 v[20:23], v15 offset:512
	ds_read2_b32 v[34:35], v14 offset0:32 offset1:48
	ds_read2_b32 v[36:37], v14 offset0:64 offset1:80
	;; [unrolled: 1-line block ×3, first 2 shown]
	ds_read_b128 v[24:27], v15 offset:16
	ds_read2_b32 v[40:41], v14 offset0:128 offset1:144
	ds_read_b128 v[28:31], v15 offset:528
	v_add_co_u32 v2, s1, v2, s2
	v_add_co_ci_u32_e64 v3, null, s3, v3, s1
	v_add_co_u32 v4, s1, v4, s6
	v_add_co_ci_u32_e64 v5, null, s7, v5, s1
	s_add_i32 s9, s9, 8
	s_cmp_lt_i32 s9, s11
	s_waitcnt lgkmcnt(7)
	v_fmac_f32_e32 v13, v32, v16
	v_fmac_f32_e32 v9, v33, v16
	s_waitcnt lgkmcnt(6)
	v_fmac_f32_e32 v7, v32, v20
	v_fmac_f32_e32 v6, v33, v20
	ds_read2_b32 v[32:33], v14 offset0:160 offset1:176
	s_waitcnt lgkmcnt(6)
	v_fmac_f32_e32 v13, v34, v17
	v_fmac_f32_e32 v9, v35, v17
	v_fmac_f32_e32 v7, v34, v21
	v_fmac_f32_e32 v6, v35, v21
	ds_read2_b32 v[16:17], v14 offset0:192 offset1:208
	s_waitcnt lgkmcnt(6)
	v_fmac_f32_e32 v13, v36, v18
	v_fmac_f32_e32 v9, v37, v18
	;; [unrolled: 6-line block ×3, first 2 shown]
	v_fmac_f32_e32 v7, v38, v23
	v_fmac_f32_e32 v6, v39, v23
	s_waitcnt lgkmcnt(0)
	v_fmac_f32_e32 v13, v40, v24
	v_fmac_f32_e32 v9, v41, v24
	;; [unrolled: 1-line block ×4, first 2 shown]
	s_barrier
	v_fmac_f32_e32 v13, v32, v25
	v_fmac_f32_e32 v9, v33, v25
	;; [unrolled: 1-line block ×4, first 2 shown]
	buffer_gl0_inv
	v_fmac_f32_e32 v13, v16, v26
	v_fmac_f32_e32 v9, v17, v26
	;; [unrolled: 1-line block ×8, first 2 shown]
	s_cbranch_scc0 .LBB299_10
.LBB299_6:                              ; =>This Inner Loop Header: Depth=1
	v_add_nc_u32_e32 v16, s9, v10
	v_cmp_gt_i32_e64 s1, s11, v16
	v_mov_b32_e32 v16, 0
	s_and_b32 s12, vcc_lo, s1
	s_and_saveexec_b32 s1, s12
	s_cbranch_execz .LBB299_8
; %bb.7:                                ;   in Loop: Header=BB299_6 Depth=1
	flat_load_dword v16, v[2:3]
.LBB299_8:                              ;   in Loop: Header=BB299_6 Depth=1
	s_or_b32 exec_lo, exec_lo, s1
	v_add_nc_u32_e32 v17, s9, v8
	s_waitcnt vmcnt(0) lgkmcnt(0)
	ds_write_b32 v11, v16
	v_cmp_gt_i32_e64 s1, s11, v17
	v_mov_b32_e32 v17, 0
	s_and_b32 s12, s1, s0
	s_and_saveexec_b32 s1, s12
	s_cbranch_execz .LBB299_5
; %bb.9:                                ;   in Loop: Header=BB299_6 Depth=1
	flat_load_dword v17, v[4:5]
	s_branch .LBB299_5
.LBB299_10:
	s_clause 0x1
	s_load_dword s3, s[4:5], 0x50
	s_load_dwordx2 s[4:5], s[4:5], 0x58
	v_add_nc_u32_e32 v10, s26, v1
	v_add_nc_u32_e32 v0, s8, v0
	v_cmp_neq_f32_e64 s2, s24, 0
	v_cmp_le_i32_e32 vcc_lo, v10, v0
	v_cmp_gt_i32_e64 s0, s10, v0
	v_cndmask_b32_e64 v8, 0, 1, s2
	s_waitcnt lgkmcnt(0)
	v_mad_i64_i32 v[1:2], null, v10, s3, 0
	s_lshl_b64 s[4:5], s[4:5], 2
	s_add_u32 s4, s14, s4
	s_addc_u32 s5, s15, s5
	s_and_b32 s6, vcc_lo, s0
	v_lshlrev_b64 v[2:3], 2, v[1:2]
	v_ashrrev_i32_e32 v1, 31, v0
	v_add_co_u32 v4, s1, s4, v2
	v_add_co_ci_u32_e64 v5, null, s5, v3, s1
	s_and_saveexec_b32 s1, s6
	s_cbranch_execz .LBB299_14
; %bb.11:
	v_lshlrev_b64 v[2:3], 2, v[0:1]
	v_mul_f32_e32 v11, s25, v13
	v_add_co_u32 v2, vcc_lo, v4, v2
	v_add_co_ci_u32_e64 v3, null, v5, v3, vcc_lo
	s_andn2_b32 vcc_lo, exec_lo, s2
	s_cbranch_vccnz .LBB299_13
; %bb.12:
	flat_load_dword v12, v[2:3]
	s_waitcnt vmcnt(0) lgkmcnt(0)
	v_fmac_f32_e32 v11, s24, v12
.LBB299_13:
	flat_store_dword v[2:3], v11
.LBB299_14:
	s_or_b32 exec_lo, exec_lo, s1
	v_add_nc_u32_e32 v2, 16, v0
	v_cmp_le_i32_e32 vcc_lo, v10, v2
	v_cmp_gt_i32_e64 s1, s10, v2
	v_ashrrev_i32_e32 v3, 31, v2
	s_and_b32 s2, vcc_lo, s1
	s_and_saveexec_b32 s6, s2
	s_cbranch_execz .LBB299_18
; %bb.15:
	v_lshlrev_b64 v[11:12], 2, v[2:3]
	v_cmp_ne_u32_e32 vcc_lo, 1, v8
	v_mul_f32_e32 v9, s25, v9
	v_add_co_u32 v4, s2, v4, v11
	v_add_co_ci_u32_e64 v5, null, v5, v12, s2
	s_cbranch_vccnz .LBB299_17
; %bb.16:
	flat_load_dword v11, v[4:5]
	s_waitcnt vmcnt(0) lgkmcnt(0)
	v_fmac_f32_e32 v9, s24, v11
.LBB299_17:
	flat_store_dword v[4:5], v9
.LBB299_18:
	s_or_b32 exec_lo, exec_lo, s6
	v_add_nc_u32_e32 v9, 16, v10
	v_mad_i64_i32 v[4:5], null, v9, s3, 0
	v_cmp_le_i32_e32 vcc_lo, v9, v0
	s_and_b32 s0, vcc_lo, s0
	v_lshlrev_b64 v[4:5], 2, v[4:5]
	v_add_co_u32 v4, s2, s4, v4
	v_add_co_ci_u32_e64 v5, null, s5, v5, s2
	s_and_saveexec_b32 s2, s0
	s_cbranch_execz .LBB299_22
; %bb.19:
	v_lshlrev_b64 v[0:1], 2, v[0:1]
	v_cmp_ne_u32_e32 vcc_lo, 1, v8
	v_mul_f32_e32 v7, s25, v7
	v_add_co_u32 v0, s0, v4, v0
	v_add_co_ci_u32_e64 v1, null, v5, v1, s0
	s_cbranch_vccnz .LBB299_21
; %bb.20:
	flat_load_dword v10, v[0:1]
	s_waitcnt vmcnt(0) lgkmcnt(0)
	v_fmac_f32_e32 v7, s24, v10
.LBB299_21:
	flat_store_dword v[0:1], v7
.LBB299_22:
	s_or_b32 exec_lo, exec_lo, s2
	v_cmp_le_i32_e32 vcc_lo, v9, v2
	s_and_b32 s0, vcc_lo, s1
	s_and_saveexec_b32 s1, s0
	s_cbranch_execz .LBB299_26
; %bb.23:
	v_lshlrev_b64 v[0:1], 2, v[2:3]
	v_cmp_ne_u32_e32 vcc_lo, 1, v8
	v_mul_f32_e32 v2, s25, v6
	v_add_co_u32 v0, s0, v4, v0
	v_add_co_ci_u32_e64 v1, null, v5, v1, s0
	s_cbranch_vccnz .LBB299_25
; %bb.24:
	flat_load_dword v3, v[0:1]
	s_waitcnt vmcnt(0) lgkmcnt(0)
	v_fmac_f32_e32 v2, s24, v3
.LBB299_25:
	flat_store_dword v[0:1], v2
.LBB299_26:
	s_endpgm
	.section	.rodata,"a",@progbits
	.p2align	6, 0x0
	.amdhsa_kernel _ZL29rocblas_internal_gemmt_kernelIiLi16ELi32ELi8ELc78ELc67ELc76ELb0ELb0EfPKfPKS1_PKPfEviT_T9_T10_S7_lS9_S7_lS8_T11_S7_li
		.amdhsa_group_segment_fixed_size 2048
		.amdhsa_private_segment_fixed_size 0
		.amdhsa_kernarg_size 100
		.amdhsa_user_sgpr_count 6
		.amdhsa_user_sgpr_private_segment_buffer 1
		.amdhsa_user_sgpr_dispatch_ptr 0
		.amdhsa_user_sgpr_queue_ptr 0
		.amdhsa_user_sgpr_kernarg_segment_ptr 1
		.amdhsa_user_sgpr_dispatch_id 0
		.amdhsa_user_sgpr_flat_scratch_init 0
		.amdhsa_user_sgpr_private_segment_size 0
		.amdhsa_wavefront_size32 1
		.amdhsa_uses_dynamic_stack 0
		.amdhsa_system_sgpr_private_segment_wavefront_offset 0
		.amdhsa_system_sgpr_workgroup_id_x 1
		.amdhsa_system_sgpr_workgroup_id_y 1
		.amdhsa_system_sgpr_workgroup_id_z 1
		.amdhsa_system_sgpr_workgroup_info 0
		.amdhsa_system_vgpr_workitem_id 1
		.amdhsa_next_free_vgpr 42
		.amdhsa_next_free_sgpr 27
		.amdhsa_reserve_vcc 1
		.amdhsa_reserve_flat_scratch 0
		.amdhsa_float_round_mode_32 0
		.amdhsa_float_round_mode_16_64 0
		.amdhsa_float_denorm_mode_32 3
		.amdhsa_float_denorm_mode_16_64 3
		.amdhsa_dx10_clamp 1
		.amdhsa_ieee_mode 1
		.amdhsa_fp16_overflow 0
		.amdhsa_workgroup_processor_mode 1
		.amdhsa_memory_ordered 1
		.amdhsa_forward_progress 1
		.amdhsa_shared_vgpr_count 0
		.amdhsa_exception_fp_ieee_invalid_op 0
		.amdhsa_exception_fp_denorm_src 0
		.amdhsa_exception_fp_ieee_div_zero 0
		.amdhsa_exception_fp_ieee_overflow 0
		.amdhsa_exception_fp_ieee_underflow 0
		.amdhsa_exception_fp_ieee_inexact 0
		.amdhsa_exception_int_div_zero 0
	.end_amdhsa_kernel
	.section	.text._ZL29rocblas_internal_gemmt_kernelIiLi16ELi32ELi8ELc78ELc67ELc76ELb0ELb0EfPKfPKS1_PKPfEviT_T9_T10_S7_lS9_S7_lS8_T11_S7_li,"axG",@progbits,_ZL29rocblas_internal_gemmt_kernelIiLi16ELi32ELi8ELc78ELc67ELc76ELb0ELb0EfPKfPKS1_PKPfEviT_T9_T10_S7_lS9_S7_lS8_T11_S7_li,comdat
.Lfunc_end299:
	.size	_ZL29rocblas_internal_gemmt_kernelIiLi16ELi32ELi8ELc78ELc67ELc76ELb0ELb0EfPKfPKS1_PKPfEviT_T9_T10_S7_lS9_S7_lS8_T11_S7_li, .Lfunc_end299-_ZL29rocblas_internal_gemmt_kernelIiLi16ELi32ELi8ELc78ELc67ELc76ELb0ELb0EfPKfPKS1_PKPfEviT_T9_T10_S7_lS9_S7_lS8_T11_S7_li
                                        ; -- End function
	.set _ZL29rocblas_internal_gemmt_kernelIiLi16ELi32ELi8ELc78ELc67ELc76ELb0ELb0EfPKfPKS1_PKPfEviT_T9_T10_S7_lS9_S7_lS8_T11_S7_li.num_vgpr, 42
	.set _ZL29rocblas_internal_gemmt_kernelIiLi16ELi32ELi8ELc78ELc67ELc76ELb0ELb0EfPKfPKS1_PKPfEviT_T9_T10_S7_lS9_S7_lS8_T11_S7_li.num_agpr, 0
	.set _ZL29rocblas_internal_gemmt_kernelIiLi16ELi32ELi8ELc78ELc67ELc76ELb0ELb0EfPKfPKS1_PKPfEviT_T9_T10_S7_lS9_S7_lS8_T11_S7_li.numbered_sgpr, 27
	.set _ZL29rocblas_internal_gemmt_kernelIiLi16ELi32ELi8ELc78ELc67ELc76ELb0ELb0EfPKfPKS1_PKPfEviT_T9_T10_S7_lS9_S7_lS8_T11_S7_li.num_named_barrier, 0
	.set _ZL29rocblas_internal_gemmt_kernelIiLi16ELi32ELi8ELc78ELc67ELc76ELb0ELb0EfPKfPKS1_PKPfEviT_T9_T10_S7_lS9_S7_lS8_T11_S7_li.private_seg_size, 0
	.set _ZL29rocblas_internal_gemmt_kernelIiLi16ELi32ELi8ELc78ELc67ELc76ELb0ELb0EfPKfPKS1_PKPfEviT_T9_T10_S7_lS9_S7_lS8_T11_S7_li.uses_vcc, 1
	.set _ZL29rocblas_internal_gemmt_kernelIiLi16ELi32ELi8ELc78ELc67ELc76ELb0ELb0EfPKfPKS1_PKPfEviT_T9_T10_S7_lS9_S7_lS8_T11_S7_li.uses_flat_scratch, 0
	.set _ZL29rocblas_internal_gemmt_kernelIiLi16ELi32ELi8ELc78ELc67ELc76ELb0ELb0EfPKfPKS1_PKPfEviT_T9_T10_S7_lS9_S7_lS8_T11_S7_li.has_dyn_sized_stack, 0
	.set _ZL29rocblas_internal_gemmt_kernelIiLi16ELi32ELi8ELc78ELc67ELc76ELb0ELb0EfPKfPKS1_PKPfEviT_T9_T10_S7_lS9_S7_lS8_T11_S7_li.has_recursion, 0
	.set _ZL29rocblas_internal_gemmt_kernelIiLi16ELi32ELi8ELc78ELc67ELc76ELb0ELb0EfPKfPKS1_PKPfEviT_T9_T10_S7_lS9_S7_lS8_T11_S7_li.has_indirect_call, 0
	.section	.AMDGPU.csdata,"",@progbits
; Kernel info:
; codeLenInByte = 1448
; TotalNumSgprs: 29
; NumVgprs: 42
; ScratchSize: 0
; MemoryBound: 0
; FloatMode: 240
; IeeeMode: 1
; LDSByteSize: 2048 bytes/workgroup (compile time only)
; SGPRBlocks: 0
; VGPRBlocks: 5
; NumSGPRsForWavesPerEU: 29
; NumVGPRsForWavesPerEU: 42
; Occupancy: 16
; WaveLimiterHint : 1
; COMPUTE_PGM_RSRC2:SCRATCH_EN: 0
; COMPUTE_PGM_RSRC2:USER_SGPR: 6
; COMPUTE_PGM_RSRC2:TRAP_HANDLER: 0
; COMPUTE_PGM_RSRC2:TGID_X_EN: 1
; COMPUTE_PGM_RSRC2:TGID_Y_EN: 1
; COMPUTE_PGM_RSRC2:TGID_Z_EN: 1
; COMPUTE_PGM_RSRC2:TIDIG_COMP_CNT: 1
	.section	.text._ZL29rocblas_internal_gemmt_kernelIiLi16ELi32ELi8ELc84ELc78ELc76ELb0ELb0EfPKfPKS1_PKPfEviT_T9_T10_S7_lS9_S7_lS8_T11_S7_li,"axG",@progbits,_ZL29rocblas_internal_gemmt_kernelIiLi16ELi32ELi8ELc84ELc78ELc76ELb0ELb0EfPKfPKS1_PKPfEviT_T9_T10_S7_lS9_S7_lS8_T11_S7_li,comdat
	.globl	_ZL29rocblas_internal_gemmt_kernelIiLi16ELi32ELi8ELc84ELc78ELc76ELb0ELb0EfPKfPKS1_PKPfEviT_T9_T10_S7_lS9_S7_lS8_T11_S7_li ; -- Begin function _ZL29rocblas_internal_gemmt_kernelIiLi16ELi32ELi8ELc84ELc78ELc76ELb0ELb0EfPKfPKS1_PKPfEviT_T9_T10_S7_lS9_S7_lS8_T11_S7_li
	.p2align	8
	.type	_ZL29rocblas_internal_gemmt_kernelIiLi16ELi32ELi8ELc84ELc78ELc76ELb0ELb0EfPKfPKS1_PKPfEviT_T9_T10_S7_lS9_S7_lS8_T11_S7_li,@function
_ZL29rocblas_internal_gemmt_kernelIiLi16ELi32ELi8ELc84ELc78ELc76ELb0ELb0EfPKfPKS1_PKPfEviT_T9_T10_S7_lS9_S7_lS8_T11_S7_li: ; @_ZL29rocblas_internal_gemmt_kernelIiLi16ELi32ELi8ELc84ELc78ELc76ELb0ELb0EfPKfPKS1_PKPfEviT_T9_T10_S7_lS9_S7_lS8_T11_S7_li
; %bb.0:
	s_clause 0x1
	s_load_dwordx4 s[12:15], s[4:5], 0x38
	s_load_dwordx4 s[0:3], s[4:5], 0x8
	s_waitcnt lgkmcnt(0)
	s_load_dword s22, s[14:15], 0x0
	s_load_dwordx2 s[10:11], s[4:5], 0x0
	s_load_dword s23, s[0:1], 0x0
	s_waitcnt lgkmcnt(0)
	v_cmp_neq_f32_e64 s0, s22, 1.0
	s_and_b32 vcc_lo, exec_lo, s0
	s_cbranch_vccnz .LBB300_2
; %bb.1:
	v_cmp_neq_f32_e64 s0, s23, 0
	s_cmp_lg_u32 s11, 0
	s_cselect_b32 s1, -1, 0
	s_and_b32 s0, s1, s0
.LBB300_2:
	s_andn2_b32 vcc_lo, exec_lo, s0
	s_cbranch_vccnz .LBB300_26
; %bb.3:
	s_load_dwordx2 s[0:1], s[4:5], 0x48
	s_mov_b32 s9, 0
	v_mov_b32_e32 v12, 0
	s_lshl_b64 s[20:21], s[8:9], 3
	v_mov_b32_e32 v8, 0
	v_mov_b32_e32 v7, 0
	;; [unrolled: 1-line block ×3, first 2 shown]
	s_waitcnt lgkmcnt(0)
	s_add_u32 s0, s0, s20
	s_addc_u32 s1, s1, s21
	s_lshl_b32 s6, s6, 5
	s_load_dwordx2 s[14:15], s[0:1], 0x0
	s_lshl_b32 s7, s7, 5
	v_cmp_eq_f32_e64 s0, s23, 0
	s_cmp_lt_i32 s11, 1
	s_cselect_b32 s1, -1, 0
	s_or_b32 s0, s0, s1
	s_and_b32 vcc_lo, exec_lo, s0
	s_cbranch_vccnz .LBB300_10
; %bb.4:
	s_clause 0x2
	s_load_dword s1, s[4:5], 0x18
	s_load_dwordx4 s[16:19], s[4:5], 0x20
	s_load_dword s8, s[4:5], 0x30
	v_lshl_add_u32 v2, v1, 4, v0
	v_and_b32_e32 v9, 7, v0
	v_lshlrev_b32_e32 v10, 2, v0
	v_lshl_add_u32 v11, v1, 5, 0x400
	v_mov_b32_e32 v12, 0
	v_and_b32_e32 v3, 31, v2
	v_lshrrev_b32_e32 v4, 3, v2
	v_lshlrev_b32_e32 v7, 2, v9
	v_lshrrev_b32_e32 v13, 5, v2
	v_or_b32_e32 v2, s6, v3
	v_lshlrev_b32_e32 v5, 2, v3
	v_add_nc_u32_e32 v3, s6, v3
	v_add_nc_u32_e32 v6, s7, v4
	v_lshl_or_b32 v4, v4, 5, v7
	v_cmp_gt_i32_e32 vcc_lo, s10, v2
	v_lshl_or_b32 v14, v13, 7, v5
	s_waitcnt lgkmcnt(0)
	v_mad_i64_i32 v[2:3], null, s1, v3, 0
	s_add_u32 s18, s18, s20
	s_addc_u32 s19, s19, s21
	s_add_u32 s2, s2, s20
	v_add_nc_u32_e32 v15, 0x400, v4
	v_mad_i64_i32 v[4:5], null, s8, v6, 0
	s_addc_u32 s3, s3, s21
	s_load_dwordx2 s[18:19], s[18:19], 0x0
	s_load_dwordx2 s[2:3], s[2:3], 0x0
	v_lshlrev_b64 v[2:3], 2, v[2:3]
	s_lshl_b64 s[16:17], s[16:17], 2
	v_lshlrev_b32_e32 v8, 2, v13
	v_lshlrev_b64 v[4:5], 2, v[4:5]
	s_lshl_b64 s[12:13], s[12:13], 2
	v_cmp_gt_i32_e64 s0, s10, v6
	v_add_co_u32 v2, s1, v2, s16
	v_add_co_ci_u32_e64 v3, null, s17, v3, s1
	v_add_co_u32 v4, s1, v4, s12
	v_add_co_ci_u32_e64 v5, null, s13, v5, s1
	;; [unrolled: 2-line block ×4, first 2 shown]
	s_waitcnt lgkmcnt(0)
	v_add_co_u32 v2, s1, s2, v2
	v_add_co_ci_u32_e64 v3, null, s3, v3, s1
	v_add_co_u32 v4, s1, s18, v4
	v_mov_b32_e32 v6, 0
	v_add_co_ci_u32_e64 v5, null, s19, v5, s1
	v_mov_b32_e32 v7, 0
	v_mov_b32_e32 v8, 0
	s_branch .LBB300_6
.LBB300_5:                              ;   in Loop: Header=BB300_6 Depth=1
	s_or_b32 exec_lo, exec_lo, s1
	s_waitcnt vmcnt(0) lgkmcnt(0)
	ds_write_b32 v15, v17
	s_waitcnt lgkmcnt(0)
	s_barrier
	buffer_gl0_inv
	ds_read_b128 v[16:19], v11
	ds_read2_b32 v[32:33], v10 offset1:16
	ds_read_b128 v[20:23], v11 offset:512
	ds_read2_b32 v[34:35], v10 offset0:32 offset1:48
	ds_read2_b32 v[36:37], v10 offset0:64 offset1:80
	;; [unrolled: 1-line block ×3, first 2 shown]
	ds_read_b128 v[24:27], v11 offset:16
	ds_read2_b32 v[40:41], v10 offset0:128 offset1:144
	ds_read_b128 v[28:31], v11 offset:528
	v_add_co_u32 v2, s1, v2, 32
	v_add_co_ci_u32_e64 v3, null, 0, v3, s1
	v_add_co_u32 v4, s1, v4, 32
	v_add_co_ci_u32_e64 v5, null, 0, v5, s1
	s_add_i32 s9, s9, 8
	s_cmp_lt_i32 s9, s11
	s_waitcnt lgkmcnt(7)
	v_fmac_f32_e32 v12, v32, v16
	v_fmac_f32_e32 v8, v33, v16
	s_waitcnt lgkmcnt(6)
	v_fmac_f32_e32 v7, v32, v20
	v_fmac_f32_e32 v6, v33, v20
	ds_read2_b32 v[32:33], v10 offset0:160 offset1:176
	s_waitcnt lgkmcnt(6)
	v_fmac_f32_e32 v12, v34, v17
	v_fmac_f32_e32 v8, v35, v17
	v_fmac_f32_e32 v7, v34, v21
	v_fmac_f32_e32 v6, v35, v21
	ds_read2_b32 v[16:17], v10 offset0:192 offset1:208
	s_waitcnt lgkmcnt(6)
	v_fmac_f32_e32 v12, v36, v18
	v_fmac_f32_e32 v8, v37, v18
	;; [unrolled: 6-line block ×3, first 2 shown]
	v_fmac_f32_e32 v7, v38, v23
	v_fmac_f32_e32 v6, v39, v23
	s_waitcnt lgkmcnt(0)
	v_fmac_f32_e32 v12, v40, v24
	v_fmac_f32_e32 v8, v41, v24
	;; [unrolled: 1-line block ×4, first 2 shown]
	s_barrier
	v_fmac_f32_e32 v12, v32, v25
	v_fmac_f32_e32 v8, v33, v25
	;; [unrolled: 1-line block ×4, first 2 shown]
	buffer_gl0_inv
	v_fmac_f32_e32 v12, v16, v26
	v_fmac_f32_e32 v8, v17, v26
	;; [unrolled: 1-line block ×8, first 2 shown]
	s_cbranch_scc0 .LBB300_10
.LBB300_6:                              ; =>This Inner Loop Header: Depth=1
	v_add_nc_u32_e32 v16, s9, v13
	v_cmp_gt_i32_e64 s1, s11, v16
	v_mov_b32_e32 v16, 0
	s_and_b32 s2, vcc_lo, s1
	s_and_saveexec_b32 s1, s2
	s_cbranch_execz .LBB300_8
; %bb.7:                                ;   in Loop: Header=BB300_6 Depth=1
	flat_load_dword v16, v[2:3]
.LBB300_8:                              ;   in Loop: Header=BB300_6 Depth=1
	s_or_b32 exec_lo, exec_lo, s1
	v_add_nc_u32_e32 v17, s9, v9
	s_waitcnt vmcnt(0) lgkmcnt(0)
	ds_write_b32 v14, v16
	v_cmp_gt_i32_e64 s1, s11, v17
	v_mov_b32_e32 v17, 0
	s_and_b32 s2, s1, s0
	s_and_saveexec_b32 s1, s2
	s_cbranch_execz .LBB300_5
; %bb.9:                                ;   in Loop: Header=BB300_6 Depth=1
	flat_load_dword v17, v[4:5]
	s_branch .LBB300_5
.LBB300_10:
	s_clause 0x1
	s_load_dword s3, s[4:5], 0x50
	s_load_dwordx2 s[4:5], s[4:5], 0x58
	v_add_nc_u32_e32 v10, s7, v1
	v_add_nc_u32_e32 v0, s6, v0
	v_cmp_neq_f32_e64 s2, s22, 0
	v_cmp_le_i32_e32 vcc_lo, v10, v0
	v_cmp_gt_i32_e64 s0, s10, v0
	v_cndmask_b32_e64 v9, 0, 1, s2
	s_waitcnt lgkmcnt(0)
	v_mad_i64_i32 v[1:2], null, v10, s3, 0
	s_lshl_b64 s[4:5], s[4:5], 2
	s_add_u32 s4, s14, s4
	s_addc_u32 s5, s15, s5
	s_and_b32 s6, vcc_lo, s0
	v_lshlrev_b64 v[2:3], 2, v[1:2]
	v_ashrrev_i32_e32 v1, 31, v0
	v_add_co_u32 v4, s1, s4, v2
	v_add_co_ci_u32_e64 v5, null, s5, v3, s1
	s_and_saveexec_b32 s1, s6
	s_cbranch_execz .LBB300_14
; %bb.11:
	v_lshlrev_b64 v[2:3], 2, v[0:1]
	v_mul_f32_e32 v11, s23, v12
	v_add_co_u32 v2, vcc_lo, v4, v2
	v_add_co_ci_u32_e64 v3, null, v5, v3, vcc_lo
	s_andn2_b32 vcc_lo, exec_lo, s2
	s_cbranch_vccnz .LBB300_13
; %bb.12:
	flat_load_dword v12, v[2:3]
	s_waitcnt vmcnt(0) lgkmcnt(0)
	v_fmac_f32_e32 v11, s22, v12
.LBB300_13:
	flat_store_dword v[2:3], v11
.LBB300_14:
	s_or_b32 exec_lo, exec_lo, s1
	v_add_nc_u32_e32 v2, 16, v0
	v_cmp_le_i32_e32 vcc_lo, v10, v2
	v_cmp_gt_i32_e64 s1, s10, v2
	v_ashrrev_i32_e32 v3, 31, v2
	s_and_b32 s2, vcc_lo, s1
	s_and_saveexec_b32 s6, s2
	s_cbranch_execz .LBB300_18
; %bb.15:
	v_lshlrev_b64 v[11:12], 2, v[2:3]
	v_cmp_ne_u32_e32 vcc_lo, 1, v9
	v_mul_f32_e32 v8, s23, v8
	v_add_co_u32 v4, s2, v4, v11
	v_add_co_ci_u32_e64 v5, null, v5, v12, s2
	s_cbranch_vccnz .LBB300_17
; %bb.16:
	flat_load_dword v11, v[4:5]
	s_waitcnt vmcnt(0) lgkmcnt(0)
	v_fmac_f32_e32 v8, s22, v11
.LBB300_17:
	flat_store_dword v[4:5], v8
.LBB300_18:
	s_or_b32 exec_lo, exec_lo, s6
	v_add_nc_u32_e32 v8, 16, v10
	v_mad_i64_i32 v[4:5], null, v8, s3, 0
	v_cmp_le_i32_e32 vcc_lo, v8, v0
	s_and_b32 s0, vcc_lo, s0
	v_lshlrev_b64 v[4:5], 2, v[4:5]
	v_add_co_u32 v4, s2, s4, v4
	v_add_co_ci_u32_e64 v5, null, s5, v5, s2
	s_and_saveexec_b32 s2, s0
	s_cbranch_execz .LBB300_22
; %bb.19:
	v_lshlrev_b64 v[0:1], 2, v[0:1]
	v_cmp_ne_u32_e32 vcc_lo, 1, v9
	v_mul_f32_e32 v7, s23, v7
	v_add_co_u32 v0, s0, v4, v0
	v_add_co_ci_u32_e64 v1, null, v5, v1, s0
	s_cbranch_vccnz .LBB300_21
; %bb.20:
	flat_load_dword v10, v[0:1]
	s_waitcnt vmcnt(0) lgkmcnt(0)
	v_fmac_f32_e32 v7, s22, v10
.LBB300_21:
	flat_store_dword v[0:1], v7
.LBB300_22:
	s_or_b32 exec_lo, exec_lo, s2
	v_cmp_le_i32_e32 vcc_lo, v8, v2
	s_and_b32 s0, vcc_lo, s1
	s_and_saveexec_b32 s1, s0
	s_cbranch_execz .LBB300_26
; %bb.23:
	v_lshlrev_b64 v[0:1], 2, v[2:3]
	v_cmp_ne_u32_e32 vcc_lo, 1, v9
	v_mul_f32_e32 v2, s23, v6
	v_add_co_u32 v0, s0, v4, v0
	v_add_co_ci_u32_e64 v1, null, v5, v1, s0
	s_cbranch_vccnz .LBB300_25
; %bb.24:
	flat_load_dword v3, v[0:1]
	s_waitcnt vmcnt(0) lgkmcnt(0)
	v_fmac_f32_e32 v2, s22, v3
.LBB300_25:
	flat_store_dword v[0:1], v2
.LBB300_26:
	s_endpgm
	.section	.rodata,"a",@progbits
	.p2align	6, 0x0
	.amdhsa_kernel _ZL29rocblas_internal_gemmt_kernelIiLi16ELi32ELi8ELc84ELc78ELc76ELb0ELb0EfPKfPKS1_PKPfEviT_T9_T10_S7_lS9_S7_lS8_T11_S7_li
		.amdhsa_group_segment_fixed_size 2048
		.amdhsa_private_segment_fixed_size 0
		.amdhsa_kernarg_size 100
		.amdhsa_user_sgpr_count 6
		.amdhsa_user_sgpr_private_segment_buffer 1
		.amdhsa_user_sgpr_dispatch_ptr 0
		.amdhsa_user_sgpr_queue_ptr 0
		.amdhsa_user_sgpr_kernarg_segment_ptr 1
		.amdhsa_user_sgpr_dispatch_id 0
		.amdhsa_user_sgpr_flat_scratch_init 0
		.amdhsa_user_sgpr_private_segment_size 0
		.amdhsa_wavefront_size32 1
		.amdhsa_uses_dynamic_stack 0
		.amdhsa_system_sgpr_private_segment_wavefront_offset 0
		.amdhsa_system_sgpr_workgroup_id_x 1
		.amdhsa_system_sgpr_workgroup_id_y 1
		.amdhsa_system_sgpr_workgroup_id_z 1
		.amdhsa_system_sgpr_workgroup_info 0
		.amdhsa_system_vgpr_workitem_id 1
		.amdhsa_next_free_vgpr 42
		.amdhsa_next_free_sgpr 24
		.amdhsa_reserve_vcc 1
		.amdhsa_reserve_flat_scratch 0
		.amdhsa_float_round_mode_32 0
		.amdhsa_float_round_mode_16_64 0
		.amdhsa_float_denorm_mode_32 3
		.amdhsa_float_denorm_mode_16_64 3
		.amdhsa_dx10_clamp 1
		.amdhsa_ieee_mode 1
		.amdhsa_fp16_overflow 0
		.amdhsa_workgroup_processor_mode 1
		.amdhsa_memory_ordered 1
		.amdhsa_forward_progress 1
		.amdhsa_shared_vgpr_count 0
		.amdhsa_exception_fp_ieee_invalid_op 0
		.amdhsa_exception_fp_denorm_src 0
		.amdhsa_exception_fp_ieee_div_zero 0
		.amdhsa_exception_fp_ieee_overflow 0
		.amdhsa_exception_fp_ieee_underflow 0
		.amdhsa_exception_fp_ieee_inexact 0
		.amdhsa_exception_int_div_zero 0
	.end_amdhsa_kernel
	.section	.text._ZL29rocblas_internal_gemmt_kernelIiLi16ELi32ELi8ELc84ELc78ELc76ELb0ELb0EfPKfPKS1_PKPfEviT_T9_T10_S7_lS9_S7_lS8_T11_S7_li,"axG",@progbits,_ZL29rocblas_internal_gemmt_kernelIiLi16ELi32ELi8ELc84ELc78ELc76ELb0ELb0EfPKfPKS1_PKPfEviT_T9_T10_S7_lS9_S7_lS8_T11_S7_li,comdat
.Lfunc_end300:
	.size	_ZL29rocblas_internal_gemmt_kernelIiLi16ELi32ELi8ELc84ELc78ELc76ELb0ELb0EfPKfPKS1_PKPfEviT_T9_T10_S7_lS9_S7_lS8_T11_S7_li, .Lfunc_end300-_ZL29rocblas_internal_gemmt_kernelIiLi16ELi32ELi8ELc84ELc78ELc76ELb0ELb0EfPKfPKS1_PKPfEviT_T9_T10_S7_lS9_S7_lS8_T11_S7_li
                                        ; -- End function
	.set _ZL29rocblas_internal_gemmt_kernelIiLi16ELi32ELi8ELc84ELc78ELc76ELb0ELb0EfPKfPKS1_PKPfEviT_T9_T10_S7_lS9_S7_lS8_T11_S7_li.num_vgpr, 42
	.set _ZL29rocblas_internal_gemmt_kernelIiLi16ELi32ELi8ELc84ELc78ELc76ELb0ELb0EfPKfPKS1_PKPfEviT_T9_T10_S7_lS9_S7_lS8_T11_S7_li.num_agpr, 0
	.set _ZL29rocblas_internal_gemmt_kernelIiLi16ELi32ELi8ELc84ELc78ELc76ELb0ELb0EfPKfPKS1_PKPfEviT_T9_T10_S7_lS9_S7_lS8_T11_S7_li.numbered_sgpr, 24
	.set _ZL29rocblas_internal_gemmt_kernelIiLi16ELi32ELi8ELc84ELc78ELc76ELb0ELb0EfPKfPKS1_PKPfEviT_T9_T10_S7_lS9_S7_lS8_T11_S7_li.num_named_barrier, 0
	.set _ZL29rocblas_internal_gemmt_kernelIiLi16ELi32ELi8ELc84ELc78ELc76ELb0ELb0EfPKfPKS1_PKPfEviT_T9_T10_S7_lS9_S7_lS8_T11_S7_li.private_seg_size, 0
	.set _ZL29rocblas_internal_gemmt_kernelIiLi16ELi32ELi8ELc84ELc78ELc76ELb0ELb0EfPKfPKS1_PKPfEviT_T9_T10_S7_lS9_S7_lS8_T11_S7_li.uses_vcc, 1
	.set _ZL29rocblas_internal_gemmt_kernelIiLi16ELi32ELi8ELc84ELc78ELc76ELb0ELb0EfPKfPKS1_PKPfEviT_T9_T10_S7_lS9_S7_lS8_T11_S7_li.uses_flat_scratch, 0
	.set _ZL29rocblas_internal_gemmt_kernelIiLi16ELi32ELi8ELc84ELc78ELc76ELb0ELb0EfPKfPKS1_PKPfEviT_T9_T10_S7_lS9_S7_lS8_T11_S7_li.has_dyn_sized_stack, 0
	.set _ZL29rocblas_internal_gemmt_kernelIiLi16ELi32ELi8ELc84ELc78ELc76ELb0ELb0EfPKfPKS1_PKPfEviT_T9_T10_S7_lS9_S7_lS8_T11_S7_li.has_recursion, 0
	.set _ZL29rocblas_internal_gemmt_kernelIiLi16ELi32ELi8ELc84ELc78ELc76ELb0ELb0EfPKfPKS1_PKPfEviT_T9_T10_S7_lS9_S7_lS8_T11_S7_li.has_indirect_call, 0
	.section	.AMDGPU.csdata,"",@progbits
; Kernel info:
; codeLenInByte = 1412
; TotalNumSgprs: 26
; NumVgprs: 42
; ScratchSize: 0
; MemoryBound: 0
; FloatMode: 240
; IeeeMode: 1
; LDSByteSize: 2048 bytes/workgroup (compile time only)
; SGPRBlocks: 0
; VGPRBlocks: 5
; NumSGPRsForWavesPerEU: 26
; NumVGPRsForWavesPerEU: 42
; Occupancy: 16
; WaveLimiterHint : 1
; COMPUTE_PGM_RSRC2:SCRATCH_EN: 0
; COMPUTE_PGM_RSRC2:USER_SGPR: 6
; COMPUTE_PGM_RSRC2:TRAP_HANDLER: 0
; COMPUTE_PGM_RSRC2:TGID_X_EN: 1
; COMPUTE_PGM_RSRC2:TGID_Y_EN: 1
; COMPUTE_PGM_RSRC2:TGID_Z_EN: 1
; COMPUTE_PGM_RSRC2:TIDIG_COMP_CNT: 1
	.section	.text._ZL29rocblas_internal_gemmt_kernelIiLi16ELi32ELi8ELc84ELc84ELc76ELb0ELb0EfPKfPKS1_PKPfEviT_T9_T10_S7_lS9_S7_lS8_T11_S7_li,"axG",@progbits,_ZL29rocblas_internal_gemmt_kernelIiLi16ELi32ELi8ELc84ELc84ELc76ELb0ELb0EfPKfPKS1_PKPfEviT_T9_T10_S7_lS9_S7_lS8_T11_S7_li,comdat
	.globl	_ZL29rocblas_internal_gemmt_kernelIiLi16ELi32ELi8ELc84ELc84ELc76ELb0ELb0EfPKfPKS1_PKPfEviT_T9_T10_S7_lS9_S7_lS8_T11_S7_li ; -- Begin function _ZL29rocblas_internal_gemmt_kernelIiLi16ELi32ELi8ELc84ELc84ELc76ELb0ELb0EfPKfPKS1_PKPfEviT_T9_T10_S7_lS9_S7_lS8_T11_S7_li
	.p2align	8
	.type	_ZL29rocblas_internal_gemmt_kernelIiLi16ELi32ELi8ELc84ELc84ELc76ELb0ELb0EfPKfPKS1_PKPfEviT_T9_T10_S7_lS9_S7_lS8_T11_S7_li,@function
_ZL29rocblas_internal_gemmt_kernelIiLi16ELi32ELi8ELc84ELc84ELc76ELb0ELb0EfPKfPKS1_PKPfEviT_T9_T10_S7_lS9_S7_lS8_T11_S7_li: ; @_ZL29rocblas_internal_gemmt_kernelIiLi16ELi32ELi8ELc84ELc84ELc76ELb0ELb0EfPKfPKS1_PKPfEviT_T9_T10_S7_lS9_S7_lS8_T11_S7_li
; %bb.0:
	s_clause 0x1
	s_load_dwordx4 s[12:15], s[4:5], 0x38
	s_load_dwordx4 s[0:3], s[4:5], 0x8
	s_waitcnt lgkmcnt(0)
	s_load_dword s20, s[14:15], 0x0
	s_load_dwordx2 s[10:11], s[4:5], 0x0
	s_load_dword s21, s[0:1], 0x0
	s_waitcnt lgkmcnt(0)
	v_cmp_neq_f32_e64 s0, s20, 1.0
	s_and_b32 vcc_lo, exec_lo, s0
	s_cbranch_vccnz .LBB301_2
; %bb.1:
	v_cmp_neq_f32_e64 s0, s21, 0
	s_cmp_lg_u32 s11, 0
	s_cselect_b32 s1, -1, 0
	s_and_b32 s0, s1, s0
.LBB301_2:
	s_andn2_b32 vcc_lo, exec_lo, s0
	s_cbranch_vccnz .LBB301_26
; %bb.3:
	s_load_dwordx2 s[14:15], s[4:5], 0x48
	s_mov_b32 s9, 0
	v_mov_b32_e32 v11, 0
	s_lshl_b64 s[0:1], s[8:9], 3
	v_mov_b32_e32 v8, 0
	v_mov_b32_e32 v7, 0
	;; [unrolled: 1-line block ×3, first 2 shown]
	s_waitcnt lgkmcnt(0)
	s_add_u32 s14, s14, s0
	s_addc_u32 s15, s15, s1
	s_lshl_b32 s8, s6, 5
	s_load_dwordx2 s[14:15], s[14:15], 0x0
	s_lshl_b32 s22, s7, 5
	v_cmp_eq_f32_e64 s6, s21, 0
	s_cmp_lt_i32 s11, 1
	s_cselect_b32 s7, -1, 0
	s_or_b32 s6, s6, s7
	s_and_b32 vcc_lo, exec_lo, s6
	s_cbranch_vccnz .LBB301_10
; %bb.4:
	s_clause 0x2
	s_load_dword s6, s[4:5], 0x30
	s_load_dword s23, s[4:5], 0x18
	s_load_dwordx4 s[16:19], s[4:5], 0x20
	v_lshl_add_u32 v2, v1, 4, v0
	v_and_b32_e32 v9, 7, v0
	v_lshlrev_b32_e32 v14, 2, v0
	v_lshl_add_u32 v15, v1, 5, 0x400
	v_and_b32_e32 v3, 31, v2
	v_lshrrev_b32_e32 v4, 3, v2
	v_lshlrev_b32_e32 v5, 2, v9
	v_lshrrev_b32_e32 v10, 5, v2
	v_or_b32_e32 v6, s8, v3
	v_lshlrev_b32_e32 v7, 2, v3
	v_add_nc_u32_e32 v3, s8, v3
	v_add_nc_u32_e32 v2, s22, v4
	v_lshl_or_b32 v8, v4, 5, v5
	v_cmp_gt_i32_e32 vcc_lo, s10, v6
	v_lshl_or_b32 v12, v10, 7, v7
	s_waitcnt lgkmcnt(0)
	s_ashr_i32 s7, s6, 31
	v_mad_i64_i32 v[4:5], null, s23, v3, 0
	s_add_u32 s18, s18, s0
	s_addc_u32 s19, s19, s1
	v_mad_i64_i32 v[6:7], null, s6, v9, 0
	s_add_u32 s0, s2, s0
	s_addc_u32 s1, s3, s1
	s_load_dwordx2 s[2:3], s[18:19], 0x0
	s_load_dwordx2 s[18:19], s[0:1], 0x0
	v_lshlrev_b64 v[4:5], 2, v[4:5]
	v_add_nc_u32_e32 v13, 0x400, v8
	v_ashrrev_i32_e32 v3, 31, v2
	v_lshlrev_b64 v[7:8], 2, v[6:7]
	s_lshl_b64 s[16:17], s[16:17], 2
	v_lshlrev_b32_e32 v11, 2, v10
	v_add_co_u32 v4, s1, v4, s16
	s_lshl_b64 s[12:13], s[12:13], 2
	v_cmp_gt_i32_e64 s0, s10, v2
	v_lshlrev_b64 v[2:3], 2, v[2:3]
	v_add_co_ci_u32_e64 v5, null, s17, v5, s1
	v_add_co_u32 v7, s1, v7, s12
	v_add_co_ci_u32_e64 v8, null, s13, v8, s1
	v_add_co_u32 v4, s1, v4, v11
	;; [unrolled: 2-line block ×3, first 2 shown]
	v_add_co_ci_u32_e64 v8, null, v8, v3, s1
	s_waitcnt lgkmcnt(0)
	v_add_co_u32 v2, s1, s18, v4
	v_add_co_ci_u32_e64 v3, null, s19, v5, s1
	v_add_co_u32 v4, s1, s2, v7
	v_mov_b32_e32 v6, 0
	v_add_co_ci_u32_e64 v5, null, s3, v8, s1
	v_mov_b32_e32 v7, 0
	v_mov_b32_e32 v8, 0
	;; [unrolled: 1-line block ×3, first 2 shown]
	s_lshl_b64 s[2:3], s[6:7], 5
	s_branch .LBB301_6
.LBB301_5:                              ;   in Loop: Header=BB301_6 Depth=1
	s_or_b32 exec_lo, exec_lo, s1
	s_waitcnt vmcnt(0) lgkmcnt(0)
	ds_write_b32 v13, v17
	s_waitcnt lgkmcnt(0)
	s_barrier
	buffer_gl0_inv
	ds_read_b128 v[16:19], v15
	ds_read2_b32 v[32:33], v14 offset1:16
	ds_read_b128 v[20:23], v15 offset:512
	ds_read2_b32 v[34:35], v14 offset0:32 offset1:48
	ds_read2_b32 v[36:37], v14 offset0:64 offset1:80
	;; [unrolled: 1-line block ×3, first 2 shown]
	ds_read_b128 v[24:27], v15 offset:16
	ds_read2_b32 v[40:41], v14 offset0:128 offset1:144
	ds_read_b128 v[28:31], v15 offset:528
	v_add_co_u32 v2, s1, v2, 32
	v_add_co_ci_u32_e64 v3, null, 0, v3, s1
	v_add_co_u32 v4, s1, v4, s2
	v_add_co_ci_u32_e64 v5, null, s3, v5, s1
	s_add_i32 s9, s9, 8
	s_cmp_lt_i32 s9, s11
	s_waitcnt lgkmcnt(7)
	v_fmac_f32_e32 v11, v32, v16
	v_fmac_f32_e32 v8, v33, v16
	s_waitcnt lgkmcnt(6)
	v_fmac_f32_e32 v7, v32, v20
	v_fmac_f32_e32 v6, v33, v20
	ds_read2_b32 v[32:33], v14 offset0:160 offset1:176
	s_waitcnt lgkmcnt(6)
	v_fmac_f32_e32 v11, v34, v17
	v_fmac_f32_e32 v8, v35, v17
	v_fmac_f32_e32 v7, v34, v21
	v_fmac_f32_e32 v6, v35, v21
	ds_read2_b32 v[16:17], v14 offset0:192 offset1:208
	s_waitcnt lgkmcnt(6)
	v_fmac_f32_e32 v11, v36, v18
	v_fmac_f32_e32 v8, v37, v18
	;; [unrolled: 6-line block ×3, first 2 shown]
	v_fmac_f32_e32 v7, v38, v23
	v_fmac_f32_e32 v6, v39, v23
	s_waitcnt lgkmcnt(0)
	v_fmac_f32_e32 v11, v40, v24
	v_fmac_f32_e32 v8, v41, v24
	v_fmac_f32_e32 v7, v40, v28
	v_fmac_f32_e32 v6, v41, v28
	s_barrier
	v_fmac_f32_e32 v11, v32, v25
	v_fmac_f32_e32 v8, v33, v25
	;; [unrolled: 1-line block ×4, first 2 shown]
	buffer_gl0_inv
	v_fmac_f32_e32 v11, v16, v26
	v_fmac_f32_e32 v8, v17, v26
	;; [unrolled: 1-line block ×8, first 2 shown]
	s_cbranch_scc0 .LBB301_10
.LBB301_6:                              ; =>This Inner Loop Header: Depth=1
	v_add_nc_u32_e32 v16, s9, v10
	v_cmp_gt_i32_e64 s1, s11, v16
	v_mov_b32_e32 v16, 0
	s_and_b32 s6, vcc_lo, s1
	s_and_saveexec_b32 s1, s6
	s_cbranch_execz .LBB301_8
; %bb.7:                                ;   in Loop: Header=BB301_6 Depth=1
	flat_load_dword v16, v[2:3]
.LBB301_8:                              ;   in Loop: Header=BB301_6 Depth=1
	s_or_b32 exec_lo, exec_lo, s1
	v_add_nc_u32_e32 v17, s9, v9
	s_waitcnt vmcnt(0) lgkmcnt(0)
	ds_write_b32 v12, v16
	v_cmp_gt_i32_e64 s1, s11, v17
	v_mov_b32_e32 v17, 0
	s_and_b32 s6, s1, s0
	s_and_saveexec_b32 s1, s6
	s_cbranch_execz .LBB301_5
; %bb.9:                                ;   in Loop: Header=BB301_6 Depth=1
	flat_load_dword v17, v[4:5]
	s_branch .LBB301_5
.LBB301_10:
	s_clause 0x1
	s_load_dword s3, s[4:5], 0x50
	s_load_dwordx2 s[4:5], s[4:5], 0x58
	v_add_nc_u32_e32 v10, s22, v1
	v_add_nc_u32_e32 v0, s8, v0
	v_cmp_neq_f32_e64 s2, s20, 0
	v_cmp_le_i32_e32 vcc_lo, v10, v0
	v_cmp_gt_i32_e64 s0, s10, v0
	v_cndmask_b32_e64 v9, 0, 1, s2
	s_waitcnt lgkmcnt(0)
	v_mad_i64_i32 v[1:2], null, v10, s3, 0
	s_lshl_b64 s[4:5], s[4:5], 2
	s_add_u32 s4, s14, s4
	s_addc_u32 s5, s15, s5
	s_and_b32 s6, vcc_lo, s0
	v_lshlrev_b64 v[2:3], 2, v[1:2]
	v_ashrrev_i32_e32 v1, 31, v0
	v_add_co_u32 v4, s1, s4, v2
	v_add_co_ci_u32_e64 v5, null, s5, v3, s1
	s_and_saveexec_b32 s1, s6
	s_cbranch_execz .LBB301_14
; %bb.11:
	v_lshlrev_b64 v[2:3], 2, v[0:1]
	v_mul_f32_e32 v11, s21, v11
	v_add_co_u32 v2, vcc_lo, v4, v2
	v_add_co_ci_u32_e64 v3, null, v5, v3, vcc_lo
	s_andn2_b32 vcc_lo, exec_lo, s2
	s_cbranch_vccnz .LBB301_13
; %bb.12:
	flat_load_dword v12, v[2:3]
	s_waitcnt vmcnt(0) lgkmcnt(0)
	v_fmac_f32_e32 v11, s20, v12
.LBB301_13:
	flat_store_dword v[2:3], v11
.LBB301_14:
	s_or_b32 exec_lo, exec_lo, s1
	v_add_nc_u32_e32 v2, 16, v0
	v_cmp_le_i32_e32 vcc_lo, v10, v2
	v_cmp_gt_i32_e64 s1, s10, v2
	v_ashrrev_i32_e32 v3, 31, v2
	s_and_b32 s2, vcc_lo, s1
	s_and_saveexec_b32 s6, s2
	s_cbranch_execz .LBB301_18
; %bb.15:
	v_lshlrev_b64 v[11:12], 2, v[2:3]
	v_cmp_ne_u32_e32 vcc_lo, 1, v9
	v_mul_f32_e32 v8, s21, v8
	v_add_co_u32 v4, s2, v4, v11
	v_add_co_ci_u32_e64 v5, null, v5, v12, s2
	s_cbranch_vccnz .LBB301_17
; %bb.16:
	flat_load_dword v11, v[4:5]
	s_waitcnt vmcnt(0) lgkmcnt(0)
	v_fmac_f32_e32 v8, s20, v11
.LBB301_17:
	flat_store_dword v[4:5], v8
.LBB301_18:
	s_or_b32 exec_lo, exec_lo, s6
	v_add_nc_u32_e32 v8, 16, v10
	v_mad_i64_i32 v[4:5], null, v8, s3, 0
	v_cmp_le_i32_e32 vcc_lo, v8, v0
	s_and_b32 s0, vcc_lo, s0
	v_lshlrev_b64 v[4:5], 2, v[4:5]
	v_add_co_u32 v4, s2, s4, v4
	v_add_co_ci_u32_e64 v5, null, s5, v5, s2
	s_and_saveexec_b32 s2, s0
	s_cbranch_execz .LBB301_22
; %bb.19:
	v_lshlrev_b64 v[0:1], 2, v[0:1]
	v_cmp_ne_u32_e32 vcc_lo, 1, v9
	v_mul_f32_e32 v7, s21, v7
	v_add_co_u32 v0, s0, v4, v0
	v_add_co_ci_u32_e64 v1, null, v5, v1, s0
	s_cbranch_vccnz .LBB301_21
; %bb.20:
	flat_load_dword v10, v[0:1]
	s_waitcnt vmcnt(0) lgkmcnt(0)
	v_fmac_f32_e32 v7, s20, v10
.LBB301_21:
	flat_store_dword v[0:1], v7
.LBB301_22:
	s_or_b32 exec_lo, exec_lo, s2
	v_cmp_le_i32_e32 vcc_lo, v8, v2
	s_and_b32 s0, vcc_lo, s1
	s_and_saveexec_b32 s1, s0
	s_cbranch_execz .LBB301_26
; %bb.23:
	v_lshlrev_b64 v[0:1], 2, v[2:3]
	v_cmp_ne_u32_e32 vcc_lo, 1, v9
	v_mul_f32_e32 v2, s21, v6
	v_add_co_u32 v0, s0, v4, v0
	v_add_co_ci_u32_e64 v1, null, v5, v1, s0
	s_cbranch_vccnz .LBB301_25
; %bb.24:
	flat_load_dword v3, v[0:1]
	s_waitcnt vmcnt(0) lgkmcnt(0)
	v_fmac_f32_e32 v2, s20, v3
.LBB301_25:
	flat_store_dword v[0:1], v2
.LBB301_26:
	s_endpgm
	.section	.rodata,"a",@progbits
	.p2align	6, 0x0
	.amdhsa_kernel _ZL29rocblas_internal_gemmt_kernelIiLi16ELi32ELi8ELc84ELc84ELc76ELb0ELb0EfPKfPKS1_PKPfEviT_T9_T10_S7_lS9_S7_lS8_T11_S7_li
		.amdhsa_group_segment_fixed_size 2048
		.amdhsa_private_segment_fixed_size 0
		.amdhsa_kernarg_size 100
		.amdhsa_user_sgpr_count 6
		.amdhsa_user_sgpr_private_segment_buffer 1
		.amdhsa_user_sgpr_dispatch_ptr 0
		.amdhsa_user_sgpr_queue_ptr 0
		.amdhsa_user_sgpr_kernarg_segment_ptr 1
		.amdhsa_user_sgpr_dispatch_id 0
		.amdhsa_user_sgpr_flat_scratch_init 0
		.amdhsa_user_sgpr_private_segment_size 0
		.amdhsa_wavefront_size32 1
		.amdhsa_uses_dynamic_stack 0
		.amdhsa_system_sgpr_private_segment_wavefront_offset 0
		.amdhsa_system_sgpr_workgroup_id_x 1
		.amdhsa_system_sgpr_workgroup_id_y 1
		.amdhsa_system_sgpr_workgroup_id_z 1
		.amdhsa_system_sgpr_workgroup_info 0
		.amdhsa_system_vgpr_workitem_id 1
		.amdhsa_next_free_vgpr 42
		.amdhsa_next_free_sgpr 24
		.amdhsa_reserve_vcc 1
		.amdhsa_reserve_flat_scratch 0
		.amdhsa_float_round_mode_32 0
		.amdhsa_float_round_mode_16_64 0
		.amdhsa_float_denorm_mode_32 3
		.amdhsa_float_denorm_mode_16_64 3
		.amdhsa_dx10_clamp 1
		.amdhsa_ieee_mode 1
		.amdhsa_fp16_overflow 0
		.amdhsa_workgroup_processor_mode 1
		.amdhsa_memory_ordered 1
		.amdhsa_forward_progress 1
		.amdhsa_shared_vgpr_count 0
		.amdhsa_exception_fp_ieee_invalid_op 0
		.amdhsa_exception_fp_denorm_src 0
		.amdhsa_exception_fp_ieee_div_zero 0
		.amdhsa_exception_fp_ieee_overflow 0
		.amdhsa_exception_fp_ieee_underflow 0
		.amdhsa_exception_fp_ieee_inexact 0
		.amdhsa_exception_int_div_zero 0
	.end_amdhsa_kernel
	.section	.text._ZL29rocblas_internal_gemmt_kernelIiLi16ELi32ELi8ELc84ELc84ELc76ELb0ELb0EfPKfPKS1_PKPfEviT_T9_T10_S7_lS9_S7_lS8_T11_S7_li,"axG",@progbits,_ZL29rocblas_internal_gemmt_kernelIiLi16ELi32ELi8ELc84ELc84ELc76ELb0ELb0EfPKfPKS1_PKPfEviT_T9_T10_S7_lS9_S7_lS8_T11_S7_li,comdat
.Lfunc_end301:
	.size	_ZL29rocblas_internal_gemmt_kernelIiLi16ELi32ELi8ELc84ELc84ELc76ELb0ELb0EfPKfPKS1_PKPfEviT_T9_T10_S7_lS9_S7_lS8_T11_S7_li, .Lfunc_end301-_ZL29rocblas_internal_gemmt_kernelIiLi16ELi32ELi8ELc84ELc84ELc76ELb0ELb0EfPKfPKS1_PKPfEviT_T9_T10_S7_lS9_S7_lS8_T11_S7_li
                                        ; -- End function
	.set _ZL29rocblas_internal_gemmt_kernelIiLi16ELi32ELi8ELc84ELc84ELc76ELb0ELb0EfPKfPKS1_PKPfEviT_T9_T10_S7_lS9_S7_lS8_T11_S7_li.num_vgpr, 42
	.set _ZL29rocblas_internal_gemmt_kernelIiLi16ELi32ELi8ELc84ELc84ELc76ELb0ELb0EfPKfPKS1_PKPfEviT_T9_T10_S7_lS9_S7_lS8_T11_S7_li.num_agpr, 0
	.set _ZL29rocblas_internal_gemmt_kernelIiLi16ELi32ELi8ELc84ELc84ELc76ELb0ELb0EfPKfPKS1_PKPfEviT_T9_T10_S7_lS9_S7_lS8_T11_S7_li.numbered_sgpr, 24
	.set _ZL29rocblas_internal_gemmt_kernelIiLi16ELi32ELi8ELc84ELc84ELc76ELb0ELb0EfPKfPKS1_PKPfEviT_T9_T10_S7_lS9_S7_lS8_T11_S7_li.num_named_barrier, 0
	.set _ZL29rocblas_internal_gemmt_kernelIiLi16ELi32ELi8ELc84ELc84ELc76ELb0ELb0EfPKfPKS1_PKPfEviT_T9_T10_S7_lS9_S7_lS8_T11_S7_li.private_seg_size, 0
	.set _ZL29rocblas_internal_gemmt_kernelIiLi16ELi32ELi8ELc84ELc84ELc76ELb0ELb0EfPKfPKS1_PKPfEviT_T9_T10_S7_lS9_S7_lS8_T11_S7_li.uses_vcc, 1
	.set _ZL29rocblas_internal_gemmt_kernelIiLi16ELi32ELi8ELc84ELc84ELc76ELb0ELb0EfPKfPKS1_PKPfEviT_T9_T10_S7_lS9_S7_lS8_T11_S7_li.uses_flat_scratch, 0
	.set _ZL29rocblas_internal_gemmt_kernelIiLi16ELi32ELi8ELc84ELc84ELc76ELb0ELb0EfPKfPKS1_PKPfEviT_T9_T10_S7_lS9_S7_lS8_T11_S7_li.has_dyn_sized_stack, 0
	.set _ZL29rocblas_internal_gemmt_kernelIiLi16ELi32ELi8ELc84ELc84ELc76ELb0ELb0EfPKfPKS1_PKPfEviT_T9_T10_S7_lS9_S7_lS8_T11_S7_li.has_recursion, 0
	.set _ZL29rocblas_internal_gemmt_kernelIiLi16ELi32ELi8ELc84ELc84ELc76ELb0ELb0EfPKfPKS1_PKPfEviT_T9_T10_S7_lS9_S7_lS8_T11_S7_li.has_indirect_call, 0
	.section	.AMDGPU.csdata,"",@progbits
; Kernel info:
; codeLenInByte = 1432
; TotalNumSgprs: 26
; NumVgprs: 42
; ScratchSize: 0
; MemoryBound: 0
; FloatMode: 240
; IeeeMode: 1
; LDSByteSize: 2048 bytes/workgroup (compile time only)
; SGPRBlocks: 0
; VGPRBlocks: 5
; NumSGPRsForWavesPerEU: 26
; NumVGPRsForWavesPerEU: 42
; Occupancy: 16
; WaveLimiterHint : 1
; COMPUTE_PGM_RSRC2:SCRATCH_EN: 0
; COMPUTE_PGM_RSRC2:USER_SGPR: 6
; COMPUTE_PGM_RSRC2:TRAP_HANDLER: 0
; COMPUTE_PGM_RSRC2:TGID_X_EN: 1
; COMPUTE_PGM_RSRC2:TGID_Y_EN: 1
; COMPUTE_PGM_RSRC2:TGID_Z_EN: 1
; COMPUTE_PGM_RSRC2:TIDIG_COMP_CNT: 1
	.section	.text._ZL29rocblas_internal_gemmt_kernelIiLi16ELi32ELi8ELc84ELc67ELc76ELb0ELb0EfPKfPKS1_PKPfEviT_T9_T10_S7_lS9_S7_lS8_T11_S7_li,"axG",@progbits,_ZL29rocblas_internal_gemmt_kernelIiLi16ELi32ELi8ELc84ELc67ELc76ELb0ELb0EfPKfPKS1_PKPfEviT_T9_T10_S7_lS9_S7_lS8_T11_S7_li,comdat
	.globl	_ZL29rocblas_internal_gemmt_kernelIiLi16ELi32ELi8ELc84ELc67ELc76ELb0ELb0EfPKfPKS1_PKPfEviT_T9_T10_S7_lS9_S7_lS8_T11_S7_li ; -- Begin function _ZL29rocblas_internal_gemmt_kernelIiLi16ELi32ELi8ELc84ELc67ELc76ELb0ELb0EfPKfPKS1_PKPfEviT_T9_T10_S7_lS9_S7_lS8_T11_S7_li
	.p2align	8
	.type	_ZL29rocblas_internal_gemmt_kernelIiLi16ELi32ELi8ELc84ELc67ELc76ELb0ELb0EfPKfPKS1_PKPfEviT_T9_T10_S7_lS9_S7_lS8_T11_S7_li,@function
_ZL29rocblas_internal_gemmt_kernelIiLi16ELi32ELi8ELc84ELc67ELc76ELb0ELb0EfPKfPKS1_PKPfEviT_T9_T10_S7_lS9_S7_lS8_T11_S7_li: ; @_ZL29rocblas_internal_gemmt_kernelIiLi16ELi32ELi8ELc84ELc67ELc76ELb0ELb0EfPKfPKS1_PKPfEviT_T9_T10_S7_lS9_S7_lS8_T11_S7_li
; %bb.0:
	s_clause 0x1
	s_load_dwordx4 s[12:15], s[4:5], 0x38
	s_load_dwordx4 s[0:3], s[4:5], 0x8
	s_waitcnt lgkmcnt(0)
	s_load_dword s20, s[14:15], 0x0
	s_load_dwordx2 s[10:11], s[4:5], 0x0
	s_load_dword s21, s[0:1], 0x0
	s_waitcnt lgkmcnt(0)
	v_cmp_neq_f32_e64 s0, s20, 1.0
	s_and_b32 vcc_lo, exec_lo, s0
	s_cbranch_vccnz .LBB302_2
; %bb.1:
	v_cmp_neq_f32_e64 s0, s21, 0
	s_cmp_lg_u32 s11, 0
	s_cselect_b32 s1, -1, 0
	s_and_b32 s0, s1, s0
.LBB302_2:
	s_andn2_b32 vcc_lo, exec_lo, s0
	s_cbranch_vccnz .LBB302_26
; %bb.3:
	s_load_dwordx2 s[14:15], s[4:5], 0x48
	s_mov_b32 s9, 0
	v_mov_b32_e32 v11, 0
	s_lshl_b64 s[0:1], s[8:9], 3
	v_mov_b32_e32 v8, 0
	v_mov_b32_e32 v7, 0
	v_mov_b32_e32 v6, 0
	s_waitcnt lgkmcnt(0)
	s_add_u32 s14, s14, s0
	s_addc_u32 s15, s15, s1
	s_lshl_b32 s8, s6, 5
	s_load_dwordx2 s[14:15], s[14:15], 0x0
	s_lshl_b32 s22, s7, 5
	v_cmp_eq_f32_e64 s6, s21, 0
	s_cmp_lt_i32 s11, 1
	s_cselect_b32 s7, -1, 0
	s_or_b32 s6, s6, s7
	s_and_b32 vcc_lo, exec_lo, s6
	s_cbranch_vccnz .LBB302_10
; %bb.4:
	s_clause 0x2
	s_load_dword s6, s[4:5], 0x30
	s_load_dword s23, s[4:5], 0x18
	s_load_dwordx4 s[16:19], s[4:5], 0x20
	v_lshl_add_u32 v2, v1, 4, v0
	v_and_b32_e32 v9, 7, v0
	v_lshlrev_b32_e32 v14, 2, v0
	v_lshl_add_u32 v15, v1, 5, 0x400
	v_and_b32_e32 v3, 31, v2
	v_lshrrev_b32_e32 v4, 3, v2
	v_lshlrev_b32_e32 v5, 2, v9
	v_lshrrev_b32_e32 v10, 5, v2
	v_or_b32_e32 v6, s8, v3
	v_lshlrev_b32_e32 v7, 2, v3
	v_add_nc_u32_e32 v3, s8, v3
	v_add_nc_u32_e32 v2, s22, v4
	v_lshl_or_b32 v8, v4, 5, v5
	v_cmp_gt_i32_e32 vcc_lo, s10, v6
	v_lshl_or_b32 v12, v10, 7, v7
	s_waitcnt lgkmcnt(0)
	s_ashr_i32 s7, s6, 31
	v_mad_i64_i32 v[4:5], null, s23, v3, 0
	s_add_u32 s18, s18, s0
	s_addc_u32 s19, s19, s1
	v_mad_i64_i32 v[6:7], null, s6, v9, 0
	s_add_u32 s0, s2, s0
	s_addc_u32 s1, s3, s1
	s_load_dwordx2 s[2:3], s[18:19], 0x0
	s_load_dwordx2 s[18:19], s[0:1], 0x0
	v_lshlrev_b64 v[4:5], 2, v[4:5]
	v_add_nc_u32_e32 v13, 0x400, v8
	v_ashrrev_i32_e32 v3, 31, v2
	v_lshlrev_b64 v[7:8], 2, v[6:7]
	s_lshl_b64 s[16:17], s[16:17], 2
	v_lshlrev_b32_e32 v11, 2, v10
	v_add_co_u32 v4, s1, v4, s16
	s_lshl_b64 s[12:13], s[12:13], 2
	v_cmp_gt_i32_e64 s0, s10, v2
	v_lshlrev_b64 v[2:3], 2, v[2:3]
	v_add_co_ci_u32_e64 v5, null, s17, v5, s1
	v_add_co_u32 v7, s1, v7, s12
	v_add_co_ci_u32_e64 v8, null, s13, v8, s1
	v_add_co_u32 v4, s1, v4, v11
	;; [unrolled: 2-line block ×3, first 2 shown]
	v_add_co_ci_u32_e64 v8, null, v8, v3, s1
	s_waitcnt lgkmcnt(0)
	v_add_co_u32 v2, s1, s18, v4
	v_add_co_ci_u32_e64 v3, null, s19, v5, s1
	v_add_co_u32 v4, s1, s2, v7
	v_mov_b32_e32 v6, 0
	v_add_co_ci_u32_e64 v5, null, s3, v8, s1
	v_mov_b32_e32 v7, 0
	v_mov_b32_e32 v8, 0
	;; [unrolled: 1-line block ×3, first 2 shown]
	s_lshl_b64 s[2:3], s[6:7], 5
	s_branch .LBB302_6
.LBB302_5:                              ;   in Loop: Header=BB302_6 Depth=1
	s_or_b32 exec_lo, exec_lo, s1
	s_waitcnt vmcnt(0) lgkmcnt(0)
	ds_write_b32 v13, v17
	s_waitcnt lgkmcnt(0)
	s_barrier
	buffer_gl0_inv
	ds_read_b128 v[16:19], v15
	ds_read2_b32 v[32:33], v14 offset1:16
	ds_read_b128 v[20:23], v15 offset:512
	ds_read2_b32 v[34:35], v14 offset0:32 offset1:48
	ds_read2_b32 v[36:37], v14 offset0:64 offset1:80
	;; [unrolled: 1-line block ×3, first 2 shown]
	ds_read_b128 v[24:27], v15 offset:16
	ds_read2_b32 v[40:41], v14 offset0:128 offset1:144
	ds_read_b128 v[28:31], v15 offset:528
	v_add_co_u32 v2, s1, v2, 32
	v_add_co_ci_u32_e64 v3, null, 0, v3, s1
	v_add_co_u32 v4, s1, v4, s2
	v_add_co_ci_u32_e64 v5, null, s3, v5, s1
	s_add_i32 s9, s9, 8
	s_cmp_lt_i32 s9, s11
	s_waitcnt lgkmcnt(7)
	v_fmac_f32_e32 v11, v32, v16
	v_fmac_f32_e32 v8, v33, v16
	s_waitcnt lgkmcnt(6)
	v_fmac_f32_e32 v7, v32, v20
	v_fmac_f32_e32 v6, v33, v20
	ds_read2_b32 v[32:33], v14 offset0:160 offset1:176
	s_waitcnt lgkmcnt(6)
	v_fmac_f32_e32 v11, v34, v17
	v_fmac_f32_e32 v8, v35, v17
	v_fmac_f32_e32 v7, v34, v21
	v_fmac_f32_e32 v6, v35, v21
	ds_read2_b32 v[16:17], v14 offset0:192 offset1:208
	s_waitcnt lgkmcnt(6)
	v_fmac_f32_e32 v11, v36, v18
	v_fmac_f32_e32 v8, v37, v18
	;; [unrolled: 6-line block ×3, first 2 shown]
	v_fmac_f32_e32 v7, v38, v23
	v_fmac_f32_e32 v6, v39, v23
	s_waitcnt lgkmcnt(0)
	v_fmac_f32_e32 v11, v40, v24
	v_fmac_f32_e32 v8, v41, v24
	;; [unrolled: 1-line block ×4, first 2 shown]
	s_barrier
	v_fmac_f32_e32 v11, v32, v25
	v_fmac_f32_e32 v8, v33, v25
	;; [unrolled: 1-line block ×4, first 2 shown]
	buffer_gl0_inv
	v_fmac_f32_e32 v11, v16, v26
	v_fmac_f32_e32 v8, v17, v26
	;; [unrolled: 1-line block ×8, first 2 shown]
	s_cbranch_scc0 .LBB302_10
.LBB302_6:                              ; =>This Inner Loop Header: Depth=1
	v_add_nc_u32_e32 v16, s9, v10
	v_cmp_gt_i32_e64 s1, s11, v16
	v_mov_b32_e32 v16, 0
	s_and_b32 s6, vcc_lo, s1
	s_and_saveexec_b32 s1, s6
	s_cbranch_execz .LBB302_8
; %bb.7:                                ;   in Loop: Header=BB302_6 Depth=1
	flat_load_dword v16, v[2:3]
.LBB302_8:                              ;   in Loop: Header=BB302_6 Depth=1
	s_or_b32 exec_lo, exec_lo, s1
	v_add_nc_u32_e32 v17, s9, v9
	s_waitcnt vmcnt(0) lgkmcnt(0)
	ds_write_b32 v12, v16
	v_cmp_gt_i32_e64 s1, s11, v17
	v_mov_b32_e32 v17, 0
	s_and_b32 s6, s1, s0
	s_and_saveexec_b32 s1, s6
	s_cbranch_execz .LBB302_5
; %bb.9:                                ;   in Loop: Header=BB302_6 Depth=1
	flat_load_dword v17, v[4:5]
	s_branch .LBB302_5
.LBB302_10:
	s_clause 0x1
	s_load_dword s3, s[4:5], 0x50
	s_load_dwordx2 s[4:5], s[4:5], 0x58
	v_add_nc_u32_e32 v10, s22, v1
	v_add_nc_u32_e32 v0, s8, v0
	v_cmp_neq_f32_e64 s2, s20, 0
	v_cmp_le_i32_e32 vcc_lo, v10, v0
	v_cmp_gt_i32_e64 s0, s10, v0
	v_cndmask_b32_e64 v9, 0, 1, s2
	s_waitcnt lgkmcnt(0)
	v_mad_i64_i32 v[1:2], null, v10, s3, 0
	s_lshl_b64 s[4:5], s[4:5], 2
	s_add_u32 s4, s14, s4
	s_addc_u32 s5, s15, s5
	s_and_b32 s6, vcc_lo, s0
	v_lshlrev_b64 v[2:3], 2, v[1:2]
	v_ashrrev_i32_e32 v1, 31, v0
	v_add_co_u32 v4, s1, s4, v2
	v_add_co_ci_u32_e64 v5, null, s5, v3, s1
	s_and_saveexec_b32 s1, s6
	s_cbranch_execz .LBB302_14
; %bb.11:
	v_lshlrev_b64 v[2:3], 2, v[0:1]
	v_mul_f32_e32 v11, s21, v11
	v_add_co_u32 v2, vcc_lo, v4, v2
	v_add_co_ci_u32_e64 v3, null, v5, v3, vcc_lo
	s_andn2_b32 vcc_lo, exec_lo, s2
	s_cbranch_vccnz .LBB302_13
; %bb.12:
	flat_load_dword v12, v[2:3]
	s_waitcnt vmcnt(0) lgkmcnt(0)
	v_fmac_f32_e32 v11, s20, v12
.LBB302_13:
	flat_store_dword v[2:3], v11
.LBB302_14:
	s_or_b32 exec_lo, exec_lo, s1
	v_add_nc_u32_e32 v2, 16, v0
	v_cmp_le_i32_e32 vcc_lo, v10, v2
	v_cmp_gt_i32_e64 s1, s10, v2
	v_ashrrev_i32_e32 v3, 31, v2
	s_and_b32 s2, vcc_lo, s1
	s_and_saveexec_b32 s6, s2
	s_cbranch_execz .LBB302_18
; %bb.15:
	v_lshlrev_b64 v[11:12], 2, v[2:3]
	v_cmp_ne_u32_e32 vcc_lo, 1, v9
	v_mul_f32_e32 v8, s21, v8
	v_add_co_u32 v4, s2, v4, v11
	v_add_co_ci_u32_e64 v5, null, v5, v12, s2
	s_cbranch_vccnz .LBB302_17
; %bb.16:
	flat_load_dword v11, v[4:5]
	s_waitcnt vmcnt(0) lgkmcnt(0)
	v_fmac_f32_e32 v8, s20, v11
.LBB302_17:
	flat_store_dword v[4:5], v8
.LBB302_18:
	s_or_b32 exec_lo, exec_lo, s6
	v_add_nc_u32_e32 v8, 16, v10
	v_mad_i64_i32 v[4:5], null, v8, s3, 0
	v_cmp_le_i32_e32 vcc_lo, v8, v0
	s_and_b32 s0, vcc_lo, s0
	v_lshlrev_b64 v[4:5], 2, v[4:5]
	v_add_co_u32 v4, s2, s4, v4
	v_add_co_ci_u32_e64 v5, null, s5, v5, s2
	s_and_saveexec_b32 s2, s0
	s_cbranch_execz .LBB302_22
; %bb.19:
	v_lshlrev_b64 v[0:1], 2, v[0:1]
	v_cmp_ne_u32_e32 vcc_lo, 1, v9
	v_mul_f32_e32 v7, s21, v7
	v_add_co_u32 v0, s0, v4, v0
	v_add_co_ci_u32_e64 v1, null, v5, v1, s0
	s_cbranch_vccnz .LBB302_21
; %bb.20:
	flat_load_dword v10, v[0:1]
	s_waitcnt vmcnt(0) lgkmcnt(0)
	v_fmac_f32_e32 v7, s20, v10
.LBB302_21:
	flat_store_dword v[0:1], v7
.LBB302_22:
	s_or_b32 exec_lo, exec_lo, s2
	v_cmp_le_i32_e32 vcc_lo, v8, v2
	s_and_b32 s0, vcc_lo, s1
	s_and_saveexec_b32 s1, s0
	s_cbranch_execz .LBB302_26
; %bb.23:
	v_lshlrev_b64 v[0:1], 2, v[2:3]
	v_cmp_ne_u32_e32 vcc_lo, 1, v9
	v_mul_f32_e32 v2, s21, v6
	v_add_co_u32 v0, s0, v4, v0
	v_add_co_ci_u32_e64 v1, null, v5, v1, s0
	s_cbranch_vccnz .LBB302_25
; %bb.24:
	flat_load_dword v3, v[0:1]
	s_waitcnt vmcnt(0) lgkmcnt(0)
	v_fmac_f32_e32 v2, s20, v3
.LBB302_25:
	flat_store_dword v[0:1], v2
.LBB302_26:
	s_endpgm
	.section	.rodata,"a",@progbits
	.p2align	6, 0x0
	.amdhsa_kernel _ZL29rocblas_internal_gemmt_kernelIiLi16ELi32ELi8ELc84ELc67ELc76ELb0ELb0EfPKfPKS1_PKPfEviT_T9_T10_S7_lS9_S7_lS8_T11_S7_li
		.amdhsa_group_segment_fixed_size 2048
		.amdhsa_private_segment_fixed_size 0
		.amdhsa_kernarg_size 100
		.amdhsa_user_sgpr_count 6
		.amdhsa_user_sgpr_private_segment_buffer 1
		.amdhsa_user_sgpr_dispatch_ptr 0
		.amdhsa_user_sgpr_queue_ptr 0
		.amdhsa_user_sgpr_kernarg_segment_ptr 1
		.amdhsa_user_sgpr_dispatch_id 0
		.amdhsa_user_sgpr_flat_scratch_init 0
		.amdhsa_user_sgpr_private_segment_size 0
		.amdhsa_wavefront_size32 1
		.amdhsa_uses_dynamic_stack 0
		.amdhsa_system_sgpr_private_segment_wavefront_offset 0
		.amdhsa_system_sgpr_workgroup_id_x 1
		.amdhsa_system_sgpr_workgroup_id_y 1
		.amdhsa_system_sgpr_workgroup_id_z 1
		.amdhsa_system_sgpr_workgroup_info 0
		.amdhsa_system_vgpr_workitem_id 1
		.amdhsa_next_free_vgpr 42
		.amdhsa_next_free_sgpr 24
		.amdhsa_reserve_vcc 1
		.amdhsa_reserve_flat_scratch 0
		.amdhsa_float_round_mode_32 0
		.amdhsa_float_round_mode_16_64 0
		.amdhsa_float_denorm_mode_32 3
		.amdhsa_float_denorm_mode_16_64 3
		.amdhsa_dx10_clamp 1
		.amdhsa_ieee_mode 1
		.amdhsa_fp16_overflow 0
		.amdhsa_workgroup_processor_mode 1
		.amdhsa_memory_ordered 1
		.amdhsa_forward_progress 1
		.amdhsa_shared_vgpr_count 0
		.amdhsa_exception_fp_ieee_invalid_op 0
		.amdhsa_exception_fp_denorm_src 0
		.amdhsa_exception_fp_ieee_div_zero 0
		.amdhsa_exception_fp_ieee_overflow 0
		.amdhsa_exception_fp_ieee_underflow 0
		.amdhsa_exception_fp_ieee_inexact 0
		.amdhsa_exception_int_div_zero 0
	.end_amdhsa_kernel
	.section	.text._ZL29rocblas_internal_gemmt_kernelIiLi16ELi32ELi8ELc84ELc67ELc76ELb0ELb0EfPKfPKS1_PKPfEviT_T9_T10_S7_lS9_S7_lS8_T11_S7_li,"axG",@progbits,_ZL29rocblas_internal_gemmt_kernelIiLi16ELi32ELi8ELc84ELc67ELc76ELb0ELb0EfPKfPKS1_PKPfEviT_T9_T10_S7_lS9_S7_lS8_T11_S7_li,comdat
.Lfunc_end302:
	.size	_ZL29rocblas_internal_gemmt_kernelIiLi16ELi32ELi8ELc84ELc67ELc76ELb0ELb0EfPKfPKS1_PKPfEviT_T9_T10_S7_lS9_S7_lS8_T11_S7_li, .Lfunc_end302-_ZL29rocblas_internal_gemmt_kernelIiLi16ELi32ELi8ELc84ELc67ELc76ELb0ELb0EfPKfPKS1_PKPfEviT_T9_T10_S7_lS9_S7_lS8_T11_S7_li
                                        ; -- End function
	.set _ZL29rocblas_internal_gemmt_kernelIiLi16ELi32ELi8ELc84ELc67ELc76ELb0ELb0EfPKfPKS1_PKPfEviT_T9_T10_S7_lS9_S7_lS8_T11_S7_li.num_vgpr, 42
	.set _ZL29rocblas_internal_gemmt_kernelIiLi16ELi32ELi8ELc84ELc67ELc76ELb0ELb0EfPKfPKS1_PKPfEviT_T9_T10_S7_lS9_S7_lS8_T11_S7_li.num_agpr, 0
	.set _ZL29rocblas_internal_gemmt_kernelIiLi16ELi32ELi8ELc84ELc67ELc76ELb0ELb0EfPKfPKS1_PKPfEviT_T9_T10_S7_lS9_S7_lS8_T11_S7_li.numbered_sgpr, 24
	.set _ZL29rocblas_internal_gemmt_kernelIiLi16ELi32ELi8ELc84ELc67ELc76ELb0ELb0EfPKfPKS1_PKPfEviT_T9_T10_S7_lS9_S7_lS8_T11_S7_li.num_named_barrier, 0
	.set _ZL29rocblas_internal_gemmt_kernelIiLi16ELi32ELi8ELc84ELc67ELc76ELb0ELb0EfPKfPKS1_PKPfEviT_T9_T10_S7_lS9_S7_lS8_T11_S7_li.private_seg_size, 0
	.set _ZL29rocblas_internal_gemmt_kernelIiLi16ELi32ELi8ELc84ELc67ELc76ELb0ELb0EfPKfPKS1_PKPfEviT_T9_T10_S7_lS9_S7_lS8_T11_S7_li.uses_vcc, 1
	.set _ZL29rocblas_internal_gemmt_kernelIiLi16ELi32ELi8ELc84ELc67ELc76ELb0ELb0EfPKfPKS1_PKPfEviT_T9_T10_S7_lS9_S7_lS8_T11_S7_li.uses_flat_scratch, 0
	.set _ZL29rocblas_internal_gemmt_kernelIiLi16ELi32ELi8ELc84ELc67ELc76ELb0ELb0EfPKfPKS1_PKPfEviT_T9_T10_S7_lS9_S7_lS8_T11_S7_li.has_dyn_sized_stack, 0
	.set _ZL29rocblas_internal_gemmt_kernelIiLi16ELi32ELi8ELc84ELc67ELc76ELb0ELb0EfPKfPKS1_PKPfEviT_T9_T10_S7_lS9_S7_lS8_T11_S7_li.has_recursion, 0
	.set _ZL29rocblas_internal_gemmt_kernelIiLi16ELi32ELi8ELc84ELc67ELc76ELb0ELb0EfPKfPKS1_PKPfEviT_T9_T10_S7_lS9_S7_lS8_T11_S7_li.has_indirect_call, 0
	.section	.AMDGPU.csdata,"",@progbits
; Kernel info:
; codeLenInByte = 1432
; TotalNumSgprs: 26
; NumVgprs: 42
; ScratchSize: 0
; MemoryBound: 0
; FloatMode: 240
; IeeeMode: 1
; LDSByteSize: 2048 bytes/workgroup (compile time only)
; SGPRBlocks: 0
; VGPRBlocks: 5
; NumSGPRsForWavesPerEU: 26
; NumVGPRsForWavesPerEU: 42
; Occupancy: 16
; WaveLimiterHint : 1
; COMPUTE_PGM_RSRC2:SCRATCH_EN: 0
; COMPUTE_PGM_RSRC2:USER_SGPR: 6
; COMPUTE_PGM_RSRC2:TRAP_HANDLER: 0
; COMPUTE_PGM_RSRC2:TGID_X_EN: 1
; COMPUTE_PGM_RSRC2:TGID_Y_EN: 1
; COMPUTE_PGM_RSRC2:TGID_Z_EN: 1
; COMPUTE_PGM_RSRC2:TIDIG_COMP_CNT: 1
	.section	.text._ZL29rocblas_internal_gemmt_kernelIiLi16ELi32ELi8ELc67ELc78ELc76ELb0ELb0EfPKfPKS1_PKPfEviT_T9_T10_S7_lS9_S7_lS8_T11_S7_li,"axG",@progbits,_ZL29rocblas_internal_gemmt_kernelIiLi16ELi32ELi8ELc67ELc78ELc76ELb0ELb0EfPKfPKS1_PKPfEviT_T9_T10_S7_lS9_S7_lS8_T11_S7_li,comdat
	.globl	_ZL29rocblas_internal_gemmt_kernelIiLi16ELi32ELi8ELc67ELc78ELc76ELb0ELb0EfPKfPKS1_PKPfEviT_T9_T10_S7_lS9_S7_lS8_T11_S7_li ; -- Begin function _ZL29rocblas_internal_gemmt_kernelIiLi16ELi32ELi8ELc67ELc78ELc76ELb0ELb0EfPKfPKS1_PKPfEviT_T9_T10_S7_lS9_S7_lS8_T11_S7_li
	.p2align	8
	.type	_ZL29rocblas_internal_gemmt_kernelIiLi16ELi32ELi8ELc67ELc78ELc76ELb0ELb0EfPKfPKS1_PKPfEviT_T9_T10_S7_lS9_S7_lS8_T11_S7_li,@function
_ZL29rocblas_internal_gemmt_kernelIiLi16ELi32ELi8ELc67ELc78ELc76ELb0ELb0EfPKfPKS1_PKPfEviT_T9_T10_S7_lS9_S7_lS8_T11_S7_li: ; @_ZL29rocblas_internal_gemmt_kernelIiLi16ELi32ELi8ELc67ELc78ELc76ELb0ELb0EfPKfPKS1_PKPfEviT_T9_T10_S7_lS9_S7_lS8_T11_S7_li
; %bb.0:
	s_clause 0x1
	s_load_dwordx4 s[12:15], s[4:5], 0x38
	s_load_dwordx4 s[0:3], s[4:5], 0x8
	s_waitcnt lgkmcnt(0)
	s_load_dword s22, s[14:15], 0x0
	s_load_dwordx2 s[10:11], s[4:5], 0x0
	s_load_dword s23, s[0:1], 0x0
	s_waitcnt lgkmcnt(0)
	v_cmp_neq_f32_e64 s0, s22, 1.0
	s_and_b32 vcc_lo, exec_lo, s0
	s_cbranch_vccnz .LBB303_2
; %bb.1:
	v_cmp_neq_f32_e64 s0, s23, 0
	s_cmp_lg_u32 s11, 0
	s_cselect_b32 s1, -1, 0
	s_and_b32 s0, s1, s0
.LBB303_2:
	s_andn2_b32 vcc_lo, exec_lo, s0
	s_cbranch_vccnz .LBB303_26
; %bb.3:
	s_load_dwordx2 s[0:1], s[4:5], 0x48
	s_mov_b32 s9, 0
	v_mov_b32_e32 v12, 0
	s_lshl_b64 s[20:21], s[8:9], 3
	v_mov_b32_e32 v8, 0
	v_mov_b32_e32 v7, 0
	;; [unrolled: 1-line block ×3, first 2 shown]
	s_waitcnt lgkmcnt(0)
	s_add_u32 s0, s0, s20
	s_addc_u32 s1, s1, s21
	s_lshl_b32 s6, s6, 5
	s_load_dwordx2 s[14:15], s[0:1], 0x0
	s_lshl_b32 s7, s7, 5
	v_cmp_eq_f32_e64 s0, s23, 0
	s_cmp_lt_i32 s11, 1
	s_cselect_b32 s1, -1, 0
	s_or_b32 s0, s0, s1
	s_and_b32 vcc_lo, exec_lo, s0
	s_cbranch_vccnz .LBB303_10
; %bb.4:
	s_clause 0x2
	s_load_dword s1, s[4:5], 0x18
	s_load_dwordx4 s[16:19], s[4:5], 0x20
	s_load_dword s8, s[4:5], 0x30
	v_lshl_add_u32 v2, v1, 4, v0
	v_and_b32_e32 v9, 7, v0
	v_lshlrev_b32_e32 v10, 2, v0
	v_lshl_add_u32 v11, v1, 5, 0x400
	v_mov_b32_e32 v12, 0
	v_and_b32_e32 v3, 31, v2
	v_lshrrev_b32_e32 v4, 3, v2
	v_lshlrev_b32_e32 v7, 2, v9
	v_lshrrev_b32_e32 v13, 5, v2
	v_or_b32_e32 v2, s6, v3
	v_lshlrev_b32_e32 v5, 2, v3
	v_add_nc_u32_e32 v3, s6, v3
	v_add_nc_u32_e32 v6, s7, v4
	v_lshl_or_b32 v4, v4, 5, v7
	v_cmp_gt_i32_e32 vcc_lo, s10, v2
	v_lshl_or_b32 v14, v13, 7, v5
	s_waitcnt lgkmcnt(0)
	v_mad_i64_i32 v[2:3], null, s1, v3, 0
	s_add_u32 s18, s18, s20
	s_addc_u32 s19, s19, s21
	s_add_u32 s2, s2, s20
	v_add_nc_u32_e32 v15, 0x400, v4
	v_mad_i64_i32 v[4:5], null, s8, v6, 0
	s_addc_u32 s3, s3, s21
	s_load_dwordx2 s[18:19], s[18:19], 0x0
	s_load_dwordx2 s[2:3], s[2:3], 0x0
	v_lshlrev_b64 v[2:3], 2, v[2:3]
	s_lshl_b64 s[16:17], s[16:17], 2
	v_lshlrev_b32_e32 v8, 2, v13
	v_lshlrev_b64 v[4:5], 2, v[4:5]
	s_lshl_b64 s[12:13], s[12:13], 2
	v_cmp_gt_i32_e64 s0, s10, v6
	v_add_co_u32 v2, s1, v2, s16
	v_add_co_ci_u32_e64 v3, null, s17, v3, s1
	v_add_co_u32 v4, s1, v4, s12
	v_add_co_ci_u32_e64 v5, null, s13, v5, s1
	;; [unrolled: 2-line block ×4, first 2 shown]
	s_waitcnt lgkmcnt(0)
	v_add_co_u32 v2, s1, s2, v2
	v_add_co_ci_u32_e64 v3, null, s3, v3, s1
	v_add_co_u32 v4, s1, s18, v4
	v_mov_b32_e32 v6, 0
	v_add_co_ci_u32_e64 v5, null, s19, v5, s1
	v_mov_b32_e32 v7, 0
	v_mov_b32_e32 v8, 0
	s_branch .LBB303_6
.LBB303_5:                              ;   in Loop: Header=BB303_6 Depth=1
	s_or_b32 exec_lo, exec_lo, s1
	s_waitcnt vmcnt(0) lgkmcnt(0)
	ds_write_b32 v15, v17
	s_waitcnt lgkmcnt(0)
	s_barrier
	buffer_gl0_inv
	ds_read_b128 v[16:19], v11
	ds_read2_b32 v[32:33], v10 offset1:16
	ds_read_b128 v[20:23], v11 offset:512
	ds_read2_b32 v[34:35], v10 offset0:32 offset1:48
	ds_read2_b32 v[36:37], v10 offset0:64 offset1:80
	;; [unrolled: 1-line block ×3, first 2 shown]
	ds_read_b128 v[24:27], v11 offset:16
	ds_read2_b32 v[40:41], v10 offset0:128 offset1:144
	ds_read_b128 v[28:31], v11 offset:528
	v_add_co_u32 v2, s1, v2, 32
	v_add_co_ci_u32_e64 v3, null, 0, v3, s1
	v_add_co_u32 v4, s1, v4, 32
	v_add_co_ci_u32_e64 v5, null, 0, v5, s1
	s_add_i32 s9, s9, 8
	s_cmp_lt_i32 s9, s11
	s_waitcnt lgkmcnt(7)
	v_fmac_f32_e32 v12, v32, v16
	v_fmac_f32_e32 v8, v33, v16
	s_waitcnt lgkmcnt(6)
	v_fmac_f32_e32 v7, v32, v20
	v_fmac_f32_e32 v6, v33, v20
	ds_read2_b32 v[32:33], v10 offset0:160 offset1:176
	s_waitcnt lgkmcnt(6)
	v_fmac_f32_e32 v12, v34, v17
	v_fmac_f32_e32 v8, v35, v17
	v_fmac_f32_e32 v7, v34, v21
	v_fmac_f32_e32 v6, v35, v21
	ds_read2_b32 v[16:17], v10 offset0:192 offset1:208
	s_waitcnt lgkmcnt(6)
	v_fmac_f32_e32 v12, v36, v18
	v_fmac_f32_e32 v8, v37, v18
	;; [unrolled: 6-line block ×3, first 2 shown]
	v_fmac_f32_e32 v7, v38, v23
	v_fmac_f32_e32 v6, v39, v23
	s_waitcnt lgkmcnt(0)
	v_fmac_f32_e32 v12, v40, v24
	v_fmac_f32_e32 v8, v41, v24
	;; [unrolled: 1-line block ×4, first 2 shown]
	s_barrier
	v_fmac_f32_e32 v12, v32, v25
	v_fmac_f32_e32 v8, v33, v25
	;; [unrolled: 1-line block ×4, first 2 shown]
	buffer_gl0_inv
	v_fmac_f32_e32 v12, v16, v26
	v_fmac_f32_e32 v8, v17, v26
	;; [unrolled: 1-line block ×8, first 2 shown]
	s_cbranch_scc0 .LBB303_10
.LBB303_6:                              ; =>This Inner Loop Header: Depth=1
	v_add_nc_u32_e32 v16, s9, v13
	v_cmp_gt_i32_e64 s1, s11, v16
	v_mov_b32_e32 v16, 0
	s_and_b32 s2, vcc_lo, s1
	s_and_saveexec_b32 s1, s2
	s_cbranch_execz .LBB303_8
; %bb.7:                                ;   in Loop: Header=BB303_6 Depth=1
	flat_load_dword v16, v[2:3]
.LBB303_8:                              ;   in Loop: Header=BB303_6 Depth=1
	s_or_b32 exec_lo, exec_lo, s1
	v_add_nc_u32_e32 v17, s9, v9
	s_waitcnt vmcnt(0) lgkmcnt(0)
	ds_write_b32 v14, v16
	v_cmp_gt_i32_e64 s1, s11, v17
	v_mov_b32_e32 v17, 0
	s_and_b32 s2, s1, s0
	s_and_saveexec_b32 s1, s2
	s_cbranch_execz .LBB303_5
; %bb.9:                                ;   in Loop: Header=BB303_6 Depth=1
	flat_load_dword v17, v[4:5]
	s_branch .LBB303_5
.LBB303_10:
	s_clause 0x1
	s_load_dword s3, s[4:5], 0x50
	s_load_dwordx2 s[4:5], s[4:5], 0x58
	v_add_nc_u32_e32 v10, s7, v1
	v_add_nc_u32_e32 v0, s6, v0
	v_cmp_neq_f32_e64 s2, s22, 0
	v_cmp_le_i32_e32 vcc_lo, v10, v0
	v_cmp_gt_i32_e64 s0, s10, v0
	v_cndmask_b32_e64 v9, 0, 1, s2
	s_waitcnt lgkmcnt(0)
	v_mad_i64_i32 v[1:2], null, v10, s3, 0
	s_lshl_b64 s[4:5], s[4:5], 2
	s_add_u32 s4, s14, s4
	s_addc_u32 s5, s15, s5
	s_and_b32 s6, vcc_lo, s0
	v_lshlrev_b64 v[2:3], 2, v[1:2]
	v_ashrrev_i32_e32 v1, 31, v0
	v_add_co_u32 v4, s1, s4, v2
	v_add_co_ci_u32_e64 v5, null, s5, v3, s1
	s_and_saveexec_b32 s1, s6
	s_cbranch_execz .LBB303_14
; %bb.11:
	v_lshlrev_b64 v[2:3], 2, v[0:1]
	v_mul_f32_e32 v11, s23, v12
	v_add_co_u32 v2, vcc_lo, v4, v2
	v_add_co_ci_u32_e64 v3, null, v5, v3, vcc_lo
	s_andn2_b32 vcc_lo, exec_lo, s2
	s_cbranch_vccnz .LBB303_13
; %bb.12:
	flat_load_dword v12, v[2:3]
	s_waitcnt vmcnt(0) lgkmcnt(0)
	v_fmac_f32_e32 v11, s22, v12
.LBB303_13:
	flat_store_dword v[2:3], v11
.LBB303_14:
	s_or_b32 exec_lo, exec_lo, s1
	v_add_nc_u32_e32 v2, 16, v0
	v_cmp_le_i32_e32 vcc_lo, v10, v2
	v_cmp_gt_i32_e64 s1, s10, v2
	v_ashrrev_i32_e32 v3, 31, v2
	s_and_b32 s2, vcc_lo, s1
	s_and_saveexec_b32 s6, s2
	s_cbranch_execz .LBB303_18
; %bb.15:
	v_lshlrev_b64 v[11:12], 2, v[2:3]
	v_cmp_ne_u32_e32 vcc_lo, 1, v9
	v_mul_f32_e32 v8, s23, v8
	v_add_co_u32 v4, s2, v4, v11
	v_add_co_ci_u32_e64 v5, null, v5, v12, s2
	s_cbranch_vccnz .LBB303_17
; %bb.16:
	flat_load_dword v11, v[4:5]
	s_waitcnt vmcnt(0) lgkmcnt(0)
	v_fmac_f32_e32 v8, s22, v11
.LBB303_17:
	flat_store_dword v[4:5], v8
.LBB303_18:
	s_or_b32 exec_lo, exec_lo, s6
	v_add_nc_u32_e32 v8, 16, v10
	v_mad_i64_i32 v[4:5], null, v8, s3, 0
	v_cmp_le_i32_e32 vcc_lo, v8, v0
	s_and_b32 s0, vcc_lo, s0
	v_lshlrev_b64 v[4:5], 2, v[4:5]
	v_add_co_u32 v4, s2, s4, v4
	v_add_co_ci_u32_e64 v5, null, s5, v5, s2
	s_and_saveexec_b32 s2, s0
	s_cbranch_execz .LBB303_22
; %bb.19:
	v_lshlrev_b64 v[0:1], 2, v[0:1]
	v_cmp_ne_u32_e32 vcc_lo, 1, v9
	v_mul_f32_e32 v7, s23, v7
	v_add_co_u32 v0, s0, v4, v0
	v_add_co_ci_u32_e64 v1, null, v5, v1, s0
	s_cbranch_vccnz .LBB303_21
; %bb.20:
	flat_load_dword v10, v[0:1]
	s_waitcnt vmcnt(0) lgkmcnt(0)
	v_fmac_f32_e32 v7, s22, v10
.LBB303_21:
	flat_store_dword v[0:1], v7
.LBB303_22:
	s_or_b32 exec_lo, exec_lo, s2
	v_cmp_le_i32_e32 vcc_lo, v8, v2
	s_and_b32 s0, vcc_lo, s1
	s_and_saveexec_b32 s1, s0
	s_cbranch_execz .LBB303_26
; %bb.23:
	v_lshlrev_b64 v[0:1], 2, v[2:3]
	v_cmp_ne_u32_e32 vcc_lo, 1, v9
	v_mul_f32_e32 v2, s23, v6
	v_add_co_u32 v0, s0, v4, v0
	v_add_co_ci_u32_e64 v1, null, v5, v1, s0
	s_cbranch_vccnz .LBB303_25
; %bb.24:
	flat_load_dword v3, v[0:1]
	s_waitcnt vmcnt(0) lgkmcnt(0)
	v_fmac_f32_e32 v2, s22, v3
.LBB303_25:
	flat_store_dword v[0:1], v2
.LBB303_26:
	s_endpgm
	.section	.rodata,"a",@progbits
	.p2align	6, 0x0
	.amdhsa_kernel _ZL29rocblas_internal_gemmt_kernelIiLi16ELi32ELi8ELc67ELc78ELc76ELb0ELb0EfPKfPKS1_PKPfEviT_T9_T10_S7_lS9_S7_lS8_T11_S7_li
		.amdhsa_group_segment_fixed_size 2048
		.amdhsa_private_segment_fixed_size 0
		.amdhsa_kernarg_size 100
		.amdhsa_user_sgpr_count 6
		.amdhsa_user_sgpr_private_segment_buffer 1
		.amdhsa_user_sgpr_dispatch_ptr 0
		.amdhsa_user_sgpr_queue_ptr 0
		.amdhsa_user_sgpr_kernarg_segment_ptr 1
		.amdhsa_user_sgpr_dispatch_id 0
		.amdhsa_user_sgpr_flat_scratch_init 0
		.amdhsa_user_sgpr_private_segment_size 0
		.amdhsa_wavefront_size32 1
		.amdhsa_uses_dynamic_stack 0
		.amdhsa_system_sgpr_private_segment_wavefront_offset 0
		.amdhsa_system_sgpr_workgroup_id_x 1
		.amdhsa_system_sgpr_workgroup_id_y 1
		.amdhsa_system_sgpr_workgroup_id_z 1
		.amdhsa_system_sgpr_workgroup_info 0
		.amdhsa_system_vgpr_workitem_id 1
		.amdhsa_next_free_vgpr 42
		.amdhsa_next_free_sgpr 24
		.amdhsa_reserve_vcc 1
		.amdhsa_reserve_flat_scratch 0
		.amdhsa_float_round_mode_32 0
		.amdhsa_float_round_mode_16_64 0
		.amdhsa_float_denorm_mode_32 3
		.amdhsa_float_denorm_mode_16_64 3
		.amdhsa_dx10_clamp 1
		.amdhsa_ieee_mode 1
		.amdhsa_fp16_overflow 0
		.amdhsa_workgroup_processor_mode 1
		.amdhsa_memory_ordered 1
		.amdhsa_forward_progress 1
		.amdhsa_shared_vgpr_count 0
		.amdhsa_exception_fp_ieee_invalid_op 0
		.amdhsa_exception_fp_denorm_src 0
		.amdhsa_exception_fp_ieee_div_zero 0
		.amdhsa_exception_fp_ieee_overflow 0
		.amdhsa_exception_fp_ieee_underflow 0
		.amdhsa_exception_fp_ieee_inexact 0
		.amdhsa_exception_int_div_zero 0
	.end_amdhsa_kernel
	.section	.text._ZL29rocblas_internal_gemmt_kernelIiLi16ELi32ELi8ELc67ELc78ELc76ELb0ELb0EfPKfPKS1_PKPfEviT_T9_T10_S7_lS9_S7_lS8_T11_S7_li,"axG",@progbits,_ZL29rocblas_internal_gemmt_kernelIiLi16ELi32ELi8ELc67ELc78ELc76ELb0ELb0EfPKfPKS1_PKPfEviT_T9_T10_S7_lS9_S7_lS8_T11_S7_li,comdat
.Lfunc_end303:
	.size	_ZL29rocblas_internal_gemmt_kernelIiLi16ELi32ELi8ELc67ELc78ELc76ELb0ELb0EfPKfPKS1_PKPfEviT_T9_T10_S7_lS9_S7_lS8_T11_S7_li, .Lfunc_end303-_ZL29rocblas_internal_gemmt_kernelIiLi16ELi32ELi8ELc67ELc78ELc76ELb0ELb0EfPKfPKS1_PKPfEviT_T9_T10_S7_lS9_S7_lS8_T11_S7_li
                                        ; -- End function
	.set _ZL29rocblas_internal_gemmt_kernelIiLi16ELi32ELi8ELc67ELc78ELc76ELb0ELb0EfPKfPKS1_PKPfEviT_T9_T10_S7_lS9_S7_lS8_T11_S7_li.num_vgpr, 42
	.set _ZL29rocblas_internal_gemmt_kernelIiLi16ELi32ELi8ELc67ELc78ELc76ELb0ELb0EfPKfPKS1_PKPfEviT_T9_T10_S7_lS9_S7_lS8_T11_S7_li.num_agpr, 0
	.set _ZL29rocblas_internal_gemmt_kernelIiLi16ELi32ELi8ELc67ELc78ELc76ELb0ELb0EfPKfPKS1_PKPfEviT_T9_T10_S7_lS9_S7_lS8_T11_S7_li.numbered_sgpr, 24
	.set _ZL29rocblas_internal_gemmt_kernelIiLi16ELi32ELi8ELc67ELc78ELc76ELb0ELb0EfPKfPKS1_PKPfEviT_T9_T10_S7_lS9_S7_lS8_T11_S7_li.num_named_barrier, 0
	.set _ZL29rocblas_internal_gemmt_kernelIiLi16ELi32ELi8ELc67ELc78ELc76ELb0ELb0EfPKfPKS1_PKPfEviT_T9_T10_S7_lS9_S7_lS8_T11_S7_li.private_seg_size, 0
	.set _ZL29rocblas_internal_gemmt_kernelIiLi16ELi32ELi8ELc67ELc78ELc76ELb0ELb0EfPKfPKS1_PKPfEviT_T9_T10_S7_lS9_S7_lS8_T11_S7_li.uses_vcc, 1
	.set _ZL29rocblas_internal_gemmt_kernelIiLi16ELi32ELi8ELc67ELc78ELc76ELb0ELb0EfPKfPKS1_PKPfEviT_T9_T10_S7_lS9_S7_lS8_T11_S7_li.uses_flat_scratch, 0
	.set _ZL29rocblas_internal_gemmt_kernelIiLi16ELi32ELi8ELc67ELc78ELc76ELb0ELb0EfPKfPKS1_PKPfEviT_T9_T10_S7_lS9_S7_lS8_T11_S7_li.has_dyn_sized_stack, 0
	.set _ZL29rocblas_internal_gemmt_kernelIiLi16ELi32ELi8ELc67ELc78ELc76ELb0ELb0EfPKfPKS1_PKPfEviT_T9_T10_S7_lS9_S7_lS8_T11_S7_li.has_recursion, 0
	.set _ZL29rocblas_internal_gemmt_kernelIiLi16ELi32ELi8ELc67ELc78ELc76ELb0ELb0EfPKfPKS1_PKPfEviT_T9_T10_S7_lS9_S7_lS8_T11_S7_li.has_indirect_call, 0
	.section	.AMDGPU.csdata,"",@progbits
; Kernel info:
; codeLenInByte = 1412
; TotalNumSgprs: 26
; NumVgprs: 42
; ScratchSize: 0
; MemoryBound: 0
; FloatMode: 240
; IeeeMode: 1
; LDSByteSize: 2048 bytes/workgroup (compile time only)
; SGPRBlocks: 0
; VGPRBlocks: 5
; NumSGPRsForWavesPerEU: 26
; NumVGPRsForWavesPerEU: 42
; Occupancy: 16
; WaveLimiterHint : 1
; COMPUTE_PGM_RSRC2:SCRATCH_EN: 0
; COMPUTE_PGM_RSRC2:USER_SGPR: 6
; COMPUTE_PGM_RSRC2:TRAP_HANDLER: 0
; COMPUTE_PGM_RSRC2:TGID_X_EN: 1
; COMPUTE_PGM_RSRC2:TGID_Y_EN: 1
; COMPUTE_PGM_RSRC2:TGID_Z_EN: 1
; COMPUTE_PGM_RSRC2:TIDIG_COMP_CNT: 1
	.section	.text._ZL29rocblas_internal_gemmt_kernelIiLi16ELi32ELi8ELc67ELc84ELc76ELb0ELb0EfPKfPKS1_PKPfEviT_T9_T10_S7_lS9_S7_lS8_T11_S7_li,"axG",@progbits,_ZL29rocblas_internal_gemmt_kernelIiLi16ELi32ELi8ELc67ELc84ELc76ELb0ELb0EfPKfPKS1_PKPfEviT_T9_T10_S7_lS9_S7_lS8_T11_S7_li,comdat
	.globl	_ZL29rocblas_internal_gemmt_kernelIiLi16ELi32ELi8ELc67ELc84ELc76ELb0ELb0EfPKfPKS1_PKPfEviT_T9_T10_S7_lS9_S7_lS8_T11_S7_li ; -- Begin function _ZL29rocblas_internal_gemmt_kernelIiLi16ELi32ELi8ELc67ELc84ELc76ELb0ELb0EfPKfPKS1_PKPfEviT_T9_T10_S7_lS9_S7_lS8_T11_S7_li
	.p2align	8
	.type	_ZL29rocblas_internal_gemmt_kernelIiLi16ELi32ELi8ELc67ELc84ELc76ELb0ELb0EfPKfPKS1_PKPfEviT_T9_T10_S7_lS9_S7_lS8_T11_S7_li,@function
_ZL29rocblas_internal_gemmt_kernelIiLi16ELi32ELi8ELc67ELc84ELc76ELb0ELb0EfPKfPKS1_PKPfEviT_T9_T10_S7_lS9_S7_lS8_T11_S7_li: ; @_ZL29rocblas_internal_gemmt_kernelIiLi16ELi32ELi8ELc67ELc84ELc76ELb0ELb0EfPKfPKS1_PKPfEviT_T9_T10_S7_lS9_S7_lS8_T11_S7_li
; %bb.0:
	s_clause 0x1
	s_load_dwordx4 s[12:15], s[4:5], 0x38
	s_load_dwordx4 s[0:3], s[4:5], 0x8
	s_waitcnt lgkmcnt(0)
	s_load_dword s20, s[14:15], 0x0
	s_load_dwordx2 s[10:11], s[4:5], 0x0
	s_load_dword s21, s[0:1], 0x0
	s_waitcnt lgkmcnt(0)
	v_cmp_neq_f32_e64 s0, s20, 1.0
	s_and_b32 vcc_lo, exec_lo, s0
	s_cbranch_vccnz .LBB304_2
; %bb.1:
	v_cmp_neq_f32_e64 s0, s21, 0
	s_cmp_lg_u32 s11, 0
	s_cselect_b32 s1, -1, 0
	s_and_b32 s0, s1, s0
.LBB304_2:
	s_andn2_b32 vcc_lo, exec_lo, s0
	s_cbranch_vccnz .LBB304_26
; %bb.3:
	s_load_dwordx2 s[14:15], s[4:5], 0x48
	s_mov_b32 s9, 0
	v_mov_b32_e32 v11, 0
	s_lshl_b64 s[0:1], s[8:9], 3
	v_mov_b32_e32 v8, 0
	v_mov_b32_e32 v7, 0
	;; [unrolled: 1-line block ×3, first 2 shown]
	s_waitcnt lgkmcnt(0)
	s_add_u32 s14, s14, s0
	s_addc_u32 s15, s15, s1
	s_lshl_b32 s8, s6, 5
	s_load_dwordx2 s[14:15], s[14:15], 0x0
	s_lshl_b32 s22, s7, 5
	v_cmp_eq_f32_e64 s6, s21, 0
	s_cmp_lt_i32 s11, 1
	s_cselect_b32 s7, -1, 0
	s_or_b32 s6, s6, s7
	s_and_b32 vcc_lo, exec_lo, s6
	s_cbranch_vccnz .LBB304_10
; %bb.4:
	s_clause 0x2
	s_load_dword s6, s[4:5], 0x30
	s_load_dword s23, s[4:5], 0x18
	s_load_dwordx4 s[16:19], s[4:5], 0x20
	v_lshl_add_u32 v2, v1, 4, v0
	v_and_b32_e32 v9, 7, v0
	v_lshlrev_b32_e32 v14, 2, v0
	v_lshl_add_u32 v15, v1, 5, 0x400
	v_and_b32_e32 v3, 31, v2
	v_lshrrev_b32_e32 v4, 3, v2
	v_lshlrev_b32_e32 v5, 2, v9
	v_lshrrev_b32_e32 v10, 5, v2
	v_or_b32_e32 v6, s8, v3
	v_lshlrev_b32_e32 v7, 2, v3
	v_add_nc_u32_e32 v3, s8, v3
	v_add_nc_u32_e32 v2, s22, v4
	v_lshl_or_b32 v8, v4, 5, v5
	v_cmp_gt_i32_e32 vcc_lo, s10, v6
	v_lshl_or_b32 v12, v10, 7, v7
	s_waitcnt lgkmcnt(0)
	s_ashr_i32 s7, s6, 31
	v_mad_i64_i32 v[4:5], null, s23, v3, 0
	s_add_u32 s18, s18, s0
	s_addc_u32 s19, s19, s1
	v_mad_i64_i32 v[6:7], null, s6, v9, 0
	s_add_u32 s0, s2, s0
	s_addc_u32 s1, s3, s1
	s_load_dwordx2 s[2:3], s[18:19], 0x0
	s_load_dwordx2 s[18:19], s[0:1], 0x0
	v_lshlrev_b64 v[4:5], 2, v[4:5]
	v_add_nc_u32_e32 v13, 0x400, v8
	v_ashrrev_i32_e32 v3, 31, v2
	v_lshlrev_b64 v[7:8], 2, v[6:7]
	s_lshl_b64 s[16:17], s[16:17], 2
	v_lshlrev_b32_e32 v11, 2, v10
	v_add_co_u32 v4, s1, v4, s16
	s_lshl_b64 s[12:13], s[12:13], 2
	v_cmp_gt_i32_e64 s0, s10, v2
	v_lshlrev_b64 v[2:3], 2, v[2:3]
	v_add_co_ci_u32_e64 v5, null, s17, v5, s1
	v_add_co_u32 v7, s1, v7, s12
	v_add_co_ci_u32_e64 v8, null, s13, v8, s1
	v_add_co_u32 v4, s1, v4, v11
	;; [unrolled: 2-line block ×3, first 2 shown]
	v_add_co_ci_u32_e64 v8, null, v8, v3, s1
	s_waitcnt lgkmcnt(0)
	v_add_co_u32 v2, s1, s18, v4
	v_add_co_ci_u32_e64 v3, null, s19, v5, s1
	v_add_co_u32 v4, s1, s2, v7
	v_mov_b32_e32 v6, 0
	v_add_co_ci_u32_e64 v5, null, s3, v8, s1
	v_mov_b32_e32 v7, 0
	v_mov_b32_e32 v8, 0
	;; [unrolled: 1-line block ×3, first 2 shown]
	s_lshl_b64 s[2:3], s[6:7], 5
	s_branch .LBB304_6
.LBB304_5:                              ;   in Loop: Header=BB304_6 Depth=1
	s_or_b32 exec_lo, exec_lo, s1
	s_waitcnt vmcnt(0) lgkmcnt(0)
	ds_write_b32 v13, v17
	s_waitcnt lgkmcnt(0)
	s_barrier
	buffer_gl0_inv
	ds_read_b128 v[16:19], v15
	ds_read2_b32 v[32:33], v14 offset1:16
	ds_read_b128 v[20:23], v15 offset:512
	ds_read2_b32 v[34:35], v14 offset0:32 offset1:48
	ds_read2_b32 v[36:37], v14 offset0:64 offset1:80
	;; [unrolled: 1-line block ×3, first 2 shown]
	ds_read_b128 v[24:27], v15 offset:16
	ds_read2_b32 v[40:41], v14 offset0:128 offset1:144
	ds_read_b128 v[28:31], v15 offset:528
	v_add_co_u32 v2, s1, v2, 32
	v_add_co_ci_u32_e64 v3, null, 0, v3, s1
	v_add_co_u32 v4, s1, v4, s2
	v_add_co_ci_u32_e64 v5, null, s3, v5, s1
	s_add_i32 s9, s9, 8
	s_cmp_lt_i32 s9, s11
	s_waitcnt lgkmcnt(7)
	v_fmac_f32_e32 v11, v32, v16
	v_fmac_f32_e32 v8, v33, v16
	s_waitcnt lgkmcnt(6)
	v_fmac_f32_e32 v7, v32, v20
	v_fmac_f32_e32 v6, v33, v20
	ds_read2_b32 v[32:33], v14 offset0:160 offset1:176
	s_waitcnt lgkmcnt(6)
	v_fmac_f32_e32 v11, v34, v17
	v_fmac_f32_e32 v8, v35, v17
	v_fmac_f32_e32 v7, v34, v21
	v_fmac_f32_e32 v6, v35, v21
	ds_read2_b32 v[16:17], v14 offset0:192 offset1:208
	s_waitcnt lgkmcnt(6)
	v_fmac_f32_e32 v11, v36, v18
	v_fmac_f32_e32 v8, v37, v18
	;; [unrolled: 6-line block ×3, first 2 shown]
	v_fmac_f32_e32 v7, v38, v23
	v_fmac_f32_e32 v6, v39, v23
	s_waitcnt lgkmcnt(0)
	v_fmac_f32_e32 v11, v40, v24
	v_fmac_f32_e32 v8, v41, v24
	;; [unrolled: 1-line block ×4, first 2 shown]
	s_barrier
	v_fmac_f32_e32 v11, v32, v25
	v_fmac_f32_e32 v8, v33, v25
	;; [unrolled: 1-line block ×4, first 2 shown]
	buffer_gl0_inv
	v_fmac_f32_e32 v11, v16, v26
	v_fmac_f32_e32 v8, v17, v26
	;; [unrolled: 1-line block ×8, first 2 shown]
	s_cbranch_scc0 .LBB304_10
.LBB304_6:                              ; =>This Inner Loop Header: Depth=1
	v_add_nc_u32_e32 v16, s9, v10
	v_cmp_gt_i32_e64 s1, s11, v16
	v_mov_b32_e32 v16, 0
	s_and_b32 s6, vcc_lo, s1
	s_and_saveexec_b32 s1, s6
	s_cbranch_execz .LBB304_8
; %bb.7:                                ;   in Loop: Header=BB304_6 Depth=1
	flat_load_dword v16, v[2:3]
.LBB304_8:                              ;   in Loop: Header=BB304_6 Depth=1
	s_or_b32 exec_lo, exec_lo, s1
	v_add_nc_u32_e32 v17, s9, v9
	s_waitcnt vmcnt(0) lgkmcnt(0)
	ds_write_b32 v12, v16
	v_cmp_gt_i32_e64 s1, s11, v17
	v_mov_b32_e32 v17, 0
	s_and_b32 s6, s1, s0
	s_and_saveexec_b32 s1, s6
	s_cbranch_execz .LBB304_5
; %bb.9:                                ;   in Loop: Header=BB304_6 Depth=1
	flat_load_dword v17, v[4:5]
	s_branch .LBB304_5
.LBB304_10:
	s_clause 0x1
	s_load_dword s3, s[4:5], 0x50
	s_load_dwordx2 s[4:5], s[4:5], 0x58
	v_add_nc_u32_e32 v10, s22, v1
	v_add_nc_u32_e32 v0, s8, v0
	v_cmp_neq_f32_e64 s2, s20, 0
	v_cmp_le_i32_e32 vcc_lo, v10, v0
	v_cmp_gt_i32_e64 s0, s10, v0
	v_cndmask_b32_e64 v9, 0, 1, s2
	s_waitcnt lgkmcnt(0)
	v_mad_i64_i32 v[1:2], null, v10, s3, 0
	s_lshl_b64 s[4:5], s[4:5], 2
	s_add_u32 s4, s14, s4
	s_addc_u32 s5, s15, s5
	s_and_b32 s6, vcc_lo, s0
	v_lshlrev_b64 v[2:3], 2, v[1:2]
	v_ashrrev_i32_e32 v1, 31, v0
	v_add_co_u32 v4, s1, s4, v2
	v_add_co_ci_u32_e64 v5, null, s5, v3, s1
	s_and_saveexec_b32 s1, s6
	s_cbranch_execz .LBB304_14
; %bb.11:
	v_lshlrev_b64 v[2:3], 2, v[0:1]
	v_mul_f32_e32 v11, s21, v11
	v_add_co_u32 v2, vcc_lo, v4, v2
	v_add_co_ci_u32_e64 v3, null, v5, v3, vcc_lo
	s_andn2_b32 vcc_lo, exec_lo, s2
	s_cbranch_vccnz .LBB304_13
; %bb.12:
	flat_load_dword v12, v[2:3]
	s_waitcnt vmcnt(0) lgkmcnt(0)
	v_fmac_f32_e32 v11, s20, v12
.LBB304_13:
	flat_store_dword v[2:3], v11
.LBB304_14:
	s_or_b32 exec_lo, exec_lo, s1
	v_add_nc_u32_e32 v2, 16, v0
	v_cmp_le_i32_e32 vcc_lo, v10, v2
	v_cmp_gt_i32_e64 s1, s10, v2
	v_ashrrev_i32_e32 v3, 31, v2
	s_and_b32 s2, vcc_lo, s1
	s_and_saveexec_b32 s6, s2
	s_cbranch_execz .LBB304_18
; %bb.15:
	v_lshlrev_b64 v[11:12], 2, v[2:3]
	v_cmp_ne_u32_e32 vcc_lo, 1, v9
	v_mul_f32_e32 v8, s21, v8
	v_add_co_u32 v4, s2, v4, v11
	v_add_co_ci_u32_e64 v5, null, v5, v12, s2
	s_cbranch_vccnz .LBB304_17
; %bb.16:
	flat_load_dword v11, v[4:5]
	s_waitcnt vmcnt(0) lgkmcnt(0)
	v_fmac_f32_e32 v8, s20, v11
.LBB304_17:
	flat_store_dword v[4:5], v8
.LBB304_18:
	s_or_b32 exec_lo, exec_lo, s6
	v_add_nc_u32_e32 v8, 16, v10
	v_mad_i64_i32 v[4:5], null, v8, s3, 0
	v_cmp_le_i32_e32 vcc_lo, v8, v0
	s_and_b32 s0, vcc_lo, s0
	v_lshlrev_b64 v[4:5], 2, v[4:5]
	v_add_co_u32 v4, s2, s4, v4
	v_add_co_ci_u32_e64 v5, null, s5, v5, s2
	s_and_saveexec_b32 s2, s0
	s_cbranch_execz .LBB304_22
; %bb.19:
	v_lshlrev_b64 v[0:1], 2, v[0:1]
	v_cmp_ne_u32_e32 vcc_lo, 1, v9
	v_mul_f32_e32 v7, s21, v7
	v_add_co_u32 v0, s0, v4, v0
	v_add_co_ci_u32_e64 v1, null, v5, v1, s0
	s_cbranch_vccnz .LBB304_21
; %bb.20:
	flat_load_dword v10, v[0:1]
	s_waitcnt vmcnt(0) lgkmcnt(0)
	v_fmac_f32_e32 v7, s20, v10
.LBB304_21:
	flat_store_dword v[0:1], v7
.LBB304_22:
	s_or_b32 exec_lo, exec_lo, s2
	v_cmp_le_i32_e32 vcc_lo, v8, v2
	s_and_b32 s0, vcc_lo, s1
	s_and_saveexec_b32 s1, s0
	s_cbranch_execz .LBB304_26
; %bb.23:
	v_lshlrev_b64 v[0:1], 2, v[2:3]
	v_cmp_ne_u32_e32 vcc_lo, 1, v9
	v_mul_f32_e32 v2, s21, v6
	v_add_co_u32 v0, s0, v4, v0
	v_add_co_ci_u32_e64 v1, null, v5, v1, s0
	s_cbranch_vccnz .LBB304_25
; %bb.24:
	flat_load_dword v3, v[0:1]
	s_waitcnt vmcnt(0) lgkmcnt(0)
	v_fmac_f32_e32 v2, s20, v3
.LBB304_25:
	flat_store_dword v[0:1], v2
.LBB304_26:
	s_endpgm
	.section	.rodata,"a",@progbits
	.p2align	6, 0x0
	.amdhsa_kernel _ZL29rocblas_internal_gemmt_kernelIiLi16ELi32ELi8ELc67ELc84ELc76ELb0ELb0EfPKfPKS1_PKPfEviT_T9_T10_S7_lS9_S7_lS8_T11_S7_li
		.amdhsa_group_segment_fixed_size 2048
		.amdhsa_private_segment_fixed_size 0
		.amdhsa_kernarg_size 100
		.amdhsa_user_sgpr_count 6
		.amdhsa_user_sgpr_private_segment_buffer 1
		.amdhsa_user_sgpr_dispatch_ptr 0
		.amdhsa_user_sgpr_queue_ptr 0
		.amdhsa_user_sgpr_kernarg_segment_ptr 1
		.amdhsa_user_sgpr_dispatch_id 0
		.amdhsa_user_sgpr_flat_scratch_init 0
		.amdhsa_user_sgpr_private_segment_size 0
		.amdhsa_wavefront_size32 1
		.amdhsa_uses_dynamic_stack 0
		.amdhsa_system_sgpr_private_segment_wavefront_offset 0
		.amdhsa_system_sgpr_workgroup_id_x 1
		.amdhsa_system_sgpr_workgroup_id_y 1
		.amdhsa_system_sgpr_workgroup_id_z 1
		.amdhsa_system_sgpr_workgroup_info 0
		.amdhsa_system_vgpr_workitem_id 1
		.amdhsa_next_free_vgpr 42
		.amdhsa_next_free_sgpr 24
		.amdhsa_reserve_vcc 1
		.amdhsa_reserve_flat_scratch 0
		.amdhsa_float_round_mode_32 0
		.amdhsa_float_round_mode_16_64 0
		.amdhsa_float_denorm_mode_32 3
		.amdhsa_float_denorm_mode_16_64 3
		.amdhsa_dx10_clamp 1
		.amdhsa_ieee_mode 1
		.amdhsa_fp16_overflow 0
		.amdhsa_workgroup_processor_mode 1
		.amdhsa_memory_ordered 1
		.amdhsa_forward_progress 1
		.amdhsa_shared_vgpr_count 0
		.amdhsa_exception_fp_ieee_invalid_op 0
		.amdhsa_exception_fp_denorm_src 0
		.amdhsa_exception_fp_ieee_div_zero 0
		.amdhsa_exception_fp_ieee_overflow 0
		.amdhsa_exception_fp_ieee_underflow 0
		.amdhsa_exception_fp_ieee_inexact 0
		.amdhsa_exception_int_div_zero 0
	.end_amdhsa_kernel
	.section	.text._ZL29rocblas_internal_gemmt_kernelIiLi16ELi32ELi8ELc67ELc84ELc76ELb0ELb0EfPKfPKS1_PKPfEviT_T9_T10_S7_lS9_S7_lS8_T11_S7_li,"axG",@progbits,_ZL29rocblas_internal_gemmt_kernelIiLi16ELi32ELi8ELc67ELc84ELc76ELb0ELb0EfPKfPKS1_PKPfEviT_T9_T10_S7_lS9_S7_lS8_T11_S7_li,comdat
.Lfunc_end304:
	.size	_ZL29rocblas_internal_gemmt_kernelIiLi16ELi32ELi8ELc67ELc84ELc76ELb0ELb0EfPKfPKS1_PKPfEviT_T9_T10_S7_lS9_S7_lS8_T11_S7_li, .Lfunc_end304-_ZL29rocblas_internal_gemmt_kernelIiLi16ELi32ELi8ELc67ELc84ELc76ELb0ELb0EfPKfPKS1_PKPfEviT_T9_T10_S7_lS9_S7_lS8_T11_S7_li
                                        ; -- End function
	.set _ZL29rocblas_internal_gemmt_kernelIiLi16ELi32ELi8ELc67ELc84ELc76ELb0ELb0EfPKfPKS1_PKPfEviT_T9_T10_S7_lS9_S7_lS8_T11_S7_li.num_vgpr, 42
	.set _ZL29rocblas_internal_gemmt_kernelIiLi16ELi32ELi8ELc67ELc84ELc76ELb0ELb0EfPKfPKS1_PKPfEviT_T9_T10_S7_lS9_S7_lS8_T11_S7_li.num_agpr, 0
	.set _ZL29rocblas_internal_gemmt_kernelIiLi16ELi32ELi8ELc67ELc84ELc76ELb0ELb0EfPKfPKS1_PKPfEviT_T9_T10_S7_lS9_S7_lS8_T11_S7_li.numbered_sgpr, 24
	.set _ZL29rocblas_internal_gemmt_kernelIiLi16ELi32ELi8ELc67ELc84ELc76ELb0ELb0EfPKfPKS1_PKPfEviT_T9_T10_S7_lS9_S7_lS8_T11_S7_li.num_named_barrier, 0
	.set _ZL29rocblas_internal_gemmt_kernelIiLi16ELi32ELi8ELc67ELc84ELc76ELb0ELb0EfPKfPKS1_PKPfEviT_T9_T10_S7_lS9_S7_lS8_T11_S7_li.private_seg_size, 0
	.set _ZL29rocblas_internal_gemmt_kernelIiLi16ELi32ELi8ELc67ELc84ELc76ELb0ELb0EfPKfPKS1_PKPfEviT_T9_T10_S7_lS9_S7_lS8_T11_S7_li.uses_vcc, 1
	.set _ZL29rocblas_internal_gemmt_kernelIiLi16ELi32ELi8ELc67ELc84ELc76ELb0ELb0EfPKfPKS1_PKPfEviT_T9_T10_S7_lS9_S7_lS8_T11_S7_li.uses_flat_scratch, 0
	.set _ZL29rocblas_internal_gemmt_kernelIiLi16ELi32ELi8ELc67ELc84ELc76ELb0ELb0EfPKfPKS1_PKPfEviT_T9_T10_S7_lS9_S7_lS8_T11_S7_li.has_dyn_sized_stack, 0
	.set _ZL29rocblas_internal_gemmt_kernelIiLi16ELi32ELi8ELc67ELc84ELc76ELb0ELb0EfPKfPKS1_PKPfEviT_T9_T10_S7_lS9_S7_lS8_T11_S7_li.has_recursion, 0
	.set _ZL29rocblas_internal_gemmt_kernelIiLi16ELi32ELi8ELc67ELc84ELc76ELb0ELb0EfPKfPKS1_PKPfEviT_T9_T10_S7_lS9_S7_lS8_T11_S7_li.has_indirect_call, 0
	.section	.AMDGPU.csdata,"",@progbits
; Kernel info:
; codeLenInByte = 1432
; TotalNumSgprs: 26
; NumVgprs: 42
; ScratchSize: 0
; MemoryBound: 0
; FloatMode: 240
; IeeeMode: 1
; LDSByteSize: 2048 bytes/workgroup (compile time only)
; SGPRBlocks: 0
; VGPRBlocks: 5
; NumSGPRsForWavesPerEU: 26
; NumVGPRsForWavesPerEU: 42
; Occupancy: 16
; WaveLimiterHint : 1
; COMPUTE_PGM_RSRC2:SCRATCH_EN: 0
; COMPUTE_PGM_RSRC2:USER_SGPR: 6
; COMPUTE_PGM_RSRC2:TRAP_HANDLER: 0
; COMPUTE_PGM_RSRC2:TGID_X_EN: 1
; COMPUTE_PGM_RSRC2:TGID_Y_EN: 1
; COMPUTE_PGM_RSRC2:TGID_Z_EN: 1
; COMPUTE_PGM_RSRC2:TIDIG_COMP_CNT: 1
	.section	.text._ZL29rocblas_internal_gemmt_kernelIiLi16ELi32ELi8ELc67ELc67ELc76ELb0ELb0EfPKfPKS1_PKPfEviT_T9_T10_S7_lS9_S7_lS8_T11_S7_li,"axG",@progbits,_ZL29rocblas_internal_gemmt_kernelIiLi16ELi32ELi8ELc67ELc67ELc76ELb0ELb0EfPKfPKS1_PKPfEviT_T9_T10_S7_lS9_S7_lS8_T11_S7_li,comdat
	.globl	_ZL29rocblas_internal_gemmt_kernelIiLi16ELi32ELi8ELc67ELc67ELc76ELb0ELb0EfPKfPKS1_PKPfEviT_T9_T10_S7_lS9_S7_lS8_T11_S7_li ; -- Begin function _ZL29rocblas_internal_gemmt_kernelIiLi16ELi32ELi8ELc67ELc67ELc76ELb0ELb0EfPKfPKS1_PKPfEviT_T9_T10_S7_lS9_S7_lS8_T11_S7_li
	.p2align	8
	.type	_ZL29rocblas_internal_gemmt_kernelIiLi16ELi32ELi8ELc67ELc67ELc76ELb0ELb0EfPKfPKS1_PKPfEviT_T9_T10_S7_lS9_S7_lS8_T11_S7_li,@function
_ZL29rocblas_internal_gemmt_kernelIiLi16ELi32ELi8ELc67ELc67ELc76ELb0ELb0EfPKfPKS1_PKPfEviT_T9_T10_S7_lS9_S7_lS8_T11_S7_li: ; @_ZL29rocblas_internal_gemmt_kernelIiLi16ELi32ELi8ELc67ELc67ELc76ELb0ELb0EfPKfPKS1_PKPfEviT_T9_T10_S7_lS9_S7_lS8_T11_S7_li
; %bb.0:
	s_clause 0x1
	s_load_dwordx4 s[12:15], s[4:5], 0x38
	s_load_dwordx4 s[0:3], s[4:5], 0x8
	s_waitcnt lgkmcnt(0)
	s_load_dword s20, s[14:15], 0x0
	s_load_dwordx2 s[10:11], s[4:5], 0x0
	s_load_dword s21, s[0:1], 0x0
	s_waitcnt lgkmcnt(0)
	v_cmp_neq_f32_e64 s0, s20, 1.0
	s_and_b32 vcc_lo, exec_lo, s0
	s_cbranch_vccnz .LBB305_2
; %bb.1:
	v_cmp_neq_f32_e64 s0, s21, 0
	s_cmp_lg_u32 s11, 0
	s_cselect_b32 s1, -1, 0
	s_and_b32 s0, s1, s0
.LBB305_2:
	s_andn2_b32 vcc_lo, exec_lo, s0
	s_cbranch_vccnz .LBB305_26
; %bb.3:
	s_load_dwordx2 s[14:15], s[4:5], 0x48
	s_mov_b32 s9, 0
	v_mov_b32_e32 v11, 0
	s_lshl_b64 s[0:1], s[8:9], 3
	v_mov_b32_e32 v8, 0
	v_mov_b32_e32 v7, 0
	;; [unrolled: 1-line block ×3, first 2 shown]
	s_waitcnt lgkmcnt(0)
	s_add_u32 s14, s14, s0
	s_addc_u32 s15, s15, s1
	s_lshl_b32 s8, s6, 5
	s_load_dwordx2 s[14:15], s[14:15], 0x0
	s_lshl_b32 s22, s7, 5
	v_cmp_eq_f32_e64 s6, s21, 0
	s_cmp_lt_i32 s11, 1
	s_cselect_b32 s7, -1, 0
	s_or_b32 s6, s6, s7
	s_and_b32 vcc_lo, exec_lo, s6
	s_cbranch_vccnz .LBB305_10
; %bb.4:
	s_clause 0x2
	s_load_dword s6, s[4:5], 0x30
	s_load_dword s23, s[4:5], 0x18
	s_load_dwordx4 s[16:19], s[4:5], 0x20
	v_lshl_add_u32 v2, v1, 4, v0
	v_and_b32_e32 v9, 7, v0
	v_lshlrev_b32_e32 v14, 2, v0
	v_lshl_add_u32 v15, v1, 5, 0x400
	v_and_b32_e32 v3, 31, v2
	v_lshrrev_b32_e32 v4, 3, v2
	v_lshlrev_b32_e32 v5, 2, v9
	v_lshrrev_b32_e32 v10, 5, v2
	v_or_b32_e32 v6, s8, v3
	v_lshlrev_b32_e32 v7, 2, v3
	v_add_nc_u32_e32 v3, s8, v3
	v_add_nc_u32_e32 v2, s22, v4
	v_lshl_or_b32 v8, v4, 5, v5
	v_cmp_gt_i32_e32 vcc_lo, s10, v6
	v_lshl_or_b32 v12, v10, 7, v7
	s_waitcnt lgkmcnt(0)
	s_ashr_i32 s7, s6, 31
	v_mad_i64_i32 v[4:5], null, s23, v3, 0
	s_add_u32 s18, s18, s0
	s_addc_u32 s19, s19, s1
	v_mad_i64_i32 v[6:7], null, s6, v9, 0
	s_add_u32 s0, s2, s0
	s_addc_u32 s1, s3, s1
	s_load_dwordx2 s[2:3], s[18:19], 0x0
	s_load_dwordx2 s[18:19], s[0:1], 0x0
	v_lshlrev_b64 v[4:5], 2, v[4:5]
	v_add_nc_u32_e32 v13, 0x400, v8
	v_ashrrev_i32_e32 v3, 31, v2
	v_lshlrev_b64 v[7:8], 2, v[6:7]
	s_lshl_b64 s[16:17], s[16:17], 2
	v_lshlrev_b32_e32 v11, 2, v10
	v_add_co_u32 v4, s1, v4, s16
	s_lshl_b64 s[12:13], s[12:13], 2
	v_cmp_gt_i32_e64 s0, s10, v2
	v_lshlrev_b64 v[2:3], 2, v[2:3]
	v_add_co_ci_u32_e64 v5, null, s17, v5, s1
	v_add_co_u32 v7, s1, v7, s12
	v_add_co_ci_u32_e64 v8, null, s13, v8, s1
	v_add_co_u32 v4, s1, v4, v11
	;; [unrolled: 2-line block ×3, first 2 shown]
	v_add_co_ci_u32_e64 v8, null, v8, v3, s1
	s_waitcnt lgkmcnt(0)
	v_add_co_u32 v2, s1, s18, v4
	v_add_co_ci_u32_e64 v3, null, s19, v5, s1
	v_add_co_u32 v4, s1, s2, v7
	v_mov_b32_e32 v6, 0
	v_add_co_ci_u32_e64 v5, null, s3, v8, s1
	v_mov_b32_e32 v7, 0
	v_mov_b32_e32 v8, 0
	v_mov_b32_e32 v11, 0
	s_lshl_b64 s[2:3], s[6:7], 5
	s_branch .LBB305_6
.LBB305_5:                              ;   in Loop: Header=BB305_6 Depth=1
	s_or_b32 exec_lo, exec_lo, s1
	s_waitcnt vmcnt(0) lgkmcnt(0)
	ds_write_b32 v13, v17
	s_waitcnt lgkmcnt(0)
	s_barrier
	buffer_gl0_inv
	ds_read_b128 v[16:19], v15
	ds_read2_b32 v[32:33], v14 offset1:16
	ds_read_b128 v[20:23], v15 offset:512
	ds_read2_b32 v[34:35], v14 offset0:32 offset1:48
	ds_read2_b32 v[36:37], v14 offset0:64 offset1:80
	;; [unrolled: 1-line block ×3, first 2 shown]
	ds_read_b128 v[24:27], v15 offset:16
	ds_read2_b32 v[40:41], v14 offset0:128 offset1:144
	ds_read_b128 v[28:31], v15 offset:528
	v_add_co_u32 v2, s1, v2, 32
	v_add_co_ci_u32_e64 v3, null, 0, v3, s1
	v_add_co_u32 v4, s1, v4, s2
	v_add_co_ci_u32_e64 v5, null, s3, v5, s1
	s_add_i32 s9, s9, 8
	s_cmp_lt_i32 s9, s11
	s_waitcnt lgkmcnt(7)
	v_fmac_f32_e32 v11, v32, v16
	v_fmac_f32_e32 v8, v33, v16
	s_waitcnt lgkmcnt(6)
	v_fmac_f32_e32 v7, v32, v20
	v_fmac_f32_e32 v6, v33, v20
	ds_read2_b32 v[32:33], v14 offset0:160 offset1:176
	s_waitcnt lgkmcnt(6)
	v_fmac_f32_e32 v11, v34, v17
	v_fmac_f32_e32 v8, v35, v17
	v_fmac_f32_e32 v7, v34, v21
	v_fmac_f32_e32 v6, v35, v21
	ds_read2_b32 v[16:17], v14 offset0:192 offset1:208
	s_waitcnt lgkmcnt(6)
	v_fmac_f32_e32 v11, v36, v18
	v_fmac_f32_e32 v8, v37, v18
	v_fmac_f32_e32 v7, v36, v22
	v_fmac_f32_e32 v6, v37, v22
	ds_read2_b32 v[20:21], v14 offset0:224 offset1:240
	s_waitcnt lgkmcnt(6)
	v_fmac_f32_e32 v11, v38, v19
	v_fmac_f32_e32 v8, v39, v19
	v_fmac_f32_e32 v7, v38, v23
	v_fmac_f32_e32 v6, v39, v23
	s_waitcnt lgkmcnt(0)
	v_fmac_f32_e32 v11, v40, v24
	v_fmac_f32_e32 v8, v41, v24
	;; [unrolled: 1-line block ×4, first 2 shown]
	s_barrier
	v_fmac_f32_e32 v11, v32, v25
	v_fmac_f32_e32 v8, v33, v25
	;; [unrolled: 1-line block ×4, first 2 shown]
	buffer_gl0_inv
	v_fmac_f32_e32 v11, v16, v26
	v_fmac_f32_e32 v8, v17, v26
	;; [unrolled: 1-line block ×8, first 2 shown]
	s_cbranch_scc0 .LBB305_10
.LBB305_6:                              ; =>This Inner Loop Header: Depth=1
	v_add_nc_u32_e32 v16, s9, v10
	v_cmp_gt_i32_e64 s1, s11, v16
	v_mov_b32_e32 v16, 0
	s_and_b32 s6, vcc_lo, s1
	s_and_saveexec_b32 s1, s6
	s_cbranch_execz .LBB305_8
; %bb.7:                                ;   in Loop: Header=BB305_6 Depth=1
	flat_load_dword v16, v[2:3]
.LBB305_8:                              ;   in Loop: Header=BB305_6 Depth=1
	s_or_b32 exec_lo, exec_lo, s1
	v_add_nc_u32_e32 v17, s9, v9
	s_waitcnt vmcnt(0) lgkmcnt(0)
	ds_write_b32 v12, v16
	v_cmp_gt_i32_e64 s1, s11, v17
	v_mov_b32_e32 v17, 0
	s_and_b32 s6, s1, s0
	s_and_saveexec_b32 s1, s6
	s_cbranch_execz .LBB305_5
; %bb.9:                                ;   in Loop: Header=BB305_6 Depth=1
	flat_load_dword v17, v[4:5]
	s_branch .LBB305_5
.LBB305_10:
	s_clause 0x1
	s_load_dword s3, s[4:5], 0x50
	s_load_dwordx2 s[4:5], s[4:5], 0x58
	v_add_nc_u32_e32 v10, s22, v1
	v_add_nc_u32_e32 v0, s8, v0
	v_cmp_neq_f32_e64 s2, s20, 0
	v_cmp_le_i32_e32 vcc_lo, v10, v0
	v_cmp_gt_i32_e64 s0, s10, v0
	v_cndmask_b32_e64 v9, 0, 1, s2
	s_waitcnt lgkmcnt(0)
	v_mad_i64_i32 v[1:2], null, v10, s3, 0
	s_lshl_b64 s[4:5], s[4:5], 2
	s_add_u32 s4, s14, s4
	s_addc_u32 s5, s15, s5
	s_and_b32 s6, vcc_lo, s0
	v_lshlrev_b64 v[2:3], 2, v[1:2]
	v_ashrrev_i32_e32 v1, 31, v0
	v_add_co_u32 v4, s1, s4, v2
	v_add_co_ci_u32_e64 v5, null, s5, v3, s1
	s_and_saveexec_b32 s1, s6
	s_cbranch_execz .LBB305_14
; %bb.11:
	v_lshlrev_b64 v[2:3], 2, v[0:1]
	v_mul_f32_e32 v11, s21, v11
	v_add_co_u32 v2, vcc_lo, v4, v2
	v_add_co_ci_u32_e64 v3, null, v5, v3, vcc_lo
	s_andn2_b32 vcc_lo, exec_lo, s2
	s_cbranch_vccnz .LBB305_13
; %bb.12:
	flat_load_dword v12, v[2:3]
	s_waitcnt vmcnt(0) lgkmcnt(0)
	v_fmac_f32_e32 v11, s20, v12
.LBB305_13:
	flat_store_dword v[2:3], v11
.LBB305_14:
	s_or_b32 exec_lo, exec_lo, s1
	v_add_nc_u32_e32 v2, 16, v0
	v_cmp_le_i32_e32 vcc_lo, v10, v2
	v_cmp_gt_i32_e64 s1, s10, v2
	v_ashrrev_i32_e32 v3, 31, v2
	s_and_b32 s2, vcc_lo, s1
	s_and_saveexec_b32 s6, s2
	s_cbranch_execz .LBB305_18
; %bb.15:
	v_lshlrev_b64 v[11:12], 2, v[2:3]
	v_cmp_ne_u32_e32 vcc_lo, 1, v9
	v_mul_f32_e32 v8, s21, v8
	v_add_co_u32 v4, s2, v4, v11
	v_add_co_ci_u32_e64 v5, null, v5, v12, s2
	s_cbranch_vccnz .LBB305_17
; %bb.16:
	flat_load_dword v11, v[4:5]
	s_waitcnt vmcnt(0) lgkmcnt(0)
	v_fmac_f32_e32 v8, s20, v11
.LBB305_17:
	flat_store_dword v[4:5], v8
.LBB305_18:
	s_or_b32 exec_lo, exec_lo, s6
	v_add_nc_u32_e32 v8, 16, v10
	v_mad_i64_i32 v[4:5], null, v8, s3, 0
	v_cmp_le_i32_e32 vcc_lo, v8, v0
	s_and_b32 s0, vcc_lo, s0
	v_lshlrev_b64 v[4:5], 2, v[4:5]
	v_add_co_u32 v4, s2, s4, v4
	v_add_co_ci_u32_e64 v5, null, s5, v5, s2
	s_and_saveexec_b32 s2, s0
	s_cbranch_execz .LBB305_22
; %bb.19:
	v_lshlrev_b64 v[0:1], 2, v[0:1]
	v_cmp_ne_u32_e32 vcc_lo, 1, v9
	v_mul_f32_e32 v7, s21, v7
	v_add_co_u32 v0, s0, v4, v0
	v_add_co_ci_u32_e64 v1, null, v5, v1, s0
	s_cbranch_vccnz .LBB305_21
; %bb.20:
	flat_load_dword v10, v[0:1]
	s_waitcnt vmcnt(0) lgkmcnt(0)
	v_fmac_f32_e32 v7, s20, v10
.LBB305_21:
	flat_store_dword v[0:1], v7
.LBB305_22:
	s_or_b32 exec_lo, exec_lo, s2
	v_cmp_le_i32_e32 vcc_lo, v8, v2
	s_and_b32 s0, vcc_lo, s1
	s_and_saveexec_b32 s1, s0
	s_cbranch_execz .LBB305_26
; %bb.23:
	v_lshlrev_b64 v[0:1], 2, v[2:3]
	v_cmp_ne_u32_e32 vcc_lo, 1, v9
	v_mul_f32_e32 v2, s21, v6
	v_add_co_u32 v0, s0, v4, v0
	v_add_co_ci_u32_e64 v1, null, v5, v1, s0
	s_cbranch_vccnz .LBB305_25
; %bb.24:
	flat_load_dword v3, v[0:1]
	s_waitcnt vmcnt(0) lgkmcnt(0)
	v_fmac_f32_e32 v2, s20, v3
.LBB305_25:
	flat_store_dword v[0:1], v2
.LBB305_26:
	s_endpgm
	.section	.rodata,"a",@progbits
	.p2align	6, 0x0
	.amdhsa_kernel _ZL29rocblas_internal_gemmt_kernelIiLi16ELi32ELi8ELc67ELc67ELc76ELb0ELb0EfPKfPKS1_PKPfEviT_T9_T10_S7_lS9_S7_lS8_T11_S7_li
		.amdhsa_group_segment_fixed_size 2048
		.amdhsa_private_segment_fixed_size 0
		.amdhsa_kernarg_size 100
		.amdhsa_user_sgpr_count 6
		.amdhsa_user_sgpr_private_segment_buffer 1
		.amdhsa_user_sgpr_dispatch_ptr 0
		.amdhsa_user_sgpr_queue_ptr 0
		.amdhsa_user_sgpr_kernarg_segment_ptr 1
		.amdhsa_user_sgpr_dispatch_id 0
		.amdhsa_user_sgpr_flat_scratch_init 0
		.amdhsa_user_sgpr_private_segment_size 0
		.amdhsa_wavefront_size32 1
		.amdhsa_uses_dynamic_stack 0
		.amdhsa_system_sgpr_private_segment_wavefront_offset 0
		.amdhsa_system_sgpr_workgroup_id_x 1
		.amdhsa_system_sgpr_workgroup_id_y 1
		.amdhsa_system_sgpr_workgroup_id_z 1
		.amdhsa_system_sgpr_workgroup_info 0
		.amdhsa_system_vgpr_workitem_id 1
		.amdhsa_next_free_vgpr 42
		.amdhsa_next_free_sgpr 24
		.amdhsa_reserve_vcc 1
		.amdhsa_reserve_flat_scratch 0
		.amdhsa_float_round_mode_32 0
		.amdhsa_float_round_mode_16_64 0
		.amdhsa_float_denorm_mode_32 3
		.amdhsa_float_denorm_mode_16_64 3
		.amdhsa_dx10_clamp 1
		.amdhsa_ieee_mode 1
		.amdhsa_fp16_overflow 0
		.amdhsa_workgroup_processor_mode 1
		.amdhsa_memory_ordered 1
		.amdhsa_forward_progress 1
		.amdhsa_shared_vgpr_count 0
		.amdhsa_exception_fp_ieee_invalid_op 0
		.amdhsa_exception_fp_denorm_src 0
		.amdhsa_exception_fp_ieee_div_zero 0
		.amdhsa_exception_fp_ieee_overflow 0
		.amdhsa_exception_fp_ieee_underflow 0
		.amdhsa_exception_fp_ieee_inexact 0
		.amdhsa_exception_int_div_zero 0
	.end_amdhsa_kernel
	.section	.text._ZL29rocblas_internal_gemmt_kernelIiLi16ELi32ELi8ELc67ELc67ELc76ELb0ELb0EfPKfPKS1_PKPfEviT_T9_T10_S7_lS9_S7_lS8_T11_S7_li,"axG",@progbits,_ZL29rocblas_internal_gemmt_kernelIiLi16ELi32ELi8ELc67ELc67ELc76ELb0ELb0EfPKfPKS1_PKPfEviT_T9_T10_S7_lS9_S7_lS8_T11_S7_li,comdat
.Lfunc_end305:
	.size	_ZL29rocblas_internal_gemmt_kernelIiLi16ELi32ELi8ELc67ELc67ELc76ELb0ELb0EfPKfPKS1_PKPfEviT_T9_T10_S7_lS9_S7_lS8_T11_S7_li, .Lfunc_end305-_ZL29rocblas_internal_gemmt_kernelIiLi16ELi32ELi8ELc67ELc67ELc76ELb0ELb0EfPKfPKS1_PKPfEviT_T9_T10_S7_lS9_S7_lS8_T11_S7_li
                                        ; -- End function
	.set _ZL29rocblas_internal_gemmt_kernelIiLi16ELi32ELi8ELc67ELc67ELc76ELb0ELb0EfPKfPKS1_PKPfEviT_T9_T10_S7_lS9_S7_lS8_T11_S7_li.num_vgpr, 42
	.set _ZL29rocblas_internal_gemmt_kernelIiLi16ELi32ELi8ELc67ELc67ELc76ELb0ELb0EfPKfPKS1_PKPfEviT_T9_T10_S7_lS9_S7_lS8_T11_S7_li.num_agpr, 0
	.set _ZL29rocblas_internal_gemmt_kernelIiLi16ELi32ELi8ELc67ELc67ELc76ELb0ELb0EfPKfPKS1_PKPfEviT_T9_T10_S7_lS9_S7_lS8_T11_S7_li.numbered_sgpr, 24
	.set _ZL29rocblas_internal_gemmt_kernelIiLi16ELi32ELi8ELc67ELc67ELc76ELb0ELb0EfPKfPKS1_PKPfEviT_T9_T10_S7_lS9_S7_lS8_T11_S7_li.num_named_barrier, 0
	.set _ZL29rocblas_internal_gemmt_kernelIiLi16ELi32ELi8ELc67ELc67ELc76ELb0ELb0EfPKfPKS1_PKPfEviT_T9_T10_S7_lS9_S7_lS8_T11_S7_li.private_seg_size, 0
	.set _ZL29rocblas_internal_gemmt_kernelIiLi16ELi32ELi8ELc67ELc67ELc76ELb0ELb0EfPKfPKS1_PKPfEviT_T9_T10_S7_lS9_S7_lS8_T11_S7_li.uses_vcc, 1
	.set _ZL29rocblas_internal_gemmt_kernelIiLi16ELi32ELi8ELc67ELc67ELc76ELb0ELb0EfPKfPKS1_PKPfEviT_T9_T10_S7_lS9_S7_lS8_T11_S7_li.uses_flat_scratch, 0
	.set _ZL29rocblas_internal_gemmt_kernelIiLi16ELi32ELi8ELc67ELc67ELc76ELb0ELb0EfPKfPKS1_PKPfEviT_T9_T10_S7_lS9_S7_lS8_T11_S7_li.has_dyn_sized_stack, 0
	.set _ZL29rocblas_internal_gemmt_kernelIiLi16ELi32ELi8ELc67ELc67ELc76ELb0ELb0EfPKfPKS1_PKPfEviT_T9_T10_S7_lS9_S7_lS8_T11_S7_li.has_recursion, 0
	.set _ZL29rocblas_internal_gemmt_kernelIiLi16ELi32ELi8ELc67ELc67ELc76ELb0ELb0EfPKfPKS1_PKPfEviT_T9_T10_S7_lS9_S7_lS8_T11_S7_li.has_indirect_call, 0
	.section	.AMDGPU.csdata,"",@progbits
; Kernel info:
; codeLenInByte = 1432
; TotalNumSgprs: 26
; NumVgprs: 42
; ScratchSize: 0
; MemoryBound: 0
; FloatMode: 240
; IeeeMode: 1
; LDSByteSize: 2048 bytes/workgroup (compile time only)
; SGPRBlocks: 0
; VGPRBlocks: 5
; NumSGPRsForWavesPerEU: 26
; NumVGPRsForWavesPerEU: 42
; Occupancy: 16
; WaveLimiterHint : 1
; COMPUTE_PGM_RSRC2:SCRATCH_EN: 0
; COMPUTE_PGM_RSRC2:USER_SGPR: 6
; COMPUTE_PGM_RSRC2:TRAP_HANDLER: 0
; COMPUTE_PGM_RSRC2:TGID_X_EN: 1
; COMPUTE_PGM_RSRC2:TGID_Y_EN: 1
; COMPUTE_PGM_RSRC2:TGID_Z_EN: 1
; COMPUTE_PGM_RSRC2:TIDIG_COMP_CNT: 1
	.section	.text._ZL29rocblas_internal_gemmt_kernelIiLi16ELi32ELi8ELc78ELc78ELc85ELb0ELb0EffPKPKfPKPfEviT_T9_T10_S7_lS9_S7_lS8_T11_S7_li,"axG",@progbits,_ZL29rocblas_internal_gemmt_kernelIiLi16ELi32ELi8ELc78ELc78ELc85ELb0ELb0EffPKPKfPKPfEviT_T9_T10_S7_lS9_S7_lS8_T11_S7_li,comdat
	.globl	_ZL29rocblas_internal_gemmt_kernelIiLi16ELi32ELi8ELc78ELc78ELc85ELb0ELb0EffPKPKfPKPfEviT_T9_T10_S7_lS9_S7_lS8_T11_S7_li ; -- Begin function _ZL29rocblas_internal_gemmt_kernelIiLi16ELi32ELi8ELc78ELc78ELc85ELb0ELb0EffPKPKfPKPfEviT_T9_T10_S7_lS9_S7_lS8_T11_S7_li
	.p2align	8
	.type	_ZL29rocblas_internal_gemmt_kernelIiLi16ELi32ELi8ELc78ELc78ELc85ELb0ELb0EffPKPKfPKPfEviT_T9_T10_S7_lS9_S7_lS8_T11_S7_li,@function
_ZL29rocblas_internal_gemmt_kernelIiLi16ELi32ELi8ELc78ELc78ELc85ELb0ELb0EffPKPKfPKPfEviT_T9_T10_S7_lS9_S7_lS8_T11_S7_li: ; @_ZL29rocblas_internal_gemmt_kernelIiLi16ELi32ELi8ELc78ELc78ELc85ELb0ELb0EffPKPKfPKPfEviT_T9_T10_S7_lS9_S7_lS8_T11_S7_li
; %bb.0:
	s_clause 0x1
	s_load_dword s10, s[4:5], 0x40
	s_load_dwordx4 s[12:15], s[4:5], 0x0
	s_waitcnt lgkmcnt(0)
	v_cmp_neq_f32_e64 s0, s10, 1.0
	s_and_b32 vcc_lo, exec_lo, s0
	s_cbranch_vccnz .LBB306_2
; %bb.1:
	v_cmp_neq_f32_e64 s0, s14, 0
	s_cmp_lg_u32 s13, 0
	s_cselect_b32 s1, -1, 0
	s_and_b32 s0, s1, s0
.LBB306_2:
	s_andn2_b32 vcc_lo, exec_lo, s0
	s_cbranch_vccnz .LBB306_26
; %bb.3:
	s_load_dwordx2 s[2:3], s[4:5], 0x48
	s_mov_b32 s9, 0
	v_mov_b32_e32 v11, 0
	s_lshl_b64 s[0:1], s[8:9], 3
	v_mov_b32_e32 v8, 0
	v_mov_b32_e32 v7, 0
	v_mov_b32_e32 v6, 0
	s_waitcnt lgkmcnt(0)
	s_add_u32 s2, s2, s0
	s_addc_u32 s3, s3, s1
	s_lshl_b32 s8, s6, 5
	s_load_dwordx2 s[2:3], s[2:3], 0x0
	s_lshl_b32 s11, s7, 5
	v_cmp_eq_f32_e64 s6, s14, 0
	s_cmp_lt_i32 s13, 1
	s_cselect_b32 s7, -1, 0
	s_or_b32 s6, s6, s7
	s_and_b32 vcc_lo, exec_lo, s6
	s_cbranch_vccnz .LBB306_10
; %bb.4:
	s_clause 0x4
	s_load_dword s6, s[4:5], 0x18
	s_load_dword s15, s[4:5], 0x30
	s_load_dwordx2 s[22:23], s[4:5], 0x38
	s_load_dwordx4 s[16:19], s[4:5], 0x20
	s_load_dwordx2 s[20:21], s[4:5], 0x10
	v_lshl_add_u32 v2, v1, 4, v0
	v_and_b32_e32 v9, 7, v0
	v_lshlrev_b32_e32 v14, 2, v0
	v_lshl_add_u32 v15, v1, 5, 0x400
	v_and_b32_e32 v3, 31, v2
	v_lshrrev_b32_e32 v4, 3, v2
	v_lshlrev_b32_e32 v8, 2, v9
	v_lshrrev_b32_e32 v10, 5, v2
	v_or_b32_e32 v5, s8, v3
	v_lshlrev_b32_e32 v6, 2, v3
	v_add_nc_u32_e32 v7, s11, v4
	v_lshl_or_b32 v11, v4, 5, v8
	v_add_nc_u32_e32 v2, s8, v3
	v_cmp_gt_i32_e32 vcc_lo, s12, v5
	s_waitcnt lgkmcnt(0)
	s_ashr_i32 s7, s6, 31
	v_mad_i64_i32 v[3:4], null, v10, s6, 0
	s_add_u32 s18, s18, s0
	s_addc_u32 s19, s19, s1
	s_add_u32 s0, s20, s0
	s_addc_u32 s1, s21, s1
	s_load_dwordx2 s[18:19], s[18:19], 0x0
	s_load_dwordx2 s[20:21], s[0:1], 0x0
	v_lshl_or_b32 v12, v10, 7, v6
	v_cmp_gt_i32_e64 s0, s12, v7
	v_lshlrev_b64 v[4:5], 2, v[3:4]
	v_mad_i64_i32 v[6:7], null, s15, v7, 0
	v_ashrrev_i32_e32 v3, 31, v2
	s_lshl_b64 s[16:17], s[16:17], 2
	v_add_nc_u32_e32 v13, 0x400, v11
	v_add_co_u32 v11, s1, v4, s16
	v_lshlrev_b64 v[2:3], 2, v[2:3]
	v_add_co_ci_u32_e64 v16, null, s17, v5, s1
	v_lshlrev_b64 v[4:5], 2, v[6:7]
	s_lshl_b64 s[16:17], s[22:23], 2
	v_mov_b32_e32 v6, 0
	v_add_co_u32 v2, s1, v11, v2
	v_add_co_ci_u32_e64 v3, null, v16, v3, s1
	v_add_co_u32 v4, s1, v4, s16
	v_add_co_ci_u32_e64 v5, null, s17, v5, s1
	s_waitcnt lgkmcnt(0)
	v_add_co_u32 v2, s1, s20, v2
	v_add_co_ci_u32_e64 v3, null, s21, v3, s1
	v_add_co_u32 v4, s1, v4, v8
	v_add_co_ci_u32_e64 v5, null, 0, v5, s1
	v_mov_b32_e32 v7, 0
	v_add_co_u32 v4, s1, s18, v4
	v_add_co_ci_u32_e64 v5, null, s19, v5, s1
	v_mov_b32_e32 v8, 0
	v_mov_b32_e32 v11, 0
	s_lshl_b64 s[6:7], s[6:7], 5
	s_branch .LBB306_6
.LBB306_5:                              ;   in Loop: Header=BB306_6 Depth=1
	s_or_b32 exec_lo, exec_lo, s1
	s_waitcnt vmcnt(0) lgkmcnt(0)
	ds_write_b32 v13, v17
	s_waitcnt lgkmcnt(0)
	s_barrier
	buffer_gl0_inv
	ds_read_b128 v[16:19], v15
	ds_read2_b32 v[32:33], v14 offset1:16
	ds_read_b128 v[20:23], v15 offset:512
	ds_read2_b32 v[34:35], v14 offset0:32 offset1:48
	ds_read2_b32 v[36:37], v14 offset0:64 offset1:80
	;; [unrolled: 1-line block ×3, first 2 shown]
	ds_read_b128 v[24:27], v15 offset:16
	ds_read2_b32 v[40:41], v14 offset0:128 offset1:144
	ds_read_b128 v[28:31], v15 offset:528
	v_add_co_u32 v2, s1, v2, s6
	v_add_co_ci_u32_e64 v3, null, s7, v3, s1
	v_add_co_u32 v4, s1, v4, 32
	v_add_co_ci_u32_e64 v5, null, 0, v5, s1
	s_add_i32 s9, s9, 8
	s_cmp_lt_i32 s9, s13
	s_waitcnt lgkmcnt(7)
	v_fmac_f32_e32 v11, v32, v16
	v_fmac_f32_e32 v8, v33, v16
	s_waitcnt lgkmcnt(6)
	v_fmac_f32_e32 v7, v32, v20
	v_fmac_f32_e32 v6, v33, v20
	ds_read2_b32 v[32:33], v14 offset0:160 offset1:176
	s_waitcnt lgkmcnt(6)
	v_fmac_f32_e32 v11, v34, v17
	v_fmac_f32_e32 v8, v35, v17
	v_fmac_f32_e32 v7, v34, v21
	v_fmac_f32_e32 v6, v35, v21
	ds_read2_b32 v[16:17], v14 offset0:192 offset1:208
	s_waitcnt lgkmcnt(6)
	v_fmac_f32_e32 v11, v36, v18
	v_fmac_f32_e32 v8, v37, v18
	;; [unrolled: 6-line block ×3, first 2 shown]
	v_fmac_f32_e32 v7, v38, v23
	v_fmac_f32_e32 v6, v39, v23
	s_waitcnt lgkmcnt(0)
	v_fmac_f32_e32 v11, v40, v24
	v_fmac_f32_e32 v8, v41, v24
	;; [unrolled: 1-line block ×4, first 2 shown]
	s_barrier
	v_fmac_f32_e32 v11, v32, v25
	v_fmac_f32_e32 v8, v33, v25
	;; [unrolled: 1-line block ×4, first 2 shown]
	buffer_gl0_inv
	v_fmac_f32_e32 v11, v16, v26
	v_fmac_f32_e32 v8, v17, v26
	;; [unrolled: 1-line block ×8, first 2 shown]
	s_cbranch_scc0 .LBB306_10
.LBB306_6:                              ; =>This Inner Loop Header: Depth=1
	v_add_nc_u32_e32 v16, s9, v10
	v_cmp_gt_i32_e64 s1, s13, v16
	v_mov_b32_e32 v16, 0
	s_and_b32 s15, vcc_lo, s1
	s_and_saveexec_b32 s1, s15
	s_cbranch_execz .LBB306_8
; %bb.7:                                ;   in Loop: Header=BB306_6 Depth=1
	flat_load_dword v16, v[2:3]
.LBB306_8:                              ;   in Loop: Header=BB306_6 Depth=1
	s_or_b32 exec_lo, exec_lo, s1
	v_add_nc_u32_e32 v17, s9, v9
	s_waitcnt vmcnt(0) lgkmcnt(0)
	ds_write_b32 v12, v16
	v_cmp_gt_i32_e64 s1, s13, v17
	v_mov_b32_e32 v17, 0
	s_and_b32 s15, s1, s0
	s_and_saveexec_b32 s1, s15
	s_cbranch_execz .LBB306_5
; %bb.9:                                ;   in Loop: Header=BB306_6 Depth=1
	flat_load_dword v17, v[4:5]
	s_branch .LBB306_5
.LBB306_10:
	s_clause 0x1
	s_load_dword s6, s[4:5], 0x50
	s_load_dwordx2 s[4:5], s[4:5], 0x58
	v_add_nc_u32_e32 v10, s11, v1
	v_add_nc_u32_e32 v0, s8, v0
	v_cmp_gt_i32_e64 s0, s12, v10
	v_cmp_le_i32_e32 vcc_lo, v0, v10
	s_waitcnt lgkmcnt(0)
	v_mad_i64_i32 v[1:2], null, v10, s6, 0
	s_lshl_b64 s[4:5], s[4:5], 2
	s_add_u32 s2, s2, s4
	v_cmp_neq_f32_e64 s4, s10, 0
	s_addc_u32 s3, s3, s5
	s_and_b32 s5, s0, vcc_lo
	v_lshlrev_b64 v[2:3], 2, v[1:2]
	v_ashrrev_i32_e32 v1, 31, v0
	v_cndmask_b32_e64 v9, 0, 1, s4
	v_add_co_u32 v4, s1, s2, v2
	v_add_co_ci_u32_e64 v5, null, s3, v3, s1
	s_and_saveexec_b32 s1, s5
	s_cbranch_execz .LBB306_14
; %bb.11:
	v_lshlrev_b64 v[2:3], 2, v[0:1]
	v_mul_f32_e32 v11, s14, v11
	v_add_co_u32 v2, vcc_lo, v4, v2
	v_add_co_ci_u32_e64 v3, null, v5, v3, vcc_lo
	s_andn2_b32 vcc_lo, exec_lo, s4
	s_cbranch_vccnz .LBB306_13
; %bb.12:
	flat_load_dword v12, v[2:3]
	s_waitcnt vmcnt(0) lgkmcnt(0)
	v_fmac_f32_e32 v11, s10, v12
.LBB306_13:
	flat_store_dword v[2:3], v11
.LBB306_14:
	s_or_b32 exec_lo, exec_lo, s1
	v_add_nc_u32_e32 v2, 16, v0
	v_cmp_le_i32_e32 vcc_lo, v2, v10
	v_ashrrev_i32_e32 v3, 31, v2
	s_and_b32 s0, s0, vcc_lo
	s_and_saveexec_b32 s1, s0
	s_cbranch_execz .LBB306_18
; %bb.15:
	v_lshlrev_b64 v[11:12], 2, v[2:3]
	v_cmp_ne_u32_e32 vcc_lo, 1, v9
	v_mul_f32_e32 v8, s14, v8
	v_add_co_u32 v4, s0, v4, v11
	v_add_co_ci_u32_e64 v5, null, v5, v12, s0
	s_cbranch_vccnz .LBB306_17
; %bb.16:
	flat_load_dword v11, v[4:5]
	s_waitcnt vmcnt(0) lgkmcnt(0)
	v_fmac_f32_e32 v8, s10, v11
.LBB306_17:
	flat_store_dword v[4:5], v8
.LBB306_18:
	s_or_b32 exec_lo, exec_lo, s1
	v_add_nc_u32_e32 v8, 16, v10
	v_mad_i64_i32 v[4:5], null, v8, s6, 0
	v_cmp_gt_i32_e64 s0, s12, v8
	v_cmp_le_i32_e32 vcc_lo, v0, v8
	v_lshlrev_b64 v[4:5], 2, v[4:5]
	v_add_co_u32 v4, s1, s2, v4
	v_add_co_ci_u32_e64 v5, null, s3, v5, s1
	s_and_b32 s1, s0, vcc_lo
	s_and_saveexec_b32 s2, s1
	s_cbranch_execz .LBB306_22
; %bb.19:
	v_lshlrev_b64 v[0:1], 2, v[0:1]
	v_cmp_ne_u32_e32 vcc_lo, 1, v9
	v_mul_f32_e32 v7, s14, v7
	v_add_co_u32 v0, s1, v4, v0
	v_add_co_ci_u32_e64 v1, null, v5, v1, s1
	s_cbranch_vccnz .LBB306_21
; %bb.20:
	flat_load_dword v10, v[0:1]
	s_waitcnt vmcnt(0) lgkmcnt(0)
	v_fmac_f32_e32 v7, s10, v10
.LBB306_21:
	flat_store_dword v[0:1], v7
.LBB306_22:
	s_or_b32 exec_lo, exec_lo, s2
	v_cmp_le_i32_e32 vcc_lo, v2, v8
	s_and_b32 s0, s0, vcc_lo
	s_and_saveexec_b32 s1, s0
	s_cbranch_execz .LBB306_26
; %bb.23:
	v_lshlrev_b64 v[0:1], 2, v[2:3]
	v_cmp_ne_u32_e32 vcc_lo, 1, v9
	v_mul_f32_e32 v2, s14, v6
	v_add_co_u32 v0, s0, v4, v0
	v_add_co_ci_u32_e64 v1, null, v5, v1, s0
	s_cbranch_vccnz .LBB306_25
; %bb.24:
	flat_load_dword v3, v[0:1]
	s_waitcnt vmcnt(0) lgkmcnt(0)
	v_fmac_f32_e32 v2, s10, v3
.LBB306_25:
	flat_store_dword v[0:1], v2
.LBB306_26:
	s_endpgm
	.section	.rodata,"a",@progbits
	.p2align	6, 0x0
	.amdhsa_kernel _ZL29rocblas_internal_gemmt_kernelIiLi16ELi32ELi8ELc78ELc78ELc85ELb0ELb0EffPKPKfPKPfEviT_T9_T10_S7_lS9_S7_lS8_T11_S7_li
		.amdhsa_group_segment_fixed_size 2048
		.amdhsa_private_segment_fixed_size 0
		.amdhsa_kernarg_size 100
		.amdhsa_user_sgpr_count 6
		.amdhsa_user_sgpr_private_segment_buffer 1
		.amdhsa_user_sgpr_dispatch_ptr 0
		.amdhsa_user_sgpr_queue_ptr 0
		.amdhsa_user_sgpr_kernarg_segment_ptr 1
		.amdhsa_user_sgpr_dispatch_id 0
		.amdhsa_user_sgpr_flat_scratch_init 0
		.amdhsa_user_sgpr_private_segment_size 0
		.amdhsa_wavefront_size32 1
		.amdhsa_uses_dynamic_stack 0
		.amdhsa_system_sgpr_private_segment_wavefront_offset 0
		.amdhsa_system_sgpr_workgroup_id_x 1
		.amdhsa_system_sgpr_workgroup_id_y 1
		.amdhsa_system_sgpr_workgroup_id_z 1
		.amdhsa_system_sgpr_workgroup_info 0
		.amdhsa_system_vgpr_workitem_id 1
		.amdhsa_next_free_vgpr 42
		.amdhsa_next_free_sgpr 24
		.amdhsa_reserve_vcc 1
		.amdhsa_reserve_flat_scratch 0
		.amdhsa_float_round_mode_32 0
		.amdhsa_float_round_mode_16_64 0
		.amdhsa_float_denorm_mode_32 3
		.amdhsa_float_denorm_mode_16_64 3
		.amdhsa_dx10_clamp 1
		.amdhsa_ieee_mode 1
		.amdhsa_fp16_overflow 0
		.amdhsa_workgroup_processor_mode 1
		.amdhsa_memory_ordered 1
		.amdhsa_forward_progress 1
		.amdhsa_shared_vgpr_count 0
		.amdhsa_exception_fp_ieee_invalid_op 0
		.amdhsa_exception_fp_denorm_src 0
		.amdhsa_exception_fp_ieee_div_zero 0
		.amdhsa_exception_fp_ieee_overflow 0
		.amdhsa_exception_fp_ieee_underflow 0
		.amdhsa_exception_fp_ieee_inexact 0
		.amdhsa_exception_int_div_zero 0
	.end_amdhsa_kernel
	.section	.text._ZL29rocblas_internal_gemmt_kernelIiLi16ELi32ELi8ELc78ELc78ELc85ELb0ELb0EffPKPKfPKPfEviT_T9_T10_S7_lS9_S7_lS8_T11_S7_li,"axG",@progbits,_ZL29rocblas_internal_gemmt_kernelIiLi16ELi32ELi8ELc78ELc78ELc85ELb0ELb0EffPKPKfPKPfEviT_T9_T10_S7_lS9_S7_lS8_T11_S7_li,comdat
.Lfunc_end306:
	.size	_ZL29rocblas_internal_gemmt_kernelIiLi16ELi32ELi8ELc78ELc78ELc85ELb0ELb0EffPKPKfPKPfEviT_T9_T10_S7_lS9_S7_lS8_T11_S7_li, .Lfunc_end306-_ZL29rocblas_internal_gemmt_kernelIiLi16ELi32ELi8ELc78ELc78ELc85ELb0ELb0EffPKPKfPKPfEviT_T9_T10_S7_lS9_S7_lS8_T11_S7_li
                                        ; -- End function
	.set _ZL29rocblas_internal_gemmt_kernelIiLi16ELi32ELi8ELc78ELc78ELc85ELb0ELb0EffPKPKfPKPfEviT_T9_T10_S7_lS9_S7_lS8_T11_S7_li.num_vgpr, 42
	.set _ZL29rocblas_internal_gemmt_kernelIiLi16ELi32ELi8ELc78ELc78ELc85ELb0ELb0EffPKPKfPKPfEviT_T9_T10_S7_lS9_S7_lS8_T11_S7_li.num_agpr, 0
	.set _ZL29rocblas_internal_gemmt_kernelIiLi16ELi32ELi8ELc78ELc78ELc85ELb0ELb0EffPKPKfPKPfEviT_T9_T10_S7_lS9_S7_lS8_T11_S7_li.numbered_sgpr, 24
	.set _ZL29rocblas_internal_gemmt_kernelIiLi16ELi32ELi8ELc78ELc78ELc85ELb0ELb0EffPKPKfPKPfEviT_T9_T10_S7_lS9_S7_lS8_T11_S7_li.num_named_barrier, 0
	.set _ZL29rocblas_internal_gemmt_kernelIiLi16ELi32ELi8ELc78ELc78ELc85ELb0ELb0EffPKPKfPKPfEviT_T9_T10_S7_lS9_S7_lS8_T11_S7_li.private_seg_size, 0
	.set _ZL29rocblas_internal_gemmt_kernelIiLi16ELi32ELi8ELc78ELc78ELc85ELb0ELb0EffPKPKfPKPfEviT_T9_T10_S7_lS9_S7_lS8_T11_S7_li.uses_vcc, 1
	.set _ZL29rocblas_internal_gemmt_kernelIiLi16ELi32ELi8ELc78ELc78ELc85ELb0ELb0EffPKPKfPKPfEviT_T9_T10_S7_lS9_S7_lS8_T11_S7_li.uses_flat_scratch, 0
	.set _ZL29rocblas_internal_gemmt_kernelIiLi16ELi32ELi8ELc78ELc78ELc85ELb0ELb0EffPKPKfPKPfEviT_T9_T10_S7_lS9_S7_lS8_T11_S7_li.has_dyn_sized_stack, 0
	.set _ZL29rocblas_internal_gemmt_kernelIiLi16ELi32ELi8ELc78ELc78ELc85ELb0ELb0EffPKPKfPKPfEviT_T9_T10_S7_lS9_S7_lS8_T11_S7_li.has_recursion, 0
	.set _ZL29rocblas_internal_gemmt_kernelIiLi16ELi32ELi8ELc78ELc78ELc85ELb0ELb0EffPKPKfPKPfEviT_T9_T10_S7_lS9_S7_lS8_T11_S7_li.has_indirect_call, 0
	.section	.AMDGPU.csdata,"",@progbits
; Kernel info:
; codeLenInByte = 1416
; TotalNumSgprs: 26
; NumVgprs: 42
; ScratchSize: 0
; MemoryBound: 0
; FloatMode: 240
; IeeeMode: 1
; LDSByteSize: 2048 bytes/workgroup (compile time only)
; SGPRBlocks: 0
; VGPRBlocks: 5
; NumSGPRsForWavesPerEU: 26
; NumVGPRsForWavesPerEU: 42
; Occupancy: 16
; WaveLimiterHint : 1
; COMPUTE_PGM_RSRC2:SCRATCH_EN: 0
; COMPUTE_PGM_RSRC2:USER_SGPR: 6
; COMPUTE_PGM_RSRC2:TRAP_HANDLER: 0
; COMPUTE_PGM_RSRC2:TGID_X_EN: 1
; COMPUTE_PGM_RSRC2:TGID_Y_EN: 1
; COMPUTE_PGM_RSRC2:TGID_Z_EN: 1
; COMPUTE_PGM_RSRC2:TIDIG_COMP_CNT: 1
	.section	.text._ZL29rocblas_internal_gemmt_kernelIiLi16ELi32ELi8ELc78ELc84ELc85ELb0ELb0EffPKPKfPKPfEviT_T9_T10_S7_lS9_S7_lS8_T11_S7_li,"axG",@progbits,_ZL29rocblas_internal_gemmt_kernelIiLi16ELi32ELi8ELc78ELc84ELc85ELb0ELb0EffPKPKfPKPfEviT_T9_T10_S7_lS9_S7_lS8_T11_S7_li,comdat
	.globl	_ZL29rocblas_internal_gemmt_kernelIiLi16ELi32ELi8ELc78ELc84ELc85ELb0ELb0EffPKPKfPKPfEviT_T9_T10_S7_lS9_S7_lS8_T11_S7_li ; -- Begin function _ZL29rocblas_internal_gemmt_kernelIiLi16ELi32ELi8ELc78ELc84ELc85ELb0ELb0EffPKPKfPKPfEviT_T9_T10_S7_lS9_S7_lS8_T11_S7_li
	.p2align	8
	.type	_ZL29rocblas_internal_gemmt_kernelIiLi16ELi32ELi8ELc78ELc84ELc85ELb0ELb0EffPKPKfPKPfEviT_T9_T10_S7_lS9_S7_lS8_T11_S7_li,@function
_ZL29rocblas_internal_gemmt_kernelIiLi16ELi32ELi8ELc78ELc84ELc85ELb0ELb0EffPKPKfPKPfEviT_T9_T10_S7_lS9_S7_lS8_T11_S7_li: ; @_ZL29rocblas_internal_gemmt_kernelIiLi16ELi32ELi8ELc78ELc84ELc85ELb0ELb0EffPKPKfPKPfEviT_T9_T10_S7_lS9_S7_lS8_T11_S7_li
; %bb.0:
	s_clause 0x1
	s_load_dword s20, s[4:5], 0x40
	s_load_dwordx4 s[12:15], s[4:5], 0x0
	s_waitcnt lgkmcnt(0)
	v_cmp_neq_f32_e64 s0, s20, 1.0
	s_and_b32 vcc_lo, exec_lo, s0
	s_cbranch_vccnz .LBB307_2
; %bb.1:
	v_cmp_neq_f32_e64 s0, s14, 0
	s_cmp_lg_u32 s13, 0
	s_cselect_b32 s1, -1, 0
	s_and_b32 s0, s1, s0
.LBB307_2:
	s_andn2_b32 vcc_lo, exec_lo, s0
	s_cbranch_vccnz .LBB307_26
; %bb.3:
	s_load_dwordx2 s[2:3], s[4:5], 0x48
	s_mov_b32 s9, 0
	v_mov_b32_e32 v12, 0
	s_lshl_b64 s[0:1], s[8:9], 3
	v_mov_b32_e32 v9, 0
	v_mov_b32_e32 v7, 0
	;; [unrolled: 1-line block ×3, first 2 shown]
	s_waitcnt lgkmcnt(0)
	s_add_u32 s2, s2, s0
	s_addc_u32 s3, s3, s1
	s_lshl_b32 s8, s6, 5
	s_load_dwordx2 s[2:3], s[2:3], 0x0
	s_lshl_b32 s15, s7, 5
	v_cmp_eq_f32_e64 s6, s14, 0
	s_cmp_lt_i32 s13, 1
	s_cselect_b32 s7, -1, 0
	s_or_b32 s6, s6, s7
	s_and_b32 vcc_lo, exec_lo, s6
	s_cbranch_vccnz .LBB307_10
; %bb.4:
	s_clause 0x3
	s_load_dword s6, s[4:5], 0x18
	s_load_dword s10, s[4:5], 0x30
	s_load_dwordx4 s[16:19], s[4:5], 0x20
	s_load_dwordx2 s[22:23], s[4:5], 0x10
	v_lshl_add_u32 v2, v1, 4, v0
	v_and_b32_e32 v8, 7, v0
	s_load_dwordx2 s[24:25], s[4:5], 0x38
	v_lshlrev_b32_e32 v14, 2, v0
	v_lshl_add_u32 v15, v1, 5, 0x400
	v_and_b32_e32 v9, 31, v2
	v_lshrrev_b32_e32 v10, 5, v2
	v_lshrrev_b32_e32 v3, 3, v2
	v_lshlrev_b32_e32 v4, 2, v8
	v_or_b32_e32 v5, s8, v9
	v_lshlrev_b32_e32 v6, 2, v9
	v_add_nc_u32_e32 v2, s15, v3
	v_lshl_or_b32 v3, v3, 5, v4
	v_add_nc_u32_e32 v16, s8, v9
	v_cmp_gt_i32_e32 vcc_lo, s12, v5
	v_lshl_or_b32 v11, v10, 7, v6
	s_waitcnt lgkmcnt(0)
	v_mad_i64_i32 v[4:5], null, v10, s6, 0
	s_ashr_i32 s7, s6, 31
	s_ashr_i32 s11, s10, 31
	s_add_u32 s18, s18, s0
	s_addc_u32 s19, s19, s1
	s_add_u32 s0, s22, s0
	v_mad_i64_i32 v[6:7], null, s10, v8, 0
	s_addc_u32 s1, s23, s1
	s_load_dwordx2 s[18:19], s[18:19], 0x0
	s_load_dwordx2 s[22:23], s[0:1], 0x0
	v_lshlrev_b64 v[4:5], 2, v[4:5]
	v_ashrrev_i32_e32 v17, 31, v16
	s_lshl_b64 s[16:17], s[16:17], 2
	v_add_nc_u32_e32 v13, 0x400, v3
	v_ashrrev_i32_e32 v3, 31, v2
	v_lshlrev_b64 v[6:7], 2, v[6:7]
	v_add_co_u32 v9, s1, v4, s16
	v_add_co_ci_u32_e64 v12, null, s17, v5, s1
	v_lshlrev_b64 v[4:5], 2, v[16:17]
	s_lshl_b64 s[16:17], s[24:25], 2
	v_cmp_gt_i32_e64 s0, s12, v2
	v_lshlrev_b64 v[2:3], 2, v[2:3]
	v_add_co_u32 v6, s1, v6, s16
	v_add_co_ci_u32_e64 v7, null, s17, v7, s1
	v_add_co_u32 v4, s1, v9, v4
	v_add_co_ci_u32_e64 v5, null, v12, v5, s1
	;; [unrolled: 2-line block ×3, first 2 shown]
	s_waitcnt lgkmcnt(0)
	v_add_co_u32 v2, s1, s22, v4
	v_add_co_ci_u32_e64 v3, null, s23, v5, s1
	v_add_co_u32 v4, s1, s18, v6
	v_add_co_ci_u32_e64 v5, null, s19, v7, s1
	v_mov_b32_e32 v6, 0
	v_mov_b32_e32 v7, 0
	;; [unrolled: 1-line block ×4, first 2 shown]
	s_lshl_b64 s[6:7], s[6:7], 5
	s_lshl_b64 s[10:11], s[10:11], 5
	s_branch .LBB307_6
.LBB307_5:                              ;   in Loop: Header=BB307_6 Depth=1
	s_or_b32 exec_lo, exec_lo, s1
	s_waitcnt vmcnt(0) lgkmcnt(0)
	ds_write_b32 v13, v17
	s_waitcnt lgkmcnt(0)
	s_barrier
	buffer_gl0_inv
	ds_read_b128 v[16:19], v15
	ds_read2_b32 v[32:33], v14 offset1:16
	ds_read_b128 v[20:23], v15 offset:512
	ds_read2_b32 v[34:35], v14 offset0:32 offset1:48
	ds_read2_b32 v[36:37], v14 offset0:64 offset1:80
	;; [unrolled: 1-line block ×3, first 2 shown]
	ds_read_b128 v[24:27], v15 offset:16
	ds_read2_b32 v[40:41], v14 offset0:128 offset1:144
	ds_read_b128 v[28:31], v15 offset:528
	v_add_co_u32 v2, s1, v2, s6
	v_add_co_ci_u32_e64 v3, null, s7, v3, s1
	v_add_co_u32 v4, s1, v4, s10
	v_add_co_ci_u32_e64 v5, null, s11, v5, s1
	s_add_i32 s9, s9, 8
	s_cmp_lt_i32 s9, s13
	s_waitcnt lgkmcnt(7)
	v_fmac_f32_e32 v12, v32, v16
	v_fmac_f32_e32 v9, v33, v16
	s_waitcnt lgkmcnt(6)
	v_fmac_f32_e32 v7, v32, v20
	v_fmac_f32_e32 v6, v33, v20
	ds_read2_b32 v[32:33], v14 offset0:160 offset1:176
	s_waitcnt lgkmcnt(6)
	v_fmac_f32_e32 v12, v34, v17
	v_fmac_f32_e32 v9, v35, v17
	v_fmac_f32_e32 v7, v34, v21
	v_fmac_f32_e32 v6, v35, v21
	ds_read2_b32 v[16:17], v14 offset0:192 offset1:208
	s_waitcnt lgkmcnt(6)
	v_fmac_f32_e32 v12, v36, v18
	v_fmac_f32_e32 v9, v37, v18
	;; [unrolled: 6-line block ×3, first 2 shown]
	v_fmac_f32_e32 v7, v38, v23
	v_fmac_f32_e32 v6, v39, v23
	s_waitcnt lgkmcnt(0)
	v_fmac_f32_e32 v12, v40, v24
	v_fmac_f32_e32 v9, v41, v24
	;; [unrolled: 1-line block ×4, first 2 shown]
	s_barrier
	v_fmac_f32_e32 v12, v32, v25
	v_fmac_f32_e32 v9, v33, v25
	;; [unrolled: 1-line block ×4, first 2 shown]
	buffer_gl0_inv
	v_fmac_f32_e32 v12, v16, v26
	v_fmac_f32_e32 v9, v17, v26
	;; [unrolled: 1-line block ×8, first 2 shown]
	s_cbranch_scc0 .LBB307_10
.LBB307_6:                              ; =>This Inner Loop Header: Depth=1
	v_add_nc_u32_e32 v16, s9, v10
	v_cmp_gt_i32_e64 s1, s13, v16
	v_mov_b32_e32 v16, 0
	s_and_b32 s16, vcc_lo, s1
	s_and_saveexec_b32 s1, s16
	s_cbranch_execz .LBB307_8
; %bb.7:                                ;   in Loop: Header=BB307_6 Depth=1
	flat_load_dword v16, v[2:3]
.LBB307_8:                              ;   in Loop: Header=BB307_6 Depth=1
	s_or_b32 exec_lo, exec_lo, s1
	v_add_nc_u32_e32 v17, s9, v8
	s_waitcnt vmcnt(0) lgkmcnt(0)
	ds_write_b32 v11, v16
	v_cmp_gt_i32_e64 s1, s13, v17
	v_mov_b32_e32 v17, 0
	s_and_b32 s16, s1, s0
	s_and_saveexec_b32 s1, s16
	s_cbranch_execz .LBB307_5
; %bb.9:                                ;   in Loop: Header=BB307_6 Depth=1
	flat_load_dword v17, v[4:5]
	s_branch .LBB307_5
.LBB307_10:
	s_clause 0x1
	s_load_dword s6, s[4:5], 0x50
	s_load_dwordx2 s[4:5], s[4:5], 0x58
	v_add_nc_u32_e32 v10, s15, v1
	v_add_nc_u32_e32 v0, s8, v0
	v_cmp_gt_i32_e64 s0, s12, v10
	v_cmp_le_i32_e32 vcc_lo, v0, v10
	s_waitcnt lgkmcnt(0)
	v_mad_i64_i32 v[1:2], null, v10, s6, 0
	s_lshl_b64 s[4:5], s[4:5], 2
	s_add_u32 s2, s2, s4
	v_cmp_neq_f32_e64 s4, s20, 0
	s_addc_u32 s3, s3, s5
	s_and_b32 s5, s0, vcc_lo
	v_lshlrev_b64 v[2:3], 2, v[1:2]
	v_ashrrev_i32_e32 v1, 31, v0
	v_cndmask_b32_e64 v8, 0, 1, s4
	v_add_co_u32 v4, s1, s2, v2
	v_add_co_ci_u32_e64 v5, null, s3, v3, s1
	s_and_saveexec_b32 s1, s5
	s_cbranch_execz .LBB307_14
; %bb.11:
	v_lshlrev_b64 v[2:3], 2, v[0:1]
	v_mul_f32_e32 v11, s14, v12
	v_add_co_u32 v2, vcc_lo, v4, v2
	v_add_co_ci_u32_e64 v3, null, v5, v3, vcc_lo
	s_andn2_b32 vcc_lo, exec_lo, s4
	s_cbranch_vccnz .LBB307_13
; %bb.12:
	flat_load_dword v12, v[2:3]
	s_waitcnt vmcnt(0) lgkmcnt(0)
	v_fmac_f32_e32 v11, s20, v12
.LBB307_13:
	flat_store_dword v[2:3], v11
.LBB307_14:
	s_or_b32 exec_lo, exec_lo, s1
	v_add_nc_u32_e32 v2, 16, v0
	v_cmp_le_i32_e32 vcc_lo, v2, v10
	v_ashrrev_i32_e32 v3, 31, v2
	s_and_b32 s0, s0, vcc_lo
	s_and_saveexec_b32 s1, s0
	s_cbranch_execz .LBB307_18
; %bb.15:
	v_lshlrev_b64 v[11:12], 2, v[2:3]
	v_cmp_ne_u32_e32 vcc_lo, 1, v8
	v_mul_f32_e32 v9, s14, v9
	v_add_co_u32 v4, s0, v4, v11
	v_add_co_ci_u32_e64 v5, null, v5, v12, s0
	s_cbranch_vccnz .LBB307_17
; %bb.16:
	flat_load_dword v11, v[4:5]
	s_waitcnt vmcnt(0) lgkmcnt(0)
	v_fmac_f32_e32 v9, s20, v11
.LBB307_17:
	flat_store_dword v[4:5], v9
.LBB307_18:
	s_or_b32 exec_lo, exec_lo, s1
	v_add_nc_u32_e32 v9, 16, v10
	v_mad_i64_i32 v[4:5], null, v9, s6, 0
	v_cmp_gt_i32_e64 s0, s12, v9
	v_cmp_le_i32_e32 vcc_lo, v0, v9
	v_lshlrev_b64 v[4:5], 2, v[4:5]
	v_add_co_u32 v4, s1, s2, v4
	v_add_co_ci_u32_e64 v5, null, s3, v5, s1
	s_and_b32 s1, s0, vcc_lo
	s_and_saveexec_b32 s2, s1
	s_cbranch_execz .LBB307_22
; %bb.19:
	v_lshlrev_b64 v[0:1], 2, v[0:1]
	v_cmp_ne_u32_e32 vcc_lo, 1, v8
	v_mul_f32_e32 v7, s14, v7
	v_add_co_u32 v0, s1, v4, v0
	v_add_co_ci_u32_e64 v1, null, v5, v1, s1
	s_cbranch_vccnz .LBB307_21
; %bb.20:
	flat_load_dword v10, v[0:1]
	s_waitcnt vmcnt(0) lgkmcnt(0)
	v_fmac_f32_e32 v7, s20, v10
.LBB307_21:
	flat_store_dword v[0:1], v7
.LBB307_22:
	s_or_b32 exec_lo, exec_lo, s2
	v_cmp_le_i32_e32 vcc_lo, v2, v9
	s_and_b32 s0, s0, vcc_lo
	s_and_saveexec_b32 s1, s0
	s_cbranch_execz .LBB307_26
; %bb.23:
	v_lshlrev_b64 v[0:1], 2, v[2:3]
	v_cmp_ne_u32_e32 vcc_lo, 1, v8
	v_mul_f32_e32 v2, s14, v6
	v_add_co_u32 v0, s0, v4, v0
	v_add_co_ci_u32_e64 v1, null, v5, v1, s0
	s_cbranch_vccnz .LBB307_25
; %bb.24:
	flat_load_dword v3, v[0:1]
	s_waitcnt vmcnt(0) lgkmcnt(0)
	v_fmac_f32_e32 v2, s20, v3
.LBB307_25:
	flat_store_dword v[0:1], v2
.LBB307_26:
	s_endpgm
	.section	.rodata,"a",@progbits
	.p2align	6, 0x0
	.amdhsa_kernel _ZL29rocblas_internal_gemmt_kernelIiLi16ELi32ELi8ELc78ELc84ELc85ELb0ELb0EffPKPKfPKPfEviT_T9_T10_S7_lS9_S7_lS8_T11_S7_li
		.amdhsa_group_segment_fixed_size 2048
		.amdhsa_private_segment_fixed_size 0
		.amdhsa_kernarg_size 100
		.amdhsa_user_sgpr_count 6
		.amdhsa_user_sgpr_private_segment_buffer 1
		.amdhsa_user_sgpr_dispatch_ptr 0
		.amdhsa_user_sgpr_queue_ptr 0
		.amdhsa_user_sgpr_kernarg_segment_ptr 1
		.amdhsa_user_sgpr_dispatch_id 0
		.amdhsa_user_sgpr_flat_scratch_init 0
		.amdhsa_user_sgpr_private_segment_size 0
		.amdhsa_wavefront_size32 1
		.amdhsa_uses_dynamic_stack 0
		.amdhsa_system_sgpr_private_segment_wavefront_offset 0
		.amdhsa_system_sgpr_workgroup_id_x 1
		.amdhsa_system_sgpr_workgroup_id_y 1
		.amdhsa_system_sgpr_workgroup_id_z 1
		.amdhsa_system_sgpr_workgroup_info 0
		.amdhsa_system_vgpr_workitem_id 1
		.amdhsa_next_free_vgpr 42
		.amdhsa_next_free_sgpr 26
		.amdhsa_reserve_vcc 1
		.amdhsa_reserve_flat_scratch 0
		.amdhsa_float_round_mode_32 0
		.amdhsa_float_round_mode_16_64 0
		.amdhsa_float_denorm_mode_32 3
		.amdhsa_float_denorm_mode_16_64 3
		.amdhsa_dx10_clamp 1
		.amdhsa_ieee_mode 1
		.amdhsa_fp16_overflow 0
		.amdhsa_workgroup_processor_mode 1
		.amdhsa_memory_ordered 1
		.amdhsa_forward_progress 1
		.amdhsa_shared_vgpr_count 0
		.amdhsa_exception_fp_ieee_invalid_op 0
		.amdhsa_exception_fp_denorm_src 0
		.amdhsa_exception_fp_ieee_div_zero 0
		.amdhsa_exception_fp_ieee_overflow 0
		.amdhsa_exception_fp_ieee_underflow 0
		.amdhsa_exception_fp_ieee_inexact 0
		.amdhsa_exception_int_div_zero 0
	.end_amdhsa_kernel
	.section	.text._ZL29rocblas_internal_gemmt_kernelIiLi16ELi32ELi8ELc78ELc84ELc85ELb0ELb0EffPKPKfPKPfEviT_T9_T10_S7_lS9_S7_lS8_T11_S7_li,"axG",@progbits,_ZL29rocblas_internal_gemmt_kernelIiLi16ELi32ELi8ELc78ELc84ELc85ELb0ELb0EffPKPKfPKPfEviT_T9_T10_S7_lS9_S7_lS8_T11_S7_li,comdat
.Lfunc_end307:
	.size	_ZL29rocblas_internal_gemmt_kernelIiLi16ELi32ELi8ELc78ELc84ELc85ELb0ELb0EffPKPKfPKPfEviT_T9_T10_S7_lS9_S7_lS8_T11_S7_li, .Lfunc_end307-_ZL29rocblas_internal_gemmt_kernelIiLi16ELi32ELi8ELc78ELc84ELc85ELb0ELb0EffPKPKfPKPfEviT_T9_T10_S7_lS9_S7_lS8_T11_S7_li
                                        ; -- End function
	.set _ZL29rocblas_internal_gemmt_kernelIiLi16ELi32ELi8ELc78ELc84ELc85ELb0ELb0EffPKPKfPKPfEviT_T9_T10_S7_lS9_S7_lS8_T11_S7_li.num_vgpr, 42
	.set _ZL29rocblas_internal_gemmt_kernelIiLi16ELi32ELi8ELc78ELc84ELc85ELb0ELb0EffPKPKfPKPfEviT_T9_T10_S7_lS9_S7_lS8_T11_S7_li.num_agpr, 0
	.set _ZL29rocblas_internal_gemmt_kernelIiLi16ELi32ELi8ELc78ELc84ELc85ELb0ELb0EffPKPKfPKPfEviT_T9_T10_S7_lS9_S7_lS8_T11_S7_li.numbered_sgpr, 26
	.set _ZL29rocblas_internal_gemmt_kernelIiLi16ELi32ELi8ELc78ELc84ELc85ELb0ELb0EffPKPKfPKPfEviT_T9_T10_S7_lS9_S7_lS8_T11_S7_li.num_named_barrier, 0
	.set _ZL29rocblas_internal_gemmt_kernelIiLi16ELi32ELi8ELc78ELc84ELc85ELb0ELb0EffPKPKfPKPfEviT_T9_T10_S7_lS9_S7_lS8_T11_S7_li.private_seg_size, 0
	.set _ZL29rocblas_internal_gemmt_kernelIiLi16ELi32ELi8ELc78ELc84ELc85ELb0ELb0EffPKPKfPKPfEviT_T9_T10_S7_lS9_S7_lS8_T11_S7_li.uses_vcc, 1
	.set _ZL29rocblas_internal_gemmt_kernelIiLi16ELi32ELi8ELc78ELc84ELc85ELb0ELb0EffPKPKfPKPfEviT_T9_T10_S7_lS9_S7_lS8_T11_S7_li.uses_flat_scratch, 0
	.set _ZL29rocblas_internal_gemmt_kernelIiLi16ELi32ELi8ELc78ELc84ELc85ELb0ELb0EffPKPKfPKPfEviT_T9_T10_S7_lS9_S7_lS8_T11_S7_li.has_dyn_sized_stack, 0
	.set _ZL29rocblas_internal_gemmt_kernelIiLi16ELi32ELi8ELc78ELc84ELc85ELb0ELb0EffPKPKfPKPfEviT_T9_T10_S7_lS9_S7_lS8_T11_S7_li.has_recursion, 0
	.set _ZL29rocblas_internal_gemmt_kernelIiLi16ELi32ELi8ELc78ELc84ELc85ELb0ELb0EffPKPKfPKPfEviT_T9_T10_S7_lS9_S7_lS8_T11_S7_li.has_indirect_call, 0
	.section	.AMDGPU.csdata,"",@progbits
; Kernel info:
; codeLenInByte = 1436
; TotalNumSgprs: 28
; NumVgprs: 42
; ScratchSize: 0
; MemoryBound: 0
; FloatMode: 240
; IeeeMode: 1
; LDSByteSize: 2048 bytes/workgroup (compile time only)
; SGPRBlocks: 0
; VGPRBlocks: 5
; NumSGPRsForWavesPerEU: 28
; NumVGPRsForWavesPerEU: 42
; Occupancy: 16
; WaveLimiterHint : 1
; COMPUTE_PGM_RSRC2:SCRATCH_EN: 0
; COMPUTE_PGM_RSRC2:USER_SGPR: 6
; COMPUTE_PGM_RSRC2:TRAP_HANDLER: 0
; COMPUTE_PGM_RSRC2:TGID_X_EN: 1
; COMPUTE_PGM_RSRC2:TGID_Y_EN: 1
; COMPUTE_PGM_RSRC2:TGID_Z_EN: 1
; COMPUTE_PGM_RSRC2:TIDIG_COMP_CNT: 1
	.section	.text._ZL29rocblas_internal_gemmt_kernelIiLi16ELi32ELi8ELc78ELc67ELc85ELb0ELb0EffPKPKfPKPfEviT_T9_T10_S7_lS9_S7_lS8_T11_S7_li,"axG",@progbits,_ZL29rocblas_internal_gemmt_kernelIiLi16ELi32ELi8ELc78ELc67ELc85ELb0ELb0EffPKPKfPKPfEviT_T9_T10_S7_lS9_S7_lS8_T11_S7_li,comdat
	.globl	_ZL29rocblas_internal_gemmt_kernelIiLi16ELi32ELi8ELc78ELc67ELc85ELb0ELb0EffPKPKfPKPfEviT_T9_T10_S7_lS9_S7_lS8_T11_S7_li ; -- Begin function _ZL29rocblas_internal_gemmt_kernelIiLi16ELi32ELi8ELc78ELc67ELc85ELb0ELb0EffPKPKfPKPfEviT_T9_T10_S7_lS9_S7_lS8_T11_S7_li
	.p2align	8
	.type	_ZL29rocblas_internal_gemmt_kernelIiLi16ELi32ELi8ELc78ELc67ELc85ELb0ELb0EffPKPKfPKPfEviT_T9_T10_S7_lS9_S7_lS8_T11_S7_li,@function
_ZL29rocblas_internal_gemmt_kernelIiLi16ELi32ELi8ELc78ELc67ELc85ELb0ELb0EffPKPKfPKPfEviT_T9_T10_S7_lS9_S7_lS8_T11_S7_li: ; @_ZL29rocblas_internal_gemmt_kernelIiLi16ELi32ELi8ELc78ELc67ELc85ELb0ELb0EffPKPKfPKPfEviT_T9_T10_S7_lS9_S7_lS8_T11_S7_li
; %bb.0:
	s_clause 0x1
	s_load_dword s20, s[4:5], 0x40
	s_load_dwordx4 s[12:15], s[4:5], 0x0
	s_waitcnt lgkmcnt(0)
	v_cmp_neq_f32_e64 s0, s20, 1.0
	s_and_b32 vcc_lo, exec_lo, s0
	s_cbranch_vccnz .LBB308_2
; %bb.1:
	v_cmp_neq_f32_e64 s0, s14, 0
	s_cmp_lg_u32 s13, 0
	s_cselect_b32 s1, -1, 0
	s_and_b32 s0, s1, s0
.LBB308_2:
	s_andn2_b32 vcc_lo, exec_lo, s0
	s_cbranch_vccnz .LBB308_26
; %bb.3:
	s_load_dwordx2 s[2:3], s[4:5], 0x48
	s_mov_b32 s9, 0
	v_mov_b32_e32 v12, 0
	s_lshl_b64 s[0:1], s[8:9], 3
	v_mov_b32_e32 v9, 0
	v_mov_b32_e32 v7, 0
	;; [unrolled: 1-line block ×3, first 2 shown]
	s_waitcnt lgkmcnt(0)
	s_add_u32 s2, s2, s0
	s_addc_u32 s3, s3, s1
	s_lshl_b32 s8, s6, 5
	s_load_dwordx2 s[2:3], s[2:3], 0x0
	s_lshl_b32 s15, s7, 5
	v_cmp_eq_f32_e64 s6, s14, 0
	s_cmp_lt_i32 s13, 1
	s_cselect_b32 s7, -1, 0
	s_or_b32 s6, s6, s7
	s_and_b32 vcc_lo, exec_lo, s6
	s_cbranch_vccnz .LBB308_10
; %bb.4:
	s_clause 0x3
	s_load_dword s6, s[4:5], 0x18
	s_load_dword s10, s[4:5], 0x30
	s_load_dwordx4 s[16:19], s[4:5], 0x20
	s_load_dwordx2 s[22:23], s[4:5], 0x10
	v_lshl_add_u32 v2, v1, 4, v0
	v_and_b32_e32 v8, 7, v0
	s_load_dwordx2 s[24:25], s[4:5], 0x38
	v_lshlrev_b32_e32 v14, 2, v0
	v_lshl_add_u32 v15, v1, 5, 0x400
	v_and_b32_e32 v9, 31, v2
	v_lshrrev_b32_e32 v10, 5, v2
	v_lshrrev_b32_e32 v3, 3, v2
	v_lshlrev_b32_e32 v4, 2, v8
	v_or_b32_e32 v5, s8, v9
	v_lshlrev_b32_e32 v6, 2, v9
	v_add_nc_u32_e32 v2, s15, v3
	v_lshl_or_b32 v3, v3, 5, v4
	v_add_nc_u32_e32 v16, s8, v9
	v_cmp_gt_i32_e32 vcc_lo, s12, v5
	v_lshl_or_b32 v11, v10, 7, v6
	s_waitcnt lgkmcnt(0)
	v_mad_i64_i32 v[4:5], null, v10, s6, 0
	s_ashr_i32 s7, s6, 31
	s_ashr_i32 s11, s10, 31
	s_add_u32 s18, s18, s0
	s_addc_u32 s19, s19, s1
	s_add_u32 s0, s22, s0
	v_mad_i64_i32 v[6:7], null, s10, v8, 0
	s_addc_u32 s1, s23, s1
	s_load_dwordx2 s[18:19], s[18:19], 0x0
	s_load_dwordx2 s[22:23], s[0:1], 0x0
	v_lshlrev_b64 v[4:5], 2, v[4:5]
	v_ashrrev_i32_e32 v17, 31, v16
	s_lshl_b64 s[16:17], s[16:17], 2
	v_add_nc_u32_e32 v13, 0x400, v3
	v_ashrrev_i32_e32 v3, 31, v2
	v_lshlrev_b64 v[6:7], 2, v[6:7]
	v_add_co_u32 v9, s1, v4, s16
	v_add_co_ci_u32_e64 v12, null, s17, v5, s1
	v_lshlrev_b64 v[4:5], 2, v[16:17]
	s_lshl_b64 s[16:17], s[24:25], 2
	v_cmp_gt_i32_e64 s0, s12, v2
	v_lshlrev_b64 v[2:3], 2, v[2:3]
	v_add_co_u32 v6, s1, v6, s16
	v_add_co_ci_u32_e64 v7, null, s17, v7, s1
	v_add_co_u32 v4, s1, v9, v4
	v_add_co_ci_u32_e64 v5, null, v12, v5, s1
	;; [unrolled: 2-line block ×3, first 2 shown]
	s_waitcnt lgkmcnt(0)
	v_add_co_u32 v2, s1, s22, v4
	v_add_co_ci_u32_e64 v3, null, s23, v5, s1
	v_add_co_u32 v4, s1, s18, v6
	v_add_co_ci_u32_e64 v5, null, s19, v7, s1
	v_mov_b32_e32 v6, 0
	v_mov_b32_e32 v7, 0
	;; [unrolled: 1-line block ×4, first 2 shown]
	s_lshl_b64 s[6:7], s[6:7], 5
	s_lshl_b64 s[10:11], s[10:11], 5
	s_branch .LBB308_6
.LBB308_5:                              ;   in Loop: Header=BB308_6 Depth=1
	s_or_b32 exec_lo, exec_lo, s1
	s_waitcnt vmcnt(0) lgkmcnt(0)
	ds_write_b32 v13, v17
	s_waitcnt lgkmcnt(0)
	s_barrier
	buffer_gl0_inv
	ds_read_b128 v[16:19], v15
	ds_read2_b32 v[32:33], v14 offset1:16
	ds_read_b128 v[20:23], v15 offset:512
	ds_read2_b32 v[34:35], v14 offset0:32 offset1:48
	ds_read2_b32 v[36:37], v14 offset0:64 offset1:80
	;; [unrolled: 1-line block ×3, first 2 shown]
	ds_read_b128 v[24:27], v15 offset:16
	ds_read2_b32 v[40:41], v14 offset0:128 offset1:144
	ds_read_b128 v[28:31], v15 offset:528
	v_add_co_u32 v2, s1, v2, s6
	v_add_co_ci_u32_e64 v3, null, s7, v3, s1
	v_add_co_u32 v4, s1, v4, s10
	v_add_co_ci_u32_e64 v5, null, s11, v5, s1
	s_add_i32 s9, s9, 8
	s_cmp_lt_i32 s9, s13
	s_waitcnt lgkmcnt(7)
	v_fmac_f32_e32 v12, v32, v16
	v_fmac_f32_e32 v9, v33, v16
	s_waitcnt lgkmcnt(6)
	v_fmac_f32_e32 v7, v32, v20
	v_fmac_f32_e32 v6, v33, v20
	ds_read2_b32 v[32:33], v14 offset0:160 offset1:176
	s_waitcnt lgkmcnt(6)
	v_fmac_f32_e32 v12, v34, v17
	v_fmac_f32_e32 v9, v35, v17
	v_fmac_f32_e32 v7, v34, v21
	v_fmac_f32_e32 v6, v35, v21
	ds_read2_b32 v[16:17], v14 offset0:192 offset1:208
	s_waitcnt lgkmcnt(6)
	v_fmac_f32_e32 v12, v36, v18
	v_fmac_f32_e32 v9, v37, v18
	;; [unrolled: 6-line block ×3, first 2 shown]
	v_fmac_f32_e32 v7, v38, v23
	v_fmac_f32_e32 v6, v39, v23
	s_waitcnt lgkmcnt(0)
	v_fmac_f32_e32 v12, v40, v24
	v_fmac_f32_e32 v9, v41, v24
	;; [unrolled: 1-line block ×4, first 2 shown]
	s_barrier
	v_fmac_f32_e32 v12, v32, v25
	v_fmac_f32_e32 v9, v33, v25
	;; [unrolled: 1-line block ×4, first 2 shown]
	buffer_gl0_inv
	v_fmac_f32_e32 v12, v16, v26
	v_fmac_f32_e32 v9, v17, v26
	v_fmac_f32_e32 v7, v16, v30
	v_fmac_f32_e32 v6, v17, v30
	v_fmac_f32_e32 v12, v20, v27
	v_fmac_f32_e32 v9, v21, v27
	v_fmac_f32_e32 v7, v20, v31
	v_fmac_f32_e32 v6, v21, v31
	s_cbranch_scc0 .LBB308_10
.LBB308_6:                              ; =>This Inner Loop Header: Depth=1
	v_add_nc_u32_e32 v16, s9, v10
	v_cmp_gt_i32_e64 s1, s13, v16
	v_mov_b32_e32 v16, 0
	s_and_b32 s16, vcc_lo, s1
	s_and_saveexec_b32 s1, s16
	s_cbranch_execz .LBB308_8
; %bb.7:                                ;   in Loop: Header=BB308_6 Depth=1
	flat_load_dword v16, v[2:3]
.LBB308_8:                              ;   in Loop: Header=BB308_6 Depth=1
	s_or_b32 exec_lo, exec_lo, s1
	v_add_nc_u32_e32 v17, s9, v8
	s_waitcnt vmcnt(0) lgkmcnt(0)
	ds_write_b32 v11, v16
	v_cmp_gt_i32_e64 s1, s13, v17
	v_mov_b32_e32 v17, 0
	s_and_b32 s16, s1, s0
	s_and_saveexec_b32 s1, s16
	s_cbranch_execz .LBB308_5
; %bb.9:                                ;   in Loop: Header=BB308_6 Depth=1
	flat_load_dword v17, v[4:5]
	s_branch .LBB308_5
.LBB308_10:
	s_clause 0x1
	s_load_dword s6, s[4:5], 0x50
	s_load_dwordx2 s[4:5], s[4:5], 0x58
	v_add_nc_u32_e32 v10, s15, v1
	v_add_nc_u32_e32 v0, s8, v0
	v_cmp_gt_i32_e64 s0, s12, v10
	v_cmp_le_i32_e32 vcc_lo, v0, v10
	s_waitcnt lgkmcnt(0)
	v_mad_i64_i32 v[1:2], null, v10, s6, 0
	s_lshl_b64 s[4:5], s[4:5], 2
	s_add_u32 s2, s2, s4
	v_cmp_neq_f32_e64 s4, s20, 0
	s_addc_u32 s3, s3, s5
	s_and_b32 s5, s0, vcc_lo
	v_lshlrev_b64 v[2:3], 2, v[1:2]
	v_ashrrev_i32_e32 v1, 31, v0
	v_cndmask_b32_e64 v8, 0, 1, s4
	v_add_co_u32 v4, s1, s2, v2
	v_add_co_ci_u32_e64 v5, null, s3, v3, s1
	s_and_saveexec_b32 s1, s5
	s_cbranch_execz .LBB308_14
; %bb.11:
	v_lshlrev_b64 v[2:3], 2, v[0:1]
	v_mul_f32_e32 v11, s14, v12
	v_add_co_u32 v2, vcc_lo, v4, v2
	v_add_co_ci_u32_e64 v3, null, v5, v3, vcc_lo
	s_andn2_b32 vcc_lo, exec_lo, s4
	s_cbranch_vccnz .LBB308_13
; %bb.12:
	flat_load_dword v12, v[2:3]
	s_waitcnt vmcnt(0) lgkmcnt(0)
	v_fmac_f32_e32 v11, s20, v12
.LBB308_13:
	flat_store_dword v[2:3], v11
.LBB308_14:
	s_or_b32 exec_lo, exec_lo, s1
	v_add_nc_u32_e32 v2, 16, v0
	v_cmp_le_i32_e32 vcc_lo, v2, v10
	v_ashrrev_i32_e32 v3, 31, v2
	s_and_b32 s0, s0, vcc_lo
	s_and_saveexec_b32 s1, s0
	s_cbranch_execz .LBB308_18
; %bb.15:
	v_lshlrev_b64 v[11:12], 2, v[2:3]
	v_cmp_ne_u32_e32 vcc_lo, 1, v8
	v_mul_f32_e32 v9, s14, v9
	v_add_co_u32 v4, s0, v4, v11
	v_add_co_ci_u32_e64 v5, null, v5, v12, s0
	s_cbranch_vccnz .LBB308_17
; %bb.16:
	flat_load_dword v11, v[4:5]
	s_waitcnt vmcnt(0) lgkmcnt(0)
	v_fmac_f32_e32 v9, s20, v11
.LBB308_17:
	flat_store_dword v[4:5], v9
.LBB308_18:
	s_or_b32 exec_lo, exec_lo, s1
	v_add_nc_u32_e32 v9, 16, v10
	v_mad_i64_i32 v[4:5], null, v9, s6, 0
	v_cmp_gt_i32_e64 s0, s12, v9
	v_cmp_le_i32_e32 vcc_lo, v0, v9
	v_lshlrev_b64 v[4:5], 2, v[4:5]
	v_add_co_u32 v4, s1, s2, v4
	v_add_co_ci_u32_e64 v5, null, s3, v5, s1
	s_and_b32 s1, s0, vcc_lo
	s_and_saveexec_b32 s2, s1
	s_cbranch_execz .LBB308_22
; %bb.19:
	v_lshlrev_b64 v[0:1], 2, v[0:1]
	v_cmp_ne_u32_e32 vcc_lo, 1, v8
	v_mul_f32_e32 v7, s14, v7
	v_add_co_u32 v0, s1, v4, v0
	v_add_co_ci_u32_e64 v1, null, v5, v1, s1
	s_cbranch_vccnz .LBB308_21
; %bb.20:
	flat_load_dword v10, v[0:1]
	s_waitcnt vmcnt(0) lgkmcnt(0)
	v_fmac_f32_e32 v7, s20, v10
.LBB308_21:
	flat_store_dword v[0:1], v7
.LBB308_22:
	s_or_b32 exec_lo, exec_lo, s2
	v_cmp_le_i32_e32 vcc_lo, v2, v9
	s_and_b32 s0, s0, vcc_lo
	s_and_saveexec_b32 s1, s0
	s_cbranch_execz .LBB308_26
; %bb.23:
	v_lshlrev_b64 v[0:1], 2, v[2:3]
	v_cmp_ne_u32_e32 vcc_lo, 1, v8
	v_mul_f32_e32 v2, s14, v6
	v_add_co_u32 v0, s0, v4, v0
	v_add_co_ci_u32_e64 v1, null, v5, v1, s0
	s_cbranch_vccnz .LBB308_25
; %bb.24:
	flat_load_dword v3, v[0:1]
	s_waitcnt vmcnt(0) lgkmcnt(0)
	v_fmac_f32_e32 v2, s20, v3
.LBB308_25:
	flat_store_dword v[0:1], v2
.LBB308_26:
	s_endpgm
	.section	.rodata,"a",@progbits
	.p2align	6, 0x0
	.amdhsa_kernel _ZL29rocblas_internal_gemmt_kernelIiLi16ELi32ELi8ELc78ELc67ELc85ELb0ELb0EffPKPKfPKPfEviT_T9_T10_S7_lS9_S7_lS8_T11_S7_li
		.amdhsa_group_segment_fixed_size 2048
		.amdhsa_private_segment_fixed_size 0
		.amdhsa_kernarg_size 100
		.amdhsa_user_sgpr_count 6
		.amdhsa_user_sgpr_private_segment_buffer 1
		.amdhsa_user_sgpr_dispatch_ptr 0
		.amdhsa_user_sgpr_queue_ptr 0
		.amdhsa_user_sgpr_kernarg_segment_ptr 1
		.amdhsa_user_sgpr_dispatch_id 0
		.amdhsa_user_sgpr_flat_scratch_init 0
		.amdhsa_user_sgpr_private_segment_size 0
		.amdhsa_wavefront_size32 1
		.amdhsa_uses_dynamic_stack 0
		.amdhsa_system_sgpr_private_segment_wavefront_offset 0
		.amdhsa_system_sgpr_workgroup_id_x 1
		.amdhsa_system_sgpr_workgroup_id_y 1
		.amdhsa_system_sgpr_workgroup_id_z 1
		.amdhsa_system_sgpr_workgroup_info 0
		.amdhsa_system_vgpr_workitem_id 1
		.amdhsa_next_free_vgpr 42
		.amdhsa_next_free_sgpr 26
		.amdhsa_reserve_vcc 1
		.amdhsa_reserve_flat_scratch 0
		.amdhsa_float_round_mode_32 0
		.amdhsa_float_round_mode_16_64 0
		.amdhsa_float_denorm_mode_32 3
		.amdhsa_float_denorm_mode_16_64 3
		.amdhsa_dx10_clamp 1
		.amdhsa_ieee_mode 1
		.amdhsa_fp16_overflow 0
		.amdhsa_workgroup_processor_mode 1
		.amdhsa_memory_ordered 1
		.amdhsa_forward_progress 1
		.amdhsa_shared_vgpr_count 0
		.amdhsa_exception_fp_ieee_invalid_op 0
		.amdhsa_exception_fp_denorm_src 0
		.amdhsa_exception_fp_ieee_div_zero 0
		.amdhsa_exception_fp_ieee_overflow 0
		.amdhsa_exception_fp_ieee_underflow 0
		.amdhsa_exception_fp_ieee_inexact 0
		.amdhsa_exception_int_div_zero 0
	.end_amdhsa_kernel
	.section	.text._ZL29rocblas_internal_gemmt_kernelIiLi16ELi32ELi8ELc78ELc67ELc85ELb0ELb0EffPKPKfPKPfEviT_T9_T10_S7_lS9_S7_lS8_T11_S7_li,"axG",@progbits,_ZL29rocblas_internal_gemmt_kernelIiLi16ELi32ELi8ELc78ELc67ELc85ELb0ELb0EffPKPKfPKPfEviT_T9_T10_S7_lS9_S7_lS8_T11_S7_li,comdat
.Lfunc_end308:
	.size	_ZL29rocblas_internal_gemmt_kernelIiLi16ELi32ELi8ELc78ELc67ELc85ELb0ELb0EffPKPKfPKPfEviT_T9_T10_S7_lS9_S7_lS8_T11_S7_li, .Lfunc_end308-_ZL29rocblas_internal_gemmt_kernelIiLi16ELi32ELi8ELc78ELc67ELc85ELb0ELb0EffPKPKfPKPfEviT_T9_T10_S7_lS9_S7_lS8_T11_S7_li
                                        ; -- End function
	.set _ZL29rocblas_internal_gemmt_kernelIiLi16ELi32ELi8ELc78ELc67ELc85ELb0ELb0EffPKPKfPKPfEviT_T9_T10_S7_lS9_S7_lS8_T11_S7_li.num_vgpr, 42
	.set _ZL29rocblas_internal_gemmt_kernelIiLi16ELi32ELi8ELc78ELc67ELc85ELb0ELb0EffPKPKfPKPfEviT_T9_T10_S7_lS9_S7_lS8_T11_S7_li.num_agpr, 0
	.set _ZL29rocblas_internal_gemmt_kernelIiLi16ELi32ELi8ELc78ELc67ELc85ELb0ELb0EffPKPKfPKPfEviT_T9_T10_S7_lS9_S7_lS8_T11_S7_li.numbered_sgpr, 26
	.set _ZL29rocblas_internal_gemmt_kernelIiLi16ELi32ELi8ELc78ELc67ELc85ELb0ELb0EffPKPKfPKPfEviT_T9_T10_S7_lS9_S7_lS8_T11_S7_li.num_named_barrier, 0
	.set _ZL29rocblas_internal_gemmt_kernelIiLi16ELi32ELi8ELc78ELc67ELc85ELb0ELb0EffPKPKfPKPfEviT_T9_T10_S7_lS9_S7_lS8_T11_S7_li.private_seg_size, 0
	.set _ZL29rocblas_internal_gemmt_kernelIiLi16ELi32ELi8ELc78ELc67ELc85ELb0ELb0EffPKPKfPKPfEviT_T9_T10_S7_lS9_S7_lS8_T11_S7_li.uses_vcc, 1
	.set _ZL29rocblas_internal_gemmt_kernelIiLi16ELi32ELi8ELc78ELc67ELc85ELb0ELb0EffPKPKfPKPfEviT_T9_T10_S7_lS9_S7_lS8_T11_S7_li.uses_flat_scratch, 0
	.set _ZL29rocblas_internal_gemmt_kernelIiLi16ELi32ELi8ELc78ELc67ELc85ELb0ELb0EffPKPKfPKPfEviT_T9_T10_S7_lS9_S7_lS8_T11_S7_li.has_dyn_sized_stack, 0
	.set _ZL29rocblas_internal_gemmt_kernelIiLi16ELi32ELi8ELc78ELc67ELc85ELb0ELb0EffPKPKfPKPfEviT_T9_T10_S7_lS9_S7_lS8_T11_S7_li.has_recursion, 0
	.set _ZL29rocblas_internal_gemmt_kernelIiLi16ELi32ELi8ELc78ELc67ELc85ELb0ELb0EffPKPKfPKPfEviT_T9_T10_S7_lS9_S7_lS8_T11_S7_li.has_indirect_call, 0
	.section	.AMDGPU.csdata,"",@progbits
; Kernel info:
; codeLenInByte = 1436
; TotalNumSgprs: 28
; NumVgprs: 42
; ScratchSize: 0
; MemoryBound: 0
; FloatMode: 240
; IeeeMode: 1
; LDSByteSize: 2048 bytes/workgroup (compile time only)
; SGPRBlocks: 0
; VGPRBlocks: 5
; NumSGPRsForWavesPerEU: 28
; NumVGPRsForWavesPerEU: 42
; Occupancy: 16
; WaveLimiterHint : 1
; COMPUTE_PGM_RSRC2:SCRATCH_EN: 0
; COMPUTE_PGM_RSRC2:USER_SGPR: 6
; COMPUTE_PGM_RSRC2:TRAP_HANDLER: 0
; COMPUTE_PGM_RSRC2:TGID_X_EN: 1
; COMPUTE_PGM_RSRC2:TGID_Y_EN: 1
; COMPUTE_PGM_RSRC2:TGID_Z_EN: 1
; COMPUTE_PGM_RSRC2:TIDIG_COMP_CNT: 1
	.section	.text._ZL29rocblas_internal_gemmt_kernelIiLi16ELi32ELi8ELc84ELc78ELc85ELb0ELb0EffPKPKfPKPfEviT_T9_T10_S7_lS9_S7_lS8_T11_S7_li,"axG",@progbits,_ZL29rocblas_internal_gemmt_kernelIiLi16ELi32ELi8ELc84ELc78ELc85ELb0ELb0EffPKPKfPKPfEviT_T9_T10_S7_lS9_S7_lS8_T11_S7_li,comdat
	.globl	_ZL29rocblas_internal_gemmt_kernelIiLi16ELi32ELi8ELc84ELc78ELc85ELb0ELb0EffPKPKfPKPfEviT_T9_T10_S7_lS9_S7_lS8_T11_S7_li ; -- Begin function _ZL29rocblas_internal_gemmt_kernelIiLi16ELi32ELi8ELc84ELc78ELc85ELb0ELb0EffPKPKfPKPfEviT_T9_T10_S7_lS9_S7_lS8_T11_S7_li
	.p2align	8
	.type	_ZL29rocblas_internal_gemmt_kernelIiLi16ELi32ELi8ELc84ELc78ELc85ELb0ELb0EffPKPKfPKPfEviT_T9_T10_S7_lS9_S7_lS8_T11_S7_li,@function
_ZL29rocblas_internal_gemmt_kernelIiLi16ELi32ELi8ELc84ELc78ELc85ELb0ELb0EffPKPKfPKPfEviT_T9_T10_S7_lS9_S7_lS8_T11_S7_li: ; @_ZL29rocblas_internal_gemmt_kernelIiLi16ELi32ELi8ELc84ELc78ELc85ELb0ELb0EffPKPKfPKPfEviT_T9_T10_S7_lS9_S7_lS8_T11_S7_li
; %bb.0:
	s_clause 0x1
	s_load_dword s10, s[4:5], 0x40
	s_load_dwordx4 s[12:15], s[4:5], 0x0
	s_waitcnt lgkmcnt(0)
	v_cmp_neq_f32_e64 s0, s10, 1.0
	s_and_b32 vcc_lo, exec_lo, s0
	s_cbranch_vccnz .LBB309_2
; %bb.1:
	v_cmp_neq_f32_e64 s0, s14, 0
	s_cmp_lg_u32 s13, 0
	s_cselect_b32 s1, -1, 0
	s_and_b32 s0, s1, s0
.LBB309_2:
	s_andn2_b32 vcc_lo, exec_lo, s0
	s_cbranch_vccnz .LBB309_26
; %bb.3:
	s_load_dwordx2 s[2:3], s[4:5], 0x48
	s_mov_b32 s9, 0
	v_mov_b32_e32 v11, 0
	s_lshl_b64 s[0:1], s[8:9], 3
	v_cmp_eq_f32_e64 s8, s14, 0
	v_mov_b32_e32 v8, 0
	v_mov_b32_e32 v7, 0
	;; [unrolled: 1-line block ×3, first 2 shown]
	s_waitcnt lgkmcnt(0)
	s_add_u32 s2, s2, s0
	s_addc_u32 s3, s3, s1
	s_lshl_b32 s6, s6, 5
	s_load_dwordx2 s[2:3], s[2:3], 0x0
	s_lshl_b32 s7, s7, 5
	s_cmp_lt_i32 s13, 1
	s_cselect_b32 s11, -1, 0
	s_or_b32 s8, s8, s11
	s_and_b32 vcc_lo, exec_lo, s8
	s_cbranch_vccnz .LBB309_10
; %bb.4:
	s_clause 0x4
	s_load_dwordx4 s[16:19], s[4:5], 0x20
	s_load_dword s8, s[4:5], 0x18
	s_load_dwordx2 s[20:21], s[4:5], 0x10
	s_load_dword s11, s[4:5], 0x30
	s_load_dwordx2 s[22:23], s[4:5], 0x38
	v_lshl_add_u32 v2, v1, 4, v0
	v_and_b32_e32 v9, 7, v0
	v_lshlrev_b32_e32 v14, 2, v0
	v_lshl_add_u32 v15, v1, 5, 0x400
	v_and_b32_e32 v3, 31, v2
	v_lshrrev_b32_e32 v4, 3, v2
	v_lshrrev_b32_e32 v10, 5, v2
	v_lshlrev_b32_e32 v7, 2, v9
	v_or_b32_e32 v2, s6, v3
	v_lshlrev_b32_e32 v8, 2, v3
	v_add_nc_u32_e32 v3, s6, v3
	v_add_nc_u32_e32 v6, s7, v4
	v_lshl_or_b32 v11, v4, 5, v7
	v_cmp_gt_i32_e32 vcc_lo, s12, v2
	s_waitcnt lgkmcnt(0)
	s_add_u32 s18, s18, s0
	v_mad_i64_i32 v[2:3], null, s8, v3, 0
	s_addc_u32 s19, s19, s1
	s_add_u32 s0, s20, s0
	v_mad_i64_i32 v[4:5], null, s11, v6, 0
	s_addc_u32 s1, s21, s1
	s_load_dwordx2 s[18:19], s[18:19], 0x0
	s_load_dwordx2 s[20:21], s[0:1], 0x0
	v_lshlrev_b64 v[2:3], 2, v[2:3]
	s_lshl_b64 s[16:17], s[16:17], 2
	v_lshl_or_b32 v12, v10, 7, v8
	v_lshlrev_b32_e32 v8, 2, v10
	v_lshlrev_b64 v[4:5], 2, v[4:5]
	v_cmp_gt_i32_e64 s0, s12, v6
	v_add_co_u32 v2, s1, v2, s16
	v_add_co_ci_u32_e64 v3, null, s17, v3, s1
	s_lshl_b64 s[16:17], s[22:23], 2
	v_add_nc_u32_e32 v13, 0x400, v11
	v_add_co_u32 v4, s1, v4, s16
	v_add_co_ci_u32_e64 v5, null, s17, v5, s1
	v_add_co_u32 v2, s1, v2, v8
	v_add_co_ci_u32_e64 v3, null, 0, v3, s1
	;; [unrolled: 2-line block ×3, first 2 shown]
	s_waitcnt lgkmcnt(0)
	v_add_co_u32 v2, s1, s20, v2
	v_add_co_ci_u32_e64 v3, null, s21, v3, s1
	v_add_co_u32 v4, s1, s18, v4
	v_mov_b32_e32 v6, 0
	v_add_co_ci_u32_e64 v5, null, s19, v5, s1
	v_mov_b32_e32 v7, 0
	v_mov_b32_e32 v8, 0
	;; [unrolled: 1-line block ×3, first 2 shown]
	s_branch .LBB309_6
.LBB309_5:                              ;   in Loop: Header=BB309_6 Depth=1
	s_or_b32 exec_lo, exec_lo, s1
	s_waitcnt vmcnt(0) lgkmcnt(0)
	ds_write_b32 v13, v17
	s_waitcnt lgkmcnt(0)
	s_barrier
	buffer_gl0_inv
	ds_read_b128 v[16:19], v15
	ds_read2_b32 v[32:33], v14 offset1:16
	ds_read_b128 v[20:23], v15 offset:512
	ds_read2_b32 v[34:35], v14 offset0:32 offset1:48
	ds_read2_b32 v[36:37], v14 offset0:64 offset1:80
	;; [unrolled: 1-line block ×3, first 2 shown]
	ds_read_b128 v[24:27], v15 offset:16
	ds_read2_b32 v[40:41], v14 offset0:128 offset1:144
	ds_read_b128 v[28:31], v15 offset:528
	v_add_co_u32 v2, s1, v2, 32
	v_add_co_ci_u32_e64 v3, null, 0, v3, s1
	v_add_co_u32 v4, s1, v4, 32
	v_add_co_ci_u32_e64 v5, null, 0, v5, s1
	s_add_i32 s9, s9, 8
	s_cmp_lt_i32 s9, s13
	s_waitcnt lgkmcnt(7)
	v_fmac_f32_e32 v11, v32, v16
	v_fmac_f32_e32 v8, v33, v16
	s_waitcnt lgkmcnt(6)
	v_fmac_f32_e32 v7, v32, v20
	v_fmac_f32_e32 v6, v33, v20
	ds_read2_b32 v[32:33], v14 offset0:160 offset1:176
	s_waitcnt lgkmcnt(6)
	v_fmac_f32_e32 v11, v34, v17
	v_fmac_f32_e32 v8, v35, v17
	v_fmac_f32_e32 v7, v34, v21
	v_fmac_f32_e32 v6, v35, v21
	ds_read2_b32 v[16:17], v14 offset0:192 offset1:208
	s_waitcnt lgkmcnt(6)
	v_fmac_f32_e32 v11, v36, v18
	v_fmac_f32_e32 v8, v37, v18
	;; [unrolled: 6-line block ×3, first 2 shown]
	v_fmac_f32_e32 v7, v38, v23
	v_fmac_f32_e32 v6, v39, v23
	s_waitcnt lgkmcnt(0)
	v_fmac_f32_e32 v11, v40, v24
	v_fmac_f32_e32 v8, v41, v24
	;; [unrolled: 1-line block ×4, first 2 shown]
	s_barrier
	v_fmac_f32_e32 v11, v32, v25
	v_fmac_f32_e32 v8, v33, v25
	;; [unrolled: 1-line block ×4, first 2 shown]
	buffer_gl0_inv
	v_fmac_f32_e32 v11, v16, v26
	v_fmac_f32_e32 v8, v17, v26
	;; [unrolled: 1-line block ×8, first 2 shown]
	s_cbranch_scc0 .LBB309_10
.LBB309_6:                              ; =>This Inner Loop Header: Depth=1
	v_add_nc_u32_e32 v16, s9, v10
	v_cmp_gt_i32_e64 s1, s13, v16
	v_mov_b32_e32 v16, 0
	s_and_b32 s8, vcc_lo, s1
	s_and_saveexec_b32 s1, s8
	s_cbranch_execz .LBB309_8
; %bb.7:                                ;   in Loop: Header=BB309_6 Depth=1
	flat_load_dword v16, v[2:3]
.LBB309_8:                              ;   in Loop: Header=BB309_6 Depth=1
	s_or_b32 exec_lo, exec_lo, s1
	v_add_nc_u32_e32 v17, s9, v9
	s_waitcnt vmcnt(0) lgkmcnt(0)
	ds_write_b32 v12, v16
	v_cmp_gt_i32_e64 s1, s13, v17
	v_mov_b32_e32 v17, 0
	s_and_b32 s8, s1, s0
	s_and_saveexec_b32 s1, s8
	s_cbranch_execz .LBB309_5
; %bb.9:                                ;   in Loop: Header=BB309_6 Depth=1
	flat_load_dword v17, v[4:5]
	s_branch .LBB309_5
.LBB309_10:
	s_clause 0x1
	s_load_dword s8, s[4:5], 0x50
	s_load_dwordx2 s[4:5], s[4:5], 0x58
	v_add_nc_u32_e32 v10, s7, v1
	v_add_nc_u32_e32 v0, s6, v0
	v_cmp_gt_i32_e64 s0, s12, v10
	v_cmp_le_i32_e32 vcc_lo, v0, v10
	s_waitcnt lgkmcnt(0)
	v_mad_i64_i32 v[1:2], null, v10, s8, 0
	s_lshl_b64 s[4:5], s[4:5], 2
	s_add_u32 s2, s2, s4
	v_cmp_neq_f32_e64 s4, s10, 0
	s_addc_u32 s3, s3, s5
	s_and_b32 s5, s0, vcc_lo
	v_lshlrev_b64 v[2:3], 2, v[1:2]
	v_ashrrev_i32_e32 v1, 31, v0
	v_cndmask_b32_e64 v9, 0, 1, s4
	v_add_co_u32 v4, s1, s2, v2
	v_add_co_ci_u32_e64 v5, null, s3, v3, s1
	s_and_saveexec_b32 s1, s5
	s_cbranch_execz .LBB309_14
; %bb.11:
	v_lshlrev_b64 v[2:3], 2, v[0:1]
	v_mul_f32_e32 v11, s14, v11
	v_add_co_u32 v2, vcc_lo, v4, v2
	v_add_co_ci_u32_e64 v3, null, v5, v3, vcc_lo
	s_andn2_b32 vcc_lo, exec_lo, s4
	s_cbranch_vccnz .LBB309_13
; %bb.12:
	flat_load_dword v12, v[2:3]
	s_waitcnt vmcnt(0) lgkmcnt(0)
	v_fmac_f32_e32 v11, s10, v12
.LBB309_13:
	flat_store_dword v[2:3], v11
.LBB309_14:
	s_or_b32 exec_lo, exec_lo, s1
	v_add_nc_u32_e32 v2, 16, v0
	v_cmp_le_i32_e32 vcc_lo, v2, v10
	v_ashrrev_i32_e32 v3, 31, v2
	s_and_b32 s0, s0, vcc_lo
	s_and_saveexec_b32 s1, s0
	s_cbranch_execz .LBB309_18
; %bb.15:
	v_lshlrev_b64 v[11:12], 2, v[2:3]
	v_cmp_ne_u32_e32 vcc_lo, 1, v9
	v_mul_f32_e32 v8, s14, v8
	v_add_co_u32 v4, s0, v4, v11
	v_add_co_ci_u32_e64 v5, null, v5, v12, s0
	s_cbranch_vccnz .LBB309_17
; %bb.16:
	flat_load_dword v11, v[4:5]
	s_waitcnt vmcnt(0) lgkmcnt(0)
	v_fmac_f32_e32 v8, s10, v11
.LBB309_17:
	flat_store_dword v[4:5], v8
.LBB309_18:
	s_or_b32 exec_lo, exec_lo, s1
	v_add_nc_u32_e32 v8, 16, v10
	v_mad_i64_i32 v[4:5], null, v8, s8, 0
	v_cmp_gt_i32_e64 s0, s12, v8
	v_cmp_le_i32_e32 vcc_lo, v0, v8
	v_lshlrev_b64 v[4:5], 2, v[4:5]
	v_add_co_u32 v4, s1, s2, v4
	v_add_co_ci_u32_e64 v5, null, s3, v5, s1
	s_and_b32 s1, s0, vcc_lo
	s_and_saveexec_b32 s2, s1
	s_cbranch_execz .LBB309_22
; %bb.19:
	v_lshlrev_b64 v[0:1], 2, v[0:1]
	v_cmp_ne_u32_e32 vcc_lo, 1, v9
	v_mul_f32_e32 v7, s14, v7
	v_add_co_u32 v0, s1, v4, v0
	v_add_co_ci_u32_e64 v1, null, v5, v1, s1
	s_cbranch_vccnz .LBB309_21
; %bb.20:
	flat_load_dword v10, v[0:1]
	s_waitcnt vmcnt(0) lgkmcnt(0)
	v_fmac_f32_e32 v7, s10, v10
.LBB309_21:
	flat_store_dword v[0:1], v7
.LBB309_22:
	s_or_b32 exec_lo, exec_lo, s2
	v_cmp_le_i32_e32 vcc_lo, v2, v8
	s_and_b32 s0, s0, vcc_lo
	s_and_saveexec_b32 s1, s0
	s_cbranch_execz .LBB309_26
; %bb.23:
	v_lshlrev_b64 v[0:1], 2, v[2:3]
	v_cmp_ne_u32_e32 vcc_lo, 1, v9
	v_mul_f32_e32 v2, s14, v6
	v_add_co_u32 v0, s0, v4, v0
	v_add_co_ci_u32_e64 v1, null, v5, v1, s0
	s_cbranch_vccnz .LBB309_25
; %bb.24:
	flat_load_dword v3, v[0:1]
	s_waitcnt vmcnt(0) lgkmcnt(0)
	v_fmac_f32_e32 v2, s10, v3
.LBB309_25:
	flat_store_dword v[0:1], v2
.LBB309_26:
	s_endpgm
	.section	.rodata,"a",@progbits
	.p2align	6, 0x0
	.amdhsa_kernel _ZL29rocblas_internal_gemmt_kernelIiLi16ELi32ELi8ELc84ELc78ELc85ELb0ELb0EffPKPKfPKPfEviT_T9_T10_S7_lS9_S7_lS8_T11_S7_li
		.amdhsa_group_segment_fixed_size 2048
		.amdhsa_private_segment_fixed_size 0
		.amdhsa_kernarg_size 100
		.amdhsa_user_sgpr_count 6
		.amdhsa_user_sgpr_private_segment_buffer 1
		.amdhsa_user_sgpr_dispatch_ptr 0
		.amdhsa_user_sgpr_queue_ptr 0
		.amdhsa_user_sgpr_kernarg_segment_ptr 1
		.amdhsa_user_sgpr_dispatch_id 0
		.amdhsa_user_sgpr_flat_scratch_init 0
		.amdhsa_user_sgpr_private_segment_size 0
		.amdhsa_wavefront_size32 1
		.amdhsa_uses_dynamic_stack 0
		.amdhsa_system_sgpr_private_segment_wavefront_offset 0
		.amdhsa_system_sgpr_workgroup_id_x 1
		.amdhsa_system_sgpr_workgroup_id_y 1
		.amdhsa_system_sgpr_workgroup_id_z 1
		.amdhsa_system_sgpr_workgroup_info 0
		.amdhsa_system_vgpr_workitem_id 1
		.amdhsa_next_free_vgpr 42
		.amdhsa_next_free_sgpr 24
		.amdhsa_reserve_vcc 1
		.amdhsa_reserve_flat_scratch 0
		.amdhsa_float_round_mode_32 0
		.amdhsa_float_round_mode_16_64 0
		.amdhsa_float_denorm_mode_32 3
		.amdhsa_float_denorm_mode_16_64 3
		.amdhsa_dx10_clamp 1
		.amdhsa_ieee_mode 1
		.amdhsa_fp16_overflow 0
		.amdhsa_workgroup_processor_mode 1
		.amdhsa_memory_ordered 1
		.amdhsa_forward_progress 1
		.amdhsa_shared_vgpr_count 0
		.amdhsa_exception_fp_ieee_invalid_op 0
		.amdhsa_exception_fp_denorm_src 0
		.amdhsa_exception_fp_ieee_div_zero 0
		.amdhsa_exception_fp_ieee_overflow 0
		.amdhsa_exception_fp_ieee_underflow 0
		.amdhsa_exception_fp_ieee_inexact 0
		.amdhsa_exception_int_div_zero 0
	.end_amdhsa_kernel
	.section	.text._ZL29rocblas_internal_gemmt_kernelIiLi16ELi32ELi8ELc84ELc78ELc85ELb0ELb0EffPKPKfPKPfEviT_T9_T10_S7_lS9_S7_lS8_T11_S7_li,"axG",@progbits,_ZL29rocblas_internal_gemmt_kernelIiLi16ELi32ELi8ELc84ELc78ELc85ELb0ELb0EffPKPKfPKPfEviT_T9_T10_S7_lS9_S7_lS8_T11_S7_li,comdat
.Lfunc_end309:
	.size	_ZL29rocblas_internal_gemmt_kernelIiLi16ELi32ELi8ELc84ELc78ELc85ELb0ELb0EffPKPKfPKPfEviT_T9_T10_S7_lS9_S7_lS8_T11_S7_li, .Lfunc_end309-_ZL29rocblas_internal_gemmt_kernelIiLi16ELi32ELi8ELc84ELc78ELc85ELb0ELb0EffPKPKfPKPfEviT_T9_T10_S7_lS9_S7_lS8_T11_S7_li
                                        ; -- End function
	.set _ZL29rocblas_internal_gemmt_kernelIiLi16ELi32ELi8ELc84ELc78ELc85ELb0ELb0EffPKPKfPKPfEviT_T9_T10_S7_lS9_S7_lS8_T11_S7_li.num_vgpr, 42
	.set _ZL29rocblas_internal_gemmt_kernelIiLi16ELi32ELi8ELc84ELc78ELc85ELb0ELb0EffPKPKfPKPfEviT_T9_T10_S7_lS9_S7_lS8_T11_S7_li.num_agpr, 0
	.set _ZL29rocblas_internal_gemmt_kernelIiLi16ELi32ELi8ELc84ELc78ELc85ELb0ELb0EffPKPKfPKPfEviT_T9_T10_S7_lS9_S7_lS8_T11_S7_li.numbered_sgpr, 24
	.set _ZL29rocblas_internal_gemmt_kernelIiLi16ELi32ELi8ELc84ELc78ELc85ELb0ELb0EffPKPKfPKPfEviT_T9_T10_S7_lS9_S7_lS8_T11_S7_li.num_named_barrier, 0
	.set _ZL29rocblas_internal_gemmt_kernelIiLi16ELi32ELi8ELc84ELc78ELc85ELb0ELb0EffPKPKfPKPfEviT_T9_T10_S7_lS9_S7_lS8_T11_S7_li.private_seg_size, 0
	.set _ZL29rocblas_internal_gemmt_kernelIiLi16ELi32ELi8ELc84ELc78ELc85ELb0ELb0EffPKPKfPKPfEviT_T9_T10_S7_lS9_S7_lS8_T11_S7_li.uses_vcc, 1
	.set _ZL29rocblas_internal_gemmt_kernelIiLi16ELi32ELi8ELc84ELc78ELc85ELb0ELb0EffPKPKfPKPfEviT_T9_T10_S7_lS9_S7_lS8_T11_S7_li.uses_flat_scratch, 0
	.set _ZL29rocblas_internal_gemmt_kernelIiLi16ELi32ELi8ELc84ELc78ELc85ELb0ELb0EffPKPKfPKPfEviT_T9_T10_S7_lS9_S7_lS8_T11_S7_li.has_dyn_sized_stack, 0
	.set _ZL29rocblas_internal_gemmt_kernelIiLi16ELi32ELi8ELc84ELc78ELc85ELb0ELb0EffPKPKfPKPfEviT_T9_T10_S7_lS9_S7_lS8_T11_S7_li.has_recursion, 0
	.set _ZL29rocblas_internal_gemmt_kernelIiLi16ELi32ELi8ELc84ELc78ELc85ELb0ELb0EffPKPKfPKPfEviT_T9_T10_S7_lS9_S7_lS8_T11_S7_li.has_indirect_call, 0
	.section	.AMDGPU.csdata,"",@progbits
; Kernel info:
; codeLenInByte = 1400
; TotalNumSgprs: 26
; NumVgprs: 42
; ScratchSize: 0
; MemoryBound: 0
; FloatMode: 240
; IeeeMode: 1
; LDSByteSize: 2048 bytes/workgroup (compile time only)
; SGPRBlocks: 0
; VGPRBlocks: 5
; NumSGPRsForWavesPerEU: 26
; NumVGPRsForWavesPerEU: 42
; Occupancy: 16
; WaveLimiterHint : 1
; COMPUTE_PGM_RSRC2:SCRATCH_EN: 0
; COMPUTE_PGM_RSRC2:USER_SGPR: 6
; COMPUTE_PGM_RSRC2:TRAP_HANDLER: 0
; COMPUTE_PGM_RSRC2:TGID_X_EN: 1
; COMPUTE_PGM_RSRC2:TGID_Y_EN: 1
; COMPUTE_PGM_RSRC2:TGID_Z_EN: 1
; COMPUTE_PGM_RSRC2:TIDIG_COMP_CNT: 1
	.section	.text._ZL29rocblas_internal_gemmt_kernelIiLi16ELi32ELi8ELc84ELc84ELc85ELb0ELb0EffPKPKfPKPfEviT_T9_T10_S7_lS9_S7_lS8_T11_S7_li,"axG",@progbits,_ZL29rocblas_internal_gemmt_kernelIiLi16ELi32ELi8ELc84ELc84ELc85ELb0ELb0EffPKPKfPKPfEviT_T9_T10_S7_lS9_S7_lS8_T11_S7_li,comdat
	.globl	_ZL29rocblas_internal_gemmt_kernelIiLi16ELi32ELi8ELc84ELc84ELc85ELb0ELb0EffPKPKfPKPfEviT_T9_T10_S7_lS9_S7_lS8_T11_S7_li ; -- Begin function _ZL29rocblas_internal_gemmt_kernelIiLi16ELi32ELi8ELc84ELc84ELc85ELb0ELb0EffPKPKfPKPfEviT_T9_T10_S7_lS9_S7_lS8_T11_S7_li
	.p2align	8
	.type	_ZL29rocblas_internal_gemmt_kernelIiLi16ELi32ELi8ELc84ELc84ELc85ELb0ELb0EffPKPKfPKPfEviT_T9_T10_S7_lS9_S7_lS8_T11_S7_li,@function
_ZL29rocblas_internal_gemmt_kernelIiLi16ELi32ELi8ELc84ELc84ELc85ELb0ELb0EffPKPKfPKPfEviT_T9_T10_S7_lS9_S7_lS8_T11_S7_li: ; @_ZL29rocblas_internal_gemmt_kernelIiLi16ELi32ELi8ELc84ELc84ELc85ELb0ELb0EffPKPKfPKPfEviT_T9_T10_S7_lS9_S7_lS8_T11_S7_li
; %bb.0:
	s_clause 0x1
	s_load_dword s10, s[4:5], 0x40
	s_load_dwordx4 s[12:15], s[4:5], 0x0
	s_waitcnt lgkmcnt(0)
	v_cmp_neq_f32_e64 s0, s10, 1.0
	s_and_b32 vcc_lo, exec_lo, s0
	s_cbranch_vccnz .LBB310_2
; %bb.1:
	v_cmp_neq_f32_e64 s0, s14, 0
	s_cmp_lg_u32 s13, 0
	s_cselect_b32 s1, -1, 0
	s_and_b32 s0, s1, s0
.LBB310_2:
	s_andn2_b32 vcc_lo, exec_lo, s0
	s_cbranch_vccnz .LBB310_26
; %bb.3:
	s_load_dwordx2 s[2:3], s[4:5], 0x48
	s_mov_b32 s9, 0
	v_mov_b32_e32 v11, 0
	s_lshl_b64 s[0:1], s[8:9], 3
	v_mov_b32_e32 v8, 0
	v_mov_b32_e32 v7, 0
	;; [unrolled: 1-line block ×3, first 2 shown]
	s_waitcnt lgkmcnt(0)
	s_add_u32 s2, s2, s0
	s_addc_u32 s3, s3, s1
	s_lshl_b32 s8, s6, 5
	s_load_dwordx2 s[2:3], s[2:3], 0x0
	s_lshl_b32 s11, s7, 5
	v_cmp_eq_f32_e64 s6, s14, 0
	s_cmp_lt_i32 s13, 1
	s_cselect_b32 s7, -1, 0
	s_or_b32 s6, s6, s7
	s_and_b32 vcc_lo, exec_lo, s6
	s_cbranch_vccnz .LBB310_10
; %bb.4:
	s_clause 0x4
	s_load_dword s6, s[4:5], 0x30
	s_load_dwordx4 s[16:19], s[4:5], 0x20
	s_load_dword s15, s[4:5], 0x18
	s_load_dwordx2 s[20:21], s[4:5], 0x10
	s_load_dwordx2 s[22:23], s[4:5], 0x38
	v_lshl_add_u32 v2, v1, 4, v0
	v_and_b32_e32 v9, 7, v0
	v_lshlrev_b32_e32 v14, 2, v0
	v_lshl_add_u32 v15, v1, 5, 0x400
	v_and_b32_e32 v3, 31, v2
	v_lshrrev_b32_e32 v4, 3, v2
	v_lshlrev_b32_e32 v5, 2, v9
	v_lshrrev_b32_e32 v10, 5, v2
	v_or_b32_e32 v6, s8, v3
	v_lshlrev_b32_e32 v7, 2, v3
	v_add_nc_u32_e32 v3, s8, v3
	v_add_nc_u32_e32 v2, s11, v4
	v_lshl_or_b32 v8, v4, 5, v5
	s_waitcnt lgkmcnt(0)
	s_ashr_i32 s7, s6, 31
	s_add_u32 s18, s18, s0
	v_mad_i64_i32 v[4:5], null, s15, v3, 0
	s_addc_u32 s19, s19, s1
	v_cmp_gt_i32_e32 vcc_lo, s12, v6
	v_lshl_or_b32 v12, v10, 7, v7
	s_add_u32 s0, s20, s0
	v_mad_i64_i32 v[6:7], null, s6, v9, 0
	s_addc_u32 s1, s21, s1
	s_load_dwordx2 s[18:19], s[18:19], 0x0
	s_load_dwordx2 s[20:21], s[0:1], 0x0
	v_lshlrev_b64 v[4:5], 2, v[4:5]
	v_add_nc_u32_e32 v13, 0x400, v8
	v_ashrrev_i32_e32 v3, 31, v2
	s_lshl_b64 s[16:17], s[16:17], 2
	v_lshlrev_b64 v[7:8], 2, v[6:7]
	v_lshlrev_b32_e32 v11, 2, v10
	v_add_co_u32 v4, s1, v4, s16
	v_add_co_ci_u32_e64 v5, null, s17, v5, s1
	s_lshl_b64 s[16:17], s[22:23], 2
	v_cmp_gt_i32_e64 s0, s12, v2
	v_lshlrev_b64 v[2:3], 2, v[2:3]
	v_add_co_u32 v7, s1, v7, s16
	v_add_co_ci_u32_e64 v8, null, s17, v8, s1
	v_add_co_u32 v4, s1, v4, v11
	v_add_co_ci_u32_e64 v5, null, 0, v5, s1
	;; [unrolled: 2-line block ×3, first 2 shown]
	s_waitcnt lgkmcnt(0)
	v_add_co_u32 v2, s1, s20, v4
	v_add_co_ci_u32_e64 v3, null, s21, v5, s1
	v_add_co_u32 v4, s1, s18, v7
	v_mov_b32_e32 v6, 0
	v_add_co_ci_u32_e64 v5, null, s19, v8, s1
	v_mov_b32_e32 v7, 0
	v_mov_b32_e32 v8, 0
	v_mov_b32_e32 v11, 0
	s_lshl_b64 s[6:7], s[6:7], 5
	s_branch .LBB310_6
.LBB310_5:                              ;   in Loop: Header=BB310_6 Depth=1
	s_or_b32 exec_lo, exec_lo, s1
	s_waitcnt vmcnt(0) lgkmcnt(0)
	ds_write_b32 v13, v17
	s_waitcnt lgkmcnt(0)
	s_barrier
	buffer_gl0_inv
	ds_read_b128 v[16:19], v15
	ds_read2_b32 v[32:33], v14 offset1:16
	ds_read_b128 v[20:23], v15 offset:512
	ds_read2_b32 v[34:35], v14 offset0:32 offset1:48
	ds_read2_b32 v[36:37], v14 offset0:64 offset1:80
	;; [unrolled: 1-line block ×3, first 2 shown]
	ds_read_b128 v[24:27], v15 offset:16
	ds_read2_b32 v[40:41], v14 offset0:128 offset1:144
	ds_read_b128 v[28:31], v15 offset:528
	v_add_co_u32 v2, s1, v2, 32
	v_add_co_ci_u32_e64 v3, null, 0, v3, s1
	v_add_co_u32 v4, s1, v4, s6
	v_add_co_ci_u32_e64 v5, null, s7, v5, s1
	s_add_i32 s9, s9, 8
	s_cmp_lt_i32 s9, s13
	s_waitcnt lgkmcnt(7)
	v_fmac_f32_e32 v11, v32, v16
	v_fmac_f32_e32 v8, v33, v16
	s_waitcnt lgkmcnt(6)
	v_fmac_f32_e32 v7, v32, v20
	v_fmac_f32_e32 v6, v33, v20
	ds_read2_b32 v[32:33], v14 offset0:160 offset1:176
	s_waitcnt lgkmcnt(6)
	v_fmac_f32_e32 v11, v34, v17
	v_fmac_f32_e32 v8, v35, v17
	v_fmac_f32_e32 v7, v34, v21
	v_fmac_f32_e32 v6, v35, v21
	ds_read2_b32 v[16:17], v14 offset0:192 offset1:208
	s_waitcnt lgkmcnt(6)
	v_fmac_f32_e32 v11, v36, v18
	v_fmac_f32_e32 v8, v37, v18
	;; [unrolled: 6-line block ×3, first 2 shown]
	v_fmac_f32_e32 v7, v38, v23
	v_fmac_f32_e32 v6, v39, v23
	s_waitcnt lgkmcnt(0)
	v_fmac_f32_e32 v11, v40, v24
	v_fmac_f32_e32 v8, v41, v24
	;; [unrolled: 1-line block ×4, first 2 shown]
	s_barrier
	v_fmac_f32_e32 v11, v32, v25
	v_fmac_f32_e32 v8, v33, v25
	;; [unrolled: 1-line block ×4, first 2 shown]
	buffer_gl0_inv
	v_fmac_f32_e32 v11, v16, v26
	v_fmac_f32_e32 v8, v17, v26
	;; [unrolled: 1-line block ×8, first 2 shown]
	s_cbranch_scc0 .LBB310_10
.LBB310_6:                              ; =>This Inner Loop Header: Depth=1
	v_add_nc_u32_e32 v16, s9, v10
	v_cmp_gt_i32_e64 s1, s13, v16
	v_mov_b32_e32 v16, 0
	s_and_b32 s15, vcc_lo, s1
	s_and_saveexec_b32 s1, s15
	s_cbranch_execz .LBB310_8
; %bb.7:                                ;   in Loop: Header=BB310_6 Depth=1
	flat_load_dword v16, v[2:3]
.LBB310_8:                              ;   in Loop: Header=BB310_6 Depth=1
	s_or_b32 exec_lo, exec_lo, s1
	v_add_nc_u32_e32 v17, s9, v9
	s_waitcnt vmcnt(0) lgkmcnt(0)
	ds_write_b32 v12, v16
	v_cmp_gt_i32_e64 s1, s13, v17
	v_mov_b32_e32 v17, 0
	s_and_b32 s15, s1, s0
	s_and_saveexec_b32 s1, s15
	s_cbranch_execz .LBB310_5
; %bb.9:                                ;   in Loop: Header=BB310_6 Depth=1
	flat_load_dword v17, v[4:5]
	s_branch .LBB310_5
.LBB310_10:
	s_clause 0x1
	s_load_dword s6, s[4:5], 0x50
	s_load_dwordx2 s[4:5], s[4:5], 0x58
	v_add_nc_u32_e32 v10, s11, v1
	v_add_nc_u32_e32 v0, s8, v0
	v_cmp_gt_i32_e64 s0, s12, v10
	v_cmp_le_i32_e32 vcc_lo, v0, v10
	s_waitcnt lgkmcnt(0)
	v_mad_i64_i32 v[1:2], null, v10, s6, 0
	s_lshl_b64 s[4:5], s[4:5], 2
	s_add_u32 s2, s2, s4
	v_cmp_neq_f32_e64 s4, s10, 0
	s_addc_u32 s3, s3, s5
	s_and_b32 s5, s0, vcc_lo
	v_lshlrev_b64 v[2:3], 2, v[1:2]
	v_ashrrev_i32_e32 v1, 31, v0
	v_cndmask_b32_e64 v9, 0, 1, s4
	v_add_co_u32 v4, s1, s2, v2
	v_add_co_ci_u32_e64 v5, null, s3, v3, s1
	s_and_saveexec_b32 s1, s5
	s_cbranch_execz .LBB310_14
; %bb.11:
	v_lshlrev_b64 v[2:3], 2, v[0:1]
	v_mul_f32_e32 v11, s14, v11
	v_add_co_u32 v2, vcc_lo, v4, v2
	v_add_co_ci_u32_e64 v3, null, v5, v3, vcc_lo
	s_andn2_b32 vcc_lo, exec_lo, s4
	s_cbranch_vccnz .LBB310_13
; %bb.12:
	flat_load_dword v12, v[2:3]
	s_waitcnt vmcnt(0) lgkmcnt(0)
	v_fmac_f32_e32 v11, s10, v12
.LBB310_13:
	flat_store_dword v[2:3], v11
.LBB310_14:
	s_or_b32 exec_lo, exec_lo, s1
	v_add_nc_u32_e32 v2, 16, v0
	v_cmp_le_i32_e32 vcc_lo, v2, v10
	v_ashrrev_i32_e32 v3, 31, v2
	s_and_b32 s0, s0, vcc_lo
	s_and_saveexec_b32 s1, s0
	s_cbranch_execz .LBB310_18
; %bb.15:
	v_lshlrev_b64 v[11:12], 2, v[2:3]
	v_cmp_ne_u32_e32 vcc_lo, 1, v9
	v_mul_f32_e32 v8, s14, v8
	v_add_co_u32 v4, s0, v4, v11
	v_add_co_ci_u32_e64 v5, null, v5, v12, s0
	s_cbranch_vccnz .LBB310_17
; %bb.16:
	flat_load_dword v11, v[4:5]
	s_waitcnt vmcnt(0) lgkmcnt(0)
	v_fmac_f32_e32 v8, s10, v11
.LBB310_17:
	flat_store_dword v[4:5], v8
.LBB310_18:
	s_or_b32 exec_lo, exec_lo, s1
	v_add_nc_u32_e32 v8, 16, v10
	v_mad_i64_i32 v[4:5], null, v8, s6, 0
	v_cmp_gt_i32_e64 s0, s12, v8
	v_cmp_le_i32_e32 vcc_lo, v0, v8
	v_lshlrev_b64 v[4:5], 2, v[4:5]
	v_add_co_u32 v4, s1, s2, v4
	v_add_co_ci_u32_e64 v5, null, s3, v5, s1
	s_and_b32 s1, s0, vcc_lo
	s_and_saveexec_b32 s2, s1
	s_cbranch_execz .LBB310_22
; %bb.19:
	v_lshlrev_b64 v[0:1], 2, v[0:1]
	v_cmp_ne_u32_e32 vcc_lo, 1, v9
	v_mul_f32_e32 v7, s14, v7
	v_add_co_u32 v0, s1, v4, v0
	v_add_co_ci_u32_e64 v1, null, v5, v1, s1
	s_cbranch_vccnz .LBB310_21
; %bb.20:
	flat_load_dword v10, v[0:1]
	s_waitcnt vmcnt(0) lgkmcnt(0)
	v_fmac_f32_e32 v7, s10, v10
.LBB310_21:
	flat_store_dword v[0:1], v7
.LBB310_22:
	s_or_b32 exec_lo, exec_lo, s2
	v_cmp_le_i32_e32 vcc_lo, v2, v8
	s_and_b32 s0, s0, vcc_lo
	s_and_saveexec_b32 s1, s0
	s_cbranch_execz .LBB310_26
; %bb.23:
	v_lshlrev_b64 v[0:1], 2, v[2:3]
	v_cmp_ne_u32_e32 vcc_lo, 1, v9
	v_mul_f32_e32 v2, s14, v6
	v_add_co_u32 v0, s0, v4, v0
	v_add_co_ci_u32_e64 v1, null, v5, v1, s0
	s_cbranch_vccnz .LBB310_25
; %bb.24:
	flat_load_dword v3, v[0:1]
	s_waitcnt vmcnt(0) lgkmcnt(0)
	v_fmac_f32_e32 v2, s10, v3
.LBB310_25:
	flat_store_dword v[0:1], v2
.LBB310_26:
	s_endpgm
	.section	.rodata,"a",@progbits
	.p2align	6, 0x0
	.amdhsa_kernel _ZL29rocblas_internal_gemmt_kernelIiLi16ELi32ELi8ELc84ELc84ELc85ELb0ELb0EffPKPKfPKPfEviT_T9_T10_S7_lS9_S7_lS8_T11_S7_li
		.amdhsa_group_segment_fixed_size 2048
		.amdhsa_private_segment_fixed_size 0
		.amdhsa_kernarg_size 100
		.amdhsa_user_sgpr_count 6
		.amdhsa_user_sgpr_private_segment_buffer 1
		.amdhsa_user_sgpr_dispatch_ptr 0
		.amdhsa_user_sgpr_queue_ptr 0
		.amdhsa_user_sgpr_kernarg_segment_ptr 1
		.amdhsa_user_sgpr_dispatch_id 0
		.amdhsa_user_sgpr_flat_scratch_init 0
		.amdhsa_user_sgpr_private_segment_size 0
		.amdhsa_wavefront_size32 1
		.amdhsa_uses_dynamic_stack 0
		.amdhsa_system_sgpr_private_segment_wavefront_offset 0
		.amdhsa_system_sgpr_workgroup_id_x 1
		.amdhsa_system_sgpr_workgroup_id_y 1
		.amdhsa_system_sgpr_workgroup_id_z 1
		.amdhsa_system_sgpr_workgroup_info 0
		.amdhsa_system_vgpr_workitem_id 1
		.amdhsa_next_free_vgpr 42
		.amdhsa_next_free_sgpr 24
		.amdhsa_reserve_vcc 1
		.amdhsa_reserve_flat_scratch 0
		.amdhsa_float_round_mode_32 0
		.amdhsa_float_round_mode_16_64 0
		.amdhsa_float_denorm_mode_32 3
		.amdhsa_float_denorm_mode_16_64 3
		.amdhsa_dx10_clamp 1
		.amdhsa_ieee_mode 1
		.amdhsa_fp16_overflow 0
		.amdhsa_workgroup_processor_mode 1
		.amdhsa_memory_ordered 1
		.amdhsa_forward_progress 1
		.amdhsa_shared_vgpr_count 0
		.amdhsa_exception_fp_ieee_invalid_op 0
		.amdhsa_exception_fp_denorm_src 0
		.amdhsa_exception_fp_ieee_div_zero 0
		.amdhsa_exception_fp_ieee_overflow 0
		.amdhsa_exception_fp_ieee_underflow 0
		.amdhsa_exception_fp_ieee_inexact 0
		.amdhsa_exception_int_div_zero 0
	.end_amdhsa_kernel
	.section	.text._ZL29rocblas_internal_gemmt_kernelIiLi16ELi32ELi8ELc84ELc84ELc85ELb0ELb0EffPKPKfPKPfEviT_T9_T10_S7_lS9_S7_lS8_T11_S7_li,"axG",@progbits,_ZL29rocblas_internal_gemmt_kernelIiLi16ELi32ELi8ELc84ELc84ELc85ELb0ELb0EffPKPKfPKPfEviT_T9_T10_S7_lS9_S7_lS8_T11_S7_li,comdat
.Lfunc_end310:
	.size	_ZL29rocblas_internal_gemmt_kernelIiLi16ELi32ELi8ELc84ELc84ELc85ELb0ELb0EffPKPKfPKPfEviT_T9_T10_S7_lS9_S7_lS8_T11_S7_li, .Lfunc_end310-_ZL29rocblas_internal_gemmt_kernelIiLi16ELi32ELi8ELc84ELc84ELc85ELb0ELb0EffPKPKfPKPfEviT_T9_T10_S7_lS9_S7_lS8_T11_S7_li
                                        ; -- End function
	.set _ZL29rocblas_internal_gemmt_kernelIiLi16ELi32ELi8ELc84ELc84ELc85ELb0ELb0EffPKPKfPKPfEviT_T9_T10_S7_lS9_S7_lS8_T11_S7_li.num_vgpr, 42
	.set _ZL29rocblas_internal_gemmt_kernelIiLi16ELi32ELi8ELc84ELc84ELc85ELb0ELb0EffPKPKfPKPfEviT_T9_T10_S7_lS9_S7_lS8_T11_S7_li.num_agpr, 0
	.set _ZL29rocblas_internal_gemmt_kernelIiLi16ELi32ELi8ELc84ELc84ELc85ELb0ELb0EffPKPKfPKPfEviT_T9_T10_S7_lS9_S7_lS8_T11_S7_li.numbered_sgpr, 24
	.set _ZL29rocblas_internal_gemmt_kernelIiLi16ELi32ELi8ELc84ELc84ELc85ELb0ELb0EffPKPKfPKPfEviT_T9_T10_S7_lS9_S7_lS8_T11_S7_li.num_named_barrier, 0
	.set _ZL29rocblas_internal_gemmt_kernelIiLi16ELi32ELi8ELc84ELc84ELc85ELb0ELb0EffPKPKfPKPfEviT_T9_T10_S7_lS9_S7_lS8_T11_S7_li.private_seg_size, 0
	.set _ZL29rocblas_internal_gemmt_kernelIiLi16ELi32ELi8ELc84ELc84ELc85ELb0ELb0EffPKPKfPKPfEviT_T9_T10_S7_lS9_S7_lS8_T11_S7_li.uses_vcc, 1
	.set _ZL29rocblas_internal_gemmt_kernelIiLi16ELi32ELi8ELc84ELc84ELc85ELb0ELb0EffPKPKfPKPfEviT_T9_T10_S7_lS9_S7_lS8_T11_S7_li.uses_flat_scratch, 0
	.set _ZL29rocblas_internal_gemmt_kernelIiLi16ELi32ELi8ELc84ELc84ELc85ELb0ELb0EffPKPKfPKPfEviT_T9_T10_S7_lS9_S7_lS8_T11_S7_li.has_dyn_sized_stack, 0
	.set _ZL29rocblas_internal_gemmt_kernelIiLi16ELi32ELi8ELc84ELc84ELc85ELb0ELb0EffPKPKfPKPfEviT_T9_T10_S7_lS9_S7_lS8_T11_S7_li.has_recursion, 0
	.set _ZL29rocblas_internal_gemmt_kernelIiLi16ELi32ELi8ELc84ELc84ELc85ELb0ELb0EffPKPKfPKPfEviT_T9_T10_S7_lS9_S7_lS8_T11_S7_li.has_indirect_call, 0
	.section	.AMDGPU.csdata,"",@progbits
; Kernel info:
; codeLenInByte = 1420
; TotalNumSgprs: 26
; NumVgprs: 42
; ScratchSize: 0
; MemoryBound: 0
; FloatMode: 240
; IeeeMode: 1
; LDSByteSize: 2048 bytes/workgroup (compile time only)
; SGPRBlocks: 0
; VGPRBlocks: 5
; NumSGPRsForWavesPerEU: 26
; NumVGPRsForWavesPerEU: 42
; Occupancy: 16
; WaveLimiterHint : 1
; COMPUTE_PGM_RSRC2:SCRATCH_EN: 0
; COMPUTE_PGM_RSRC2:USER_SGPR: 6
; COMPUTE_PGM_RSRC2:TRAP_HANDLER: 0
; COMPUTE_PGM_RSRC2:TGID_X_EN: 1
; COMPUTE_PGM_RSRC2:TGID_Y_EN: 1
; COMPUTE_PGM_RSRC2:TGID_Z_EN: 1
; COMPUTE_PGM_RSRC2:TIDIG_COMP_CNT: 1
	.section	.text._ZL29rocblas_internal_gemmt_kernelIiLi16ELi32ELi8ELc84ELc67ELc85ELb0ELb0EffPKPKfPKPfEviT_T9_T10_S7_lS9_S7_lS8_T11_S7_li,"axG",@progbits,_ZL29rocblas_internal_gemmt_kernelIiLi16ELi32ELi8ELc84ELc67ELc85ELb0ELb0EffPKPKfPKPfEviT_T9_T10_S7_lS9_S7_lS8_T11_S7_li,comdat
	.globl	_ZL29rocblas_internal_gemmt_kernelIiLi16ELi32ELi8ELc84ELc67ELc85ELb0ELb0EffPKPKfPKPfEviT_T9_T10_S7_lS9_S7_lS8_T11_S7_li ; -- Begin function _ZL29rocblas_internal_gemmt_kernelIiLi16ELi32ELi8ELc84ELc67ELc85ELb0ELb0EffPKPKfPKPfEviT_T9_T10_S7_lS9_S7_lS8_T11_S7_li
	.p2align	8
	.type	_ZL29rocblas_internal_gemmt_kernelIiLi16ELi32ELi8ELc84ELc67ELc85ELb0ELb0EffPKPKfPKPfEviT_T9_T10_S7_lS9_S7_lS8_T11_S7_li,@function
_ZL29rocblas_internal_gemmt_kernelIiLi16ELi32ELi8ELc84ELc67ELc85ELb0ELb0EffPKPKfPKPfEviT_T9_T10_S7_lS9_S7_lS8_T11_S7_li: ; @_ZL29rocblas_internal_gemmt_kernelIiLi16ELi32ELi8ELc84ELc67ELc85ELb0ELb0EffPKPKfPKPfEviT_T9_T10_S7_lS9_S7_lS8_T11_S7_li
; %bb.0:
	s_clause 0x1
	s_load_dword s10, s[4:5], 0x40
	s_load_dwordx4 s[12:15], s[4:5], 0x0
	s_waitcnt lgkmcnt(0)
	v_cmp_neq_f32_e64 s0, s10, 1.0
	s_and_b32 vcc_lo, exec_lo, s0
	s_cbranch_vccnz .LBB311_2
; %bb.1:
	v_cmp_neq_f32_e64 s0, s14, 0
	s_cmp_lg_u32 s13, 0
	s_cselect_b32 s1, -1, 0
	s_and_b32 s0, s1, s0
.LBB311_2:
	s_andn2_b32 vcc_lo, exec_lo, s0
	s_cbranch_vccnz .LBB311_26
; %bb.3:
	s_load_dwordx2 s[2:3], s[4:5], 0x48
	s_mov_b32 s9, 0
	v_mov_b32_e32 v11, 0
	s_lshl_b64 s[0:1], s[8:9], 3
	v_mov_b32_e32 v8, 0
	v_mov_b32_e32 v7, 0
	;; [unrolled: 1-line block ×3, first 2 shown]
	s_waitcnt lgkmcnt(0)
	s_add_u32 s2, s2, s0
	s_addc_u32 s3, s3, s1
	s_lshl_b32 s8, s6, 5
	s_load_dwordx2 s[2:3], s[2:3], 0x0
	s_lshl_b32 s11, s7, 5
	v_cmp_eq_f32_e64 s6, s14, 0
	s_cmp_lt_i32 s13, 1
	s_cselect_b32 s7, -1, 0
	s_or_b32 s6, s6, s7
	s_and_b32 vcc_lo, exec_lo, s6
	s_cbranch_vccnz .LBB311_10
; %bb.4:
	s_clause 0x4
	s_load_dword s6, s[4:5], 0x30
	s_load_dwordx4 s[16:19], s[4:5], 0x20
	s_load_dword s15, s[4:5], 0x18
	s_load_dwordx2 s[20:21], s[4:5], 0x10
	s_load_dwordx2 s[22:23], s[4:5], 0x38
	v_lshl_add_u32 v2, v1, 4, v0
	v_and_b32_e32 v9, 7, v0
	v_lshlrev_b32_e32 v14, 2, v0
	v_lshl_add_u32 v15, v1, 5, 0x400
	v_and_b32_e32 v3, 31, v2
	v_lshrrev_b32_e32 v4, 3, v2
	v_lshlrev_b32_e32 v5, 2, v9
	v_lshrrev_b32_e32 v10, 5, v2
	v_or_b32_e32 v6, s8, v3
	v_lshlrev_b32_e32 v7, 2, v3
	v_add_nc_u32_e32 v3, s8, v3
	v_add_nc_u32_e32 v2, s11, v4
	v_lshl_or_b32 v8, v4, 5, v5
	s_waitcnt lgkmcnt(0)
	s_ashr_i32 s7, s6, 31
	s_add_u32 s18, s18, s0
	v_mad_i64_i32 v[4:5], null, s15, v3, 0
	s_addc_u32 s19, s19, s1
	v_cmp_gt_i32_e32 vcc_lo, s12, v6
	v_lshl_or_b32 v12, v10, 7, v7
	s_add_u32 s0, s20, s0
	v_mad_i64_i32 v[6:7], null, s6, v9, 0
	s_addc_u32 s1, s21, s1
	s_load_dwordx2 s[18:19], s[18:19], 0x0
	s_load_dwordx2 s[20:21], s[0:1], 0x0
	v_lshlrev_b64 v[4:5], 2, v[4:5]
	v_add_nc_u32_e32 v13, 0x400, v8
	v_ashrrev_i32_e32 v3, 31, v2
	s_lshl_b64 s[16:17], s[16:17], 2
	v_lshlrev_b64 v[7:8], 2, v[6:7]
	v_lshlrev_b32_e32 v11, 2, v10
	v_add_co_u32 v4, s1, v4, s16
	v_add_co_ci_u32_e64 v5, null, s17, v5, s1
	s_lshl_b64 s[16:17], s[22:23], 2
	v_cmp_gt_i32_e64 s0, s12, v2
	v_lshlrev_b64 v[2:3], 2, v[2:3]
	v_add_co_u32 v7, s1, v7, s16
	v_add_co_ci_u32_e64 v8, null, s17, v8, s1
	v_add_co_u32 v4, s1, v4, v11
	v_add_co_ci_u32_e64 v5, null, 0, v5, s1
	;; [unrolled: 2-line block ×3, first 2 shown]
	s_waitcnt lgkmcnt(0)
	v_add_co_u32 v2, s1, s20, v4
	v_add_co_ci_u32_e64 v3, null, s21, v5, s1
	v_add_co_u32 v4, s1, s18, v7
	v_mov_b32_e32 v6, 0
	v_add_co_ci_u32_e64 v5, null, s19, v8, s1
	v_mov_b32_e32 v7, 0
	v_mov_b32_e32 v8, 0
	;; [unrolled: 1-line block ×3, first 2 shown]
	s_lshl_b64 s[6:7], s[6:7], 5
	s_branch .LBB311_6
.LBB311_5:                              ;   in Loop: Header=BB311_6 Depth=1
	s_or_b32 exec_lo, exec_lo, s1
	s_waitcnt vmcnt(0) lgkmcnt(0)
	ds_write_b32 v13, v17
	s_waitcnt lgkmcnt(0)
	s_barrier
	buffer_gl0_inv
	ds_read_b128 v[16:19], v15
	ds_read2_b32 v[32:33], v14 offset1:16
	ds_read_b128 v[20:23], v15 offset:512
	ds_read2_b32 v[34:35], v14 offset0:32 offset1:48
	ds_read2_b32 v[36:37], v14 offset0:64 offset1:80
	;; [unrolled: 1-line block ×3, first 2 shown]
	ds_read_b128 v[24:27], v15 offset:16
	ds_read2_b32 v[40:41], v14 offset0:128 offset1:144
	ds_read_b128 v[28:31], v15 offset:528
	v_add_co_u32 v2, s1, v2, 32
	v_add_co_ci_u32_e64 v3, null, 0, v3, s1
	v_add_co_u32 v4, s1, v4, s6
	v_add_co_ci_u32_e64 v5, null, s7, v5, s1
	s_add_i32 s9, s9, 8
	s_cmp_lt_i32 s9, s13
	s_waitcnt lgkmcnt(7)
	v_fmac_f32_e32 v11, v32, v16
	v_fmac_f32_e32 v8, v33, v16
	s_waitcnt lgkmcnt(6)
	v_fmac_f32_e32 v7, v32, v20
	v_fmac_f32_e32 v6, v33, v20
	ds_read2_b32 v[32:33], v14 offset0:160 offset1:176
	s_waitcnt lgkmcnt(6)
	v_fmac_f32_e32 v11, v34, v17
	v_fmac_f32_e32 v8, v35, v17
	v_fmac_f32_e32 v7, v34, v21
	v_fmac_f32_e32 v6, v35, v21
	ds_read2_b32 v[16:17], v14 offset0:192 offset1:208
	s_waitcnt lgkmcnt(6)
	v_fmac_f32_e32 v11, v36, v18
	v_fmac_f32_e32 v8, v37, v18
	;; [unrolled: 6-line block ×3, first 2 shown]
	v_fmac_f32_e32 v7, v38, v23
	v_fmac_f32_e32 v6, v39, v23
	s_waitcnt lgkmcnt(0)
	v_fmac_f32_e32 v11, v40, v24
	v_fmac_f32_e32 v8, v41, v24
	;; [unrolled: 1-line block ×4, first 2 shown]
	s_barrier
	v_fmac_f32_e32 v11, v32, v25
	v_fmac_f32_e32 v8, v33, v25
	;; [unrolled: 1-line block ×4, first 2 shown]
	buffer_gl0_inv
	v_fmac_f32_e32 v11, v16, v26
	v_fmac_f32_e32 v8, v17, v26
	;; [unrolled: 1-line block ×8, first 2 shown]
	s_cbranch_scc0 .LBB311_10
.LBB311_6:                              ; =>This Inner Loop Header: Depth=1
	v_add_nc_u32_e32 v16, s9, v10
	v_cmp_gt_i32_e64 s1, s13, v16
	v_mov_b32_e32 v16, 0
	s_and_b32 s15, vcc_lo, s1
	s_and_saveexec_b32 s1, s15
	s_cbranch_execz .LBB311_8
; %bb.7:                                ;   in Loop: Header=BB311_6 Depth=1
	flat_load_dword v16, v[2:3]
.LBB311_8:                              ;   in Loop: Header=BB311_6 Depth=1
	s_or_b32 exec_lo, exec_lo, s1
	v_add_nc_u32_e32 v17, s9, v9
	s_waitcnt vmcnt(0) lgkmcnt(0)
	ds_write_b32 v12, v16
	v_cmp_gt_i32_e64 s1, s13, v17
	v_mov_b32_e32 v17, 0
	s_and_b32 s15, s1, s0
	s_and_saveexec_b32 s1, s15
	s_cbranch_execz .LBB311_5
; %bb.9:                                ;   in Loop: Header=BB311_6 Depth=1
	flat_load_dword v17, v[4:5]
	s_branch .LBB311_5
.LBB311_10:
	s_clause 0x1
	s_load_dword s6, s[4:5], 0x50
	s_load_dwordx2 s[4:5], s[4:5], 0x58
	v_add_nc_u32_e32 v10, s11, v1
	v_add_nc_u32_e32 v0, s8, v0
	v_cmp_gt_i32_e64 s0, s12, v10
	v_cmp_le_i32_e32 vcc_lo, v0, v10
	s_waitcnt lgkmcnt(0)
	v_mad_i64_i32 v[1:2], null, v10, s6, 0
	s_lshl_b64 s[4:5], s[4:5], 2
	s_add_u32 s2, s2, s4
	v_cmp_neq_f32_e64 s4, s10, 0
	s_addc_u32 s3, s3, s5
	s_and_b32 s5, s0, vcc_lo
	v_lshlrev_b64 v[2:3], 2, v[1:2]
	v_ashrrev_i32_e32 v1, 31, v0
	v_cndmask_b32_e64 v9, 0, 1, s4
	v_add_co_u32 v4, s1, s2, v2
	v_add_co_ci_u32_e64 v5, null, s3, v3, s1
	s_and_saveexec_b32 s1, s5
	s_cbranch_execz .LBB311_14
; %bb.11:
	v_lshlrev_b64 v[2:3], 2, v[0:1]
	v_mul_f32_e32 v11, s14, v11
	v_add_co_u32 v2, vcc_lo, v4, v2
	v_add_co_ci_u32_e64 v3, null, v5, v3, vcc_lo
	s_andn2_b32 vcc_lo, exec_lo, s4
	s_cbranch_vccnz .LBB311_13
; %bb.12:
	flat_load_dword v12, v[2:3]
	s_waitcnt vmcnt(0) lgkmcnt(0)
	v_fmac_f32_e32 v11, s10, v12
.LBB311_13:
	flat_store_dword v[2:3], v11
.LBB311_14:
	s_or_b32 exec_lo, exec_lo, s1
	v_add_nc_u32_e32 v2, 16, v0
	v_cmp_le_i32_e32 vcc_lo, v2, v10
	v_ashrrev_i32_e32 v3, 31, v2
	s_and_b32 s0, s0, vcc_lo
	s_and_saveexec_b32 s1, s0
	s_cbranch_execz .LBB311_18
; %bb.15:
	v_lshlrev_b64 v[11:12], 2, v[2:3]
	v_cmp_ne_u32_e32 vcc_lo, 1, v9
	v_mul_f32_e32 v8, s14, v8
	v_add_co_u32 v4, s0, v4, v11
	v_add_co_ci_u32_e64 v5, null, v5, v12, s0
	s_cbranch_vccnz .LBB311_17
; %bb.16:
	flat_load_dword v11, v[4:5]
	s_waitcnt vmcnt(0) lgkmcnt(0)
	v_fmac_f32_e32 v8, s10, v11
.LBB311_17:
	flat_store_dword v[4:5], v8
.LBB311_18:
	s_or_b32 exec_lo, exec_lo, s1
	v_add_nc_u32_e32 v8, 16, v10
	v_mad_i64_i32 v[4:5], null, v8, s6, 0
	v_cmp_gt_i32_e64 s0, s12, v8
	v_cmp_le_i32_e32 vcc_lo, v0, v8
	v_lshlrev_b64 v[4:5], 2, v[4:5]
	v_add_co_u32 v4, s1, s2, v4
	v_add_co_ci_u32_e64 v5, null, s3, v5, s1
	s_and_b32 s1, s0, vcc_lo
	s_and_saveexec_b32 s2, s1
	s_cbranch_execz .LBB311_22
; %bb.19:
	v_lshlrev_b64 v[0:1], 2, v[0:1]
	v_cmp_ne_u32_e32 vcc_lo, 1, v9
	v_mul_f32_e32 v7, s14, v7
	v_add_co_u32 v0, s1, v4, v0
	v_add_co_ci_u32_e64 v1, null, v5, v1, s1
	s_cbranch_vccnz .LBB311_21
; %bb.20:
	flat_load_dword v10, v[0:1]
	s_waitcnt vmcnt(0) lgkmcnt(0)
	v_fmac_f32_e32 v7, s10, v10
.LBB311_21:
	flat_store_dword v[0:1], v7
.LBB311_22:
	s_or_b32 exec_lo, exec_lo, s2
	v_cmp_le_i32_e32 vcc_lo, v2, v8
	s_and_b32 s0, s0, vcc_lo
	s_and_saveexec_b32 s1, s0
	s_cbranch_execz .LBB311_26
; %bb.23:
	v_lshlrev_b64 v[0:1], 2, v[2:3]
	v_cmp_ne_u32_e32 vcc_lo, 1, v9
	v_mul_f32_e32 v2, s14, v6
	v_add_co_u32 v0, s0, v4, v0
	v_add_co_ci_u32_e64 v1, null, v5, v1, s0
	s_cbranch_vccnz .LBB311_25
; %bb.24:
	flat_load_dword v3, v[0:1]
	s_waitcnt vmcnt(0) lgkmcnt(0)
	v_fmac_f32_e32 v2, s10, v3
.LBB311_25:
	flat_store_dword v[0:1], v2
.LBB311_26:
	s_endpgm
	.section	.rodata,"a",@progbits
	.p2align	6, 0x0
	.amdhsa_kernel _ZL29rocblas_internal_gemmt_kernelIiLi16ELi32ELi8ELc84ELc67ELc85ELb0ELb0EffPKPKfPKPfEviT_T9_T10_S7_lS9_S7_lS8_T11_S7_li
		.amdhsa_group_segment_fixed_size 2048
		.amdhsa_private_segment_fixed_size 0
		.amdhsa_kernarg_size 100
		.amdhsa_user_sgpr_count 6
		.amdhsa_user_sgpr_private_segment_buffer 1
		.amdhsa_user_sgpr_dispatch_ptr 0
		.amdhsa_user_sgpr_queue_ptr 0
		.amdhsa_user_sgpr_kernarg_segment_ptr 1
		.amdhsa_user_sgpr_dispatch_id 0
		.amdhsa_user_sgpr_flat_scratch_init 0
		.amdhsa_user_sgpr_private_segment_size 0
		.amdhsa_wavefront_size32 1
		.amdhsa_uses_dynamic_stack 0
		.amdhsa_system_sgpr_private_segment_wavefront_offset 0
		.amdhsa_system_sgpr_workgroup_id_x 1
		.amdhsa_system_sgpr_workgroup_id_y 1
		.amdhsa_system_sgpr_workgroup_id_z 1
		.amdhsa_system_sgpr_workgroup_info 0
		.amdhsa_system_vgpr_workitem_id 1
		.amdhsa_next_free_vgpr 42
		.amdhsa_next_free_sgpr 24
		.amdhsa_reserve_vcc 1
		.amdhsa_reserve_flat_scratch 0
		.amdhsa_float_round_mode_32 0
		.amdhsa_float_round_mode_16_64 0
		.amdhsa_float_denorm_mode_32 3
		.amdhsa_float_denorm_mode_16_64 3
		.amdhsa_dx10_clamp 1
		.amdhsa_ieee_mode 1
		.amdhsa_fp16_overflow 0
		.amdhsa_workgroup_processor_mode 1
		.amdhsa_memory_ordered 1
		.amdhsa_forward_progress 1
		.amdhsa_shared_vgpr_count 0
		.amdhsa_exception_fp_ieee_invalid_op 0
		.amdhsa_exception_fp_denorm_src 0
		.amdhsa_exception_fp_ieee_div_zero 0
		.amdhsa_exception_fp_ieee_overflow 0
		.amdhsa_exception_fp_ieee_underflow 0
		.amdhsa_exception_fp_ieee_inexact 0
		.amdhsa_exception_int_div_zero 0
	.end_amdhsa_kernel
	.section	.text._ZL29rocblas_internal_gemmt_kernelIiLi16ELi32ELi8ELc84ELc67ELc85ELb0ELb0EffPKPKfPKPfEviT_T9_T10_S7_lS9_S7_lS8_T11_S7_li,"axG",@progbits,_ZL29rocblas_internal_gemmt_kernelIiLi16ELi32ELi8ELc84ELc67ELc85ELb0ELb0EffPKPKfPKPfEviT_T9_T10_S7_lS9_S7_lS8_T11_S7_li,comdat
.Lfunc_end311:
	.size	_ZL29rocblas_internal_gemmt_kernelIiLi16ELi32ELi8ELc84ELc67ELc85ELb0ELb0EffPKPKfPKPfEviT_T9_T10_S7_lS9_S7_lS8_T11_S7_li, .Lfunc_end311-_ZL29rocblas_internal_gemmt_kernelIiLi16ELi32ELi8ELc84ELc67ELc85ELb0ELb0EffPKPKfPKPfEviT_T9_T10_S7_lS9_S7_lS8_T11_S7_li
                                        ; -- End function
	.set _ZL29rocblas_internal_gemmt_kernelIiLi16ELi32ELi8ELc84ELc67ELc85ELb0ELb0EffPKPKfPKPfEviT_T9_T10_S7_lS9_S7_lS8_T11_S7_li.num_vgpr, 42
	.set _ZL29rocblas_internal_gemmt_kernelIiLi16ELi32ELi8ELc84ELc67ELc85ELb0ELb0EffPKPKfPKPfEviT_T9_T10_S7_lS9_S7_lS8_T11_S7_li.num_agpr, 0
	.set _ZL29rocblas_internal_gemmt_kernelIiLi16ELi32ELi8ELc84ELc67ELc85ELb0ELb0EffPKPKfPKPfEviT_T9_T10_S7_lS9_S7_lS8_T11_S7_li.numbered_sgpr, 24
	.set _ZL29rocblas_internal_gemmt_kernelIiLi16ELi32ELi8ELc84ELc67ELc85ELb0ELb0EffPKPKfPKPfEviT_T9_T10_S7_lS9_S7_lS8_T11_S7_li.num_named_barrier, 0
	.set _ZL29rocblas_internal_gemmt_kernelIiLi16ELi32ELi8ELc84ELc67ELc85ELb0ELb0EffPKPKfPKPfEviT_T9_T10_S7_lS9_S7_lS8_T11_S7_li.private_seg_size, 0
	.set _ZL29rocblas_internal_gemmt_kernelIiLi16ELi32ELi8ELc84ELc67ELc85ELb0ELb0EffPKPKfPKPfEviT_T9_T10_S7_lS9_S7_lS8_T11_S7_li.uses_vcc, 1
	.set _ZL29rocblas_internal_gemmt_kernelIiLi16ELi32ELi8ELc84ELc67ELc85ELb0ELb0EffPKPKfPKPfEviT_T9_T10_S7_lS9_S7_lS8_T11_S7_li.uses_flat_scratch, 0
	.set _ZL29rocblas_internal_gemmt_kernelIiLi16ELi32ELi8ELc84ELc67ELc85ELb0ELb0EffPKPKfPKPfEviT_T9_T10_S7_lS9_S7_lS8_T11_S7_li.has_dyn_sized_stack, 0
	.set _ZL29rocblas_internal_gemmt_kernelIiLi16ELi32ELi8ELc84ELc67ELc85ELb0ELb0EffPKPKfPKPfEviT_T9_T10_S7_lS9_S7_lS8_T11_S7_li.has_recursion, 0
	.set _ZL29rocblas_internal_gemmt_kernelIiLi16ELi32ELi8ELc84ELc67ELc85ELb0ELb0EffPKPKfPKPfEviT_T9_T10_S7_lS9_S7_lS8_T11_S7_li.has_indirect_call, 0
	.section	.AMDGPU.csdata,"",@progbits
; Kernel info:
; codeLenInByte = 1420
; TotalNumSgprs: 26
; NumVgprs: 42
; ScratchSize: 0
; MemoryBound: 0
; FloatMode: 240
; IeeeMode: 1
; LDSByteSize: 2048 bytes/workgroup (compile time only)
; SGPRBlocks: 0
; VGPRBlocks: 5
; NumSGPRsForWavesPerEU: 26
; NumVGPRsForWavesPerEU: 42
; Occupancy: 16
; WaveLimiterHint : 1
; COMPUTE_PGM_RSRC2:SCRATCH_EN: 0
; COMPUTE_PGM_RSRC2:USER_SGPR: 6
; COMPUTE_PGM_RSRC2:TRAP_HANDLER: 0
; COMPUTE_PGM_RSRC2:TGID_X_EN: 1
; COMPUTE_PGM_RSRC2:TGID_Y_EN: 1
; COMPUTE_PGM_RSRC2:TGID_Z_EN: 1
; COMPUTE_PGM_RSRC2:TIDIG_COMP_CNT: 1
	.section	.text._ZL29rocblas_internal_gemmt_kernelIiLi16ELi32ELi8ELc67ELc78ELc85ELb0ELb0EffPKPKfPKPfEviT_T9_T10_S7_lS9_S7_lS8_T11_S7_li,"axG",@progbits,_ZL29rocblas_internal_gemmt_kernelIiLi16ELi32ELi8ELc67ELc78ELc85ELb0ELb0EffPKPKfPKPfEviT_T9_T10_S7_lS9_S7_lS8_T11_S7_li,comdat
	.globl	_ZL29rocblas_internal_gemmt_kernelIiLi16ELi32ELi8ELc67ELc78ELc85ELb0ELb0EffPKPKfPKPfEviT_T9_T10_S7_lS9_S7_lS8_T11_S7_li ; -- Begin function _ZL29rocblas_internal_gemmt_kernelIiLi16ELi32ELi8ELc67ELc78ELc85ELb0ELb0EffPKPKfPKPfEviT_T9_T10_S7_lS9_S7_lS8_T11_S7_li
	.p2align	8
	.type	_ZL29rocblas_internal_gemmt_kernelIiLi16ELi32ELi8ELc67ELc78ELc85ELb0ELb0EffPKPKfPKPfEviT_T9_T10_S7_lS9_S7_lS8_T11_S7_li,@function
_ZL29rocblas_internal_gemmt_kernelIiLi16ELi32ELi8ELc67ELc78ELc85ELb0ELb0EffPKPKfPKPfEviT_T9_T10_S7_lS9_S7_lS8_T11_S7_li: ; @_ZL29rocblas_internal_gemmt_kernelIiLi16ELi32ELi8ELc67ELc78ELc85ELb0ELb0EffPKPKfPKPfEviT_T9_T10_S7_lS9_S7_lS8_T11_S7_li
; %bb.0:
	s_clause 0x1
	s_load_dword s10, s[4:5], 0x40
	s_load_dwordx4 s[12:15], s[4:5], 0x0
	s_waitcnt lgkmcnt(0)
	v_cmp_neq_f32_e64 s0, s10, 1.0
	s_and_b32 vcc_lo, exec_lo, s0
	s_cbranch_vccnz .LBB312_2
; %bb.1:
	v_cmp_neq_f32_e64 s0, s14, 0
	s_cmp_lg_u32 s13, 0
	s_cselect_b32 s1, -1, 0
	s_and_b32 s0, s1, s0
.LBB312_2:
	s_andn2_b32 vcc_lo, exec_lo, s0
	s_cbranch_vccnz .LBB312_26
; %bb.3:
	s_load_dwordx2 s[2:3], s[4:5], 0x48
	s_mov_b32 s9, 0
	v_mov_b32_e32 v11, 0
	s_lshl_b64 s[0:1], s[8:9], 3
	v_cmp_eq_f32_e64 s8, s14, 0
	v_mov_b32_e32 v8, 0
	v_mov_b32_e32 v7, 0
	v_mov_b32_e32 v6, 0
	s_waitcnt lgkmcnt(0)
	s_add_u32 s2, s2, s0
	s_addc_u32 s3, s3, s1
	s_lshl_b32 s6, s6, 5
	s_load_dwordx2 s[2:3], s[2:3], 0x0
	s_lshl_b32 s7, s7, 5
	s_cmp_lt_i32 s13, 1
	s_cselect_b32 s11, -1, 0
	s_or_b32 s8, s8, s11
	s_and_b32 vcc_lo, exec_lo, s8
	s_cbranch_vccnz .LBB312_10
; %bb.4:
	s_clause 0x4
	s_load_dwordx4 s[16:19], s[4:5], 0x20
	s_load_dword s8, s[4:5], 0x18
	s_load_dwordx2 s[20:21], s[4:5], 0x10
	s_load_dword s11, s[4:5], 0x30
	s_load_dwordx2 s[22:23], s[4:5], 0x38
	v_lshl_add_u32 v2, v1, 4, v0
	v_and_b32_e32 v9, 7, v0
	v_lshlrev_b32_e32 v14, 2, v0
	v_lshl_add_u32 v15, v1, 5, 0x400
	v_and_b32_e32 v3, 31, v2
	v_lshrrev_b32_e32 v4, 3, v2
	v_lshrrev_b32_e32 v10, 5, v2
	v_lshlrev_b32_e32 v7, 2, v9
	v_or_b32_e32 v2, s6, v3
	v_lshlrev_b32_e32 v8, 2, v3
	v_add_nc_u32_e32 v3, s6, v3
	v_add_nc_u32_e32 v6, s7, v4
	v_lshl_or_b32 v11, v4, 5, v7
	v_cmp_gt_i32_e32 vcc_lo, s12, v2
	s_waitcnt lgkmcnt(0)
	s_add_u32 s18, s18, s0
	v_mad_i64_i32 v[2:3], null, s8, v3, 0
	s_addc_u32 s19, s19, s1
	s_add_u32 s0, s20, s0
	v_mad_i64_i32 v[4:5], null, s11, v6, 0
	s_addc_u32 s1, s21, s1
	s_load_dwordx2 s[18:19], s[18:19], 0x0
	s_load_dwordx2 s[20:21], s[0:1], 0x0
	v_lshlrev_b64 v[2:3], 2, v[2:3]
	s_lshl_b64 s[16:17], s[16:17], 2
	v_lshl_or_b32 v12, v10, 7, v8
	v_lshlrev_b32_e32 v8, 2, v10
	v_lshlrev_b64 v[4:5], 2, v[4:5]
	v_cmp_gt_i32_e64 s0, s12, v6
	v_add_co_u32 v2, s1, v2, s16
	v_add_co_ci_u32_e64 v3, null, s17, v3, s1
	s_lshl_b64 s[16:17], s[22:23], 2
	v_add_nc_u32_e32 v13, 0x400, v11
	v_add_co_u32 v4, s1, v4, s16
	v_add_co_ci_u32_e64 v5, null, s17, v5, s1
	v_add_co_u32 v2, s1, v2, v8
	v_add_co_ci_u32_e64 v3, null, 0, v3, s1
	;; [unrolled: 2-line block ×3, first 2 shown]
	s_waitcnt lgkmcnt(0)
	v_add_co_u32 v2, s1, s20, v2
	v_add_co_ci_u32_e64 v3, null, s21, v3, s1
	v_add_co_u32 v4, s1, s18, v4
	v_mov_b32_e32 v6, 0
	v_add_co_ci_u32_e64 v5, null, s19, v5, s1
	v_mov_b32_e32 v7, 0
	v_mov_b32_e32 v8, 0
	;; [unrolled: 1-line block ×3, first 2 shown]
	s_branch .LBB312_6
.LBB312_5:                              ;   in Loop: Header=BB312_6 Depth=1
	s_or_b32 exec_lo, exec_lo, s1
	s_waitcnt vmcnt(0) lgkmcnt(0)
	ds_write_b32 v13, v17
	s_waitcnt lgkmcnt(0)
	s_barrier
	buffer_gl0_inv
	ds_read_b128 v[16:19], v15
	ds_read2_b32 v[32:33], v14 offset1:16
	ds_read_b128 v[20:23], v15 offset:512
	ds_read2_b32 v[34:35], v14 offset0:32 offset1:48
	ds_read2_b32 v[36:37], v14 offset0:64 offset1:80
	;; [unrolled: 1-line block ×3, first 2 shown]
	ds_read_b128 v[24:27], v15 offset:16
	ds_read2_b32 v[40:41], v14 offset0:128 offset1:144
	ds_read_b128 v[28:31], v15 offset:528
	v_add_co_u32 v2, s1, v2, 32
	v_add_co_ci_u32_e64 v3, null, 0, v3, s1
	v_add_co_u32 v4, s1, v4, 32
	v_add_co_ci_u32_e64 v5, null, 0, v5, s1
	s_add_i32 s9, s9, 8
	s_cmp_lt_i32 s9, s13
	s_waitcnt lgkmcnt(7)
	v_fmac_f32_e32 v11, v32, v16
	v_fmac_f32_e32 v8, v33, v16
	s_waitcnt lgkmcnt(6)
	v_fmac_f32_e32 v7, v32, v20
	v_fmac_f32_e32 v6, v33, v20
	ds_read2_b32 v[32:33], v14 offset0:160 offset1:176
	s_waitcnt lgkmcnt(6)
	v_fmac_f32_e32 v11, v34, v17
	v_fmac_f32_e32 v8, v35, v17
	v_fmac_f32_e32 v7, v34, v21
	v_fmac_f32_e32 v6, v35, v21
	ds_read2_b32 v[16:17], v14 offset0:192 offset1:208
	s_waitcnt lgkmcnt(6)
	v_fmac_f32_e32 v11, v36, v18
	v_fmac_f32_e32 v8, v37, v18
	;; [unrolled: 6-line block ×3, first 2 shown]
	v_fmac_f32_e32 v7, v38, v23
	v_fmac_f32_e32 v6, v39, v23
	s_waitcnt lgkmcnt(0)
	v_fmac_f32_e32 v11, v40, v24
	v_fmac_f32_e32 v8, v41, v24
	;; [unrolled: 1-line block ×4, first 2 shown]
	s_barrier
	v_fmac_f32_e32 v11, v32, v25
	v_fmac_f32_e32 v8, v33, v25
	;; [unrolled: 1-line block ×4, first 2 shown]
	buffer_gl0_inv
	v_fmac_f32_e32 v11, v16, v26
	v_fmac_f32_e32 v8, v17, v26
	;; [unrolled: 1-line block ×8, first 2 shown]
	s_cbranch_scc0 .LBB312_10
.LBB312_6:                              ; =>This Inner Loop Header: Depth=1
	v_add_nc_u32_e32 v16, s9, v10
	v_cmp_gt_i32_e64 s1, s13, v16
	v_mov_b32_e32 v16, 0
	s_and_b32 s8, vcc_lo, s1
	s_and_saveexec_b32 s1, s8
	s_cbranch_execz .LBB312_8
; %bb.7:                                ;   in Loop: Header=BB312_6 Depth=1
	flat_load_dword v16, v[2:3]
.LBB312_8:                              ;   in Loop: Header=BB312_6 Depth=1
	s_or_b32 exec_lo, exec_lo, s1
	v_add_nc_u32_e32 v17, s9, v9
	s_waitcnt vmcnt(0) lgkmcnt(0)
	ds_write_b32 v12, v16
	v_cmp_gt_i32_e64 s1, s13, v17
	v_mov_b32_e32 v17, 0
	s_and_b32 s8, s1, s0
	s_and_saveexec_b32 s1, s8
	s_cbranch_execz .LBB312_5
; %bb.9:                                ;   in Loop: Header=BB312_6 Depth=1
	flat_load_dword v17, v[4:5]
	s_branch .LBB312_5
.LBB312_10:
	s_clause 0x1
	s_load_dword s8, s[4:5], 0x50
	s_load_dwordx2 s[4:5], s[4:5], 0x58
	v_add_nc_u32_e32 v10, s7, v1
	v_add_nc_u32_e32 v0, s6, v0
	v_cmp_gt_i32_e64 s0, s12, v10
	v_cmp_le_i32_e32 vcc_lo, v0, v10
	s_waitcnt lgkmcnt(0)
	v_mad_i64_i32 v[1:2], null, v10, s8, 0
	s_lshl_b64 s[4:5], s[4:5], 2
	s_add_u32 s2, s2, s4
	v_cmp_neq_f32_e64 s4, s10, 0
	s_addc_u32 s3, s3, s5
	s_and_b32 s5, s0, vcc_lo
	v_lshlrev_b64 v[2:3], 2, v[1:2]
	v_ashrrev_i32_e32 v1, 31, v0
	v_cndmask_b32_e64 v9, 0, 1, s4
	v_add_co_u32 v4, s1, s2, v2
	v_add_co_ci_u32_e64 v5, null, s3, v3, s1
	s_and_saveexec_b32 s1, s5
	s_cbranch_execz .LBB312_14
; %bb.11:
	v_lshlrev_b64 v[2:3], 2, v[0:1]
	v_mul_f32_e32 v11, s14, v11
	v_add_co_u32 v2, vcc_lo, v4, v2
	v_add_co_ci_u32_e64 v3, null, v5, v3, vcc_lo
	s_andn2_b32 vcc_lo, exec_lo, s4
	s_cbranch_vccnz .LBB312_13
; %bb.12:
	flat_load_dword v12, v[2:3]
	s_waitcnt vmcnt(0) lgkmcnt(0)
	v_fmac_f32_e32 v11, s10, v12
.LBB312_13:
	flat_store_dword v[2:3], v11
.LBB312_14:
	s_or_b32 exec_lo, exec_lo, s1
	v_add_nc_u32_e32 v2, 16, v0
	v_cmp_le_i32_e32 vcc_lo, v2, v10
	v_ashrrev_i32_e32 v3, 31, v2
	s_and_b32 s0, s0, vcc_lo
	s_and_saveexec_b32 s1, s0
	s_cbranch_execz .LBB312_18
; %bb.15:
	v_lshlrev_b64 v[11:12], 2, v[2:3]
	v_cmp_ne_u32_e32 vcc_lo, 1, v9
	v_mul_f32_e32 v8, s14, v8
	v_add_co_u32 v4, s0, v4, v11
	v_add_co_ci_u32_e64 v5, null, v5, v12, s0
	s_cbranch_vccnz .LBB312_17
; %bb.16:
	flat_load_dword v11, v[4:5]
	s_waitcnt vmcnt(0) lgkmcnt(0)
	v_fmac_f32_e32 v8, s10, v11
.LBB312_17:
	flat_store_dword v[4:5], v8
.LBB312_18:
	s_or_b32 exec_lo, exec_lo, s1
	v_add_nc_u32_e32 v8, 16, v10
	v_mad_i64_i32 v[4:5], null, v8, s8, 0
	v_cmp_gt_i32_e64 s0, s12, v8
	v_cmp_le_i32_e32 vcc_lo, v0, v8
	v_lshlrev_b64 v[4:5], 2, v[4:5]
	v_add_co_u32 v4, s1, s2, v4
	v_add_co_ci_u32_e64 v5, null, s3, v5, s1
	s_and_b32 s1, s0, vcc_lo
	s_and_saveexec_b32 s2, s1
	s_cbranch_execz .LBB312_22
; %bb.19:
	v_lshlrev_b64 v[0:1], 2, v[0:1]
	v_cmp_ne_u32_e32 vcc_lo, 1, v9
	v_mul_f32_e32 v7, s14, v7
	v_add_co_u32 v0, s1, v4, v0
	v_add_co_ci_u32_e64 v1, null, v5, v1, s1
	s_cbranch_vccnz .LBB312_21
; %bb.20:
	flat_load_dword v10, v[0:1]
	s_waitcnt vmcnt(0) lgkmcnt(0)
	v_fmac_f32_e32 v7, s10, v10
.LBB312_21:
	flat_store_dword v[0:1], v7
.LBB312_22:
	s_or_b32 exec_lo, exec_lo, s2
	v_cmp_le_i32_e32 vcc_lo, v2, v8
	s_and_b32 s0, s0, vcc_lo
	s_and_saveexec_b32 s1, s0
	s_cbranch_execz .LBB312_26
; %bb.23:
	v_lshlrev_b64 v[0:1], 2, v[2:3]
	v_cmp_ne_u32_e32 vcc_lo, 1, v9
	v_mul_f32_e32 v2, s14, v6
	v_add_co_u32 v0, s0, v4, v0
	v_add_co_ci_u32_e64 v1, null, v5, v1, s0
	s_cbranch_vccnz .LBB312_25
; %bb.24:
	flat_load_dword v3, v[0:1]
	s_waitcnt vmcnt(0) lgkmcnt(0)
	v_fmac_f32_e32 v2, s10, v3
.LBB312_25:
	flat_store_dword v[0:1], v2
.LBB312_26:
	s_endpgm
	.section	.rodata,"a",@progbits
	.p2align	6, 0x0
	.amdhsa_kernel _ZL29rocblas_internal_gemmt_kernelIiLi16ELi32ELi8ELc67ELc78ELc85ELb0ELb0EffPKPKfPKPfEviT_T9_T10_S7_lS9_S7_lS8_T11_S7_li
		.amdhsa_group_segment_fixed_size 2048
		.amdhsa_private_segment_fixed_size 0
		.amdhsa_kernarg_size 100
		.amdhsa_user_sgpr_count 6
		.amdhsa_user_sgpr_private_segment_buffer 1
		.amdhsa_user_sgpr_dispatch_ptr 0
		.amdhsa_user_sgpr_queue_ptr 0
		.amdhsa_user_sgpr_kernarg_segment_ptr 1
		.amdhsa_user_sgpr_dispatch_id 0
		.amdhsa_user_sgpr_flat_scratch_init 0
		.amdhsa_user_sgpr_private_segment_size 0
		.amdhsa_wavefront_size32 1
		.amdhsa_uses_dynamic_stack 0
		.amdhsa_system_sgpr_private_segment_wavefront_offset 0
		.amdhsa_system_sgpr_workgroup_id_x 1
		.amdhsa_system_sgpr_workgroup_id_y 1
		.amdhsa_system_sgpr_workgroup_id_z 1
		.amdhsa_system_sgpr_workgroup_info 0
		.amdhsa_system_vgpr_workitem_id 1
		.amdhsa_next_free_vgpr 42
		.amdhsa_next_free_sgpr 24
		.amdhsa_reserve_vcc 1
		.amdhsa_reserve_flat_scratch 0
		.amdhsa_float_round_mode_32 0
		.amdhsa_float_round_mode_16_64 0
		.amdhsa_float_denorm_mode_32 3
		.amdhsa_float_denorm_mode_16_64 3
		.amdhsa_dx10_clamp 1
		.amdhsa_ieee_mode 1
		.amdhsa_fp16_overflow 0
		.amdhsa_workgroup_processor_mode 1
		.amdhsa_memory_ordered 1
		.amdhsa_forward_progress 1
		.amdhsa_shared_vgpr_count 0
		.amdhsa_exception_fp_ieee_invalid_op 0
		.amdhsa_exception_fp_denorm_src 0
		.amdhsa_exception_fp_ieee_div_zero 0
		.amdhsa_exception_fp_ieee_overflow 0
		.amdhsa_exception_fp_ieee_underflow 0
		.amdhsa_exception_fp_ieee_inexact 0
		.amdhsa_exception_int_div_zero 0
	.end_amdhsa_kernel
	.section	.text._ZL29rocblas_internal_gemmt_kernelIiLi16ELi32ELi8ELc67ELc78ELc85ELb0ELb0EffPKPKfPKPfEviT_T9_T10_S7_lS9_S7_lS8_T11_S7_li,"axG",@progbits,_ZL29rocblas_internal_gemmt_kernelIiLi16ELi32ELi8ELc67ELc78ELc85ELb0ELb0EffPKPKfPKPfEviT_T9_T10_S7_lS9_S7_lS8_T11_S7_li,comdat
.Lfunc_end312:
	.size	_ZL29rocblas_internal_gemmt_kernelIiLi16ELi32ELi8ELc67ELc78ELc85ELb0ELb0EffPKPKfPKPfEviT_T9_T10_S7_lS9_S7_lS8_T11_S7_li, .Lfunc_end312-_ZL29rocblas_internal_gemmt_kernelIiLi16ELi32ELi8ELc67ELc78ELc85ELb0ELb0EffPKPKfPKPfEviT_T9_T10_S7_lS9_S7_lS8_T11_S7_li
                                        ; -- End function
	.set _ZL29rocblas_internal_gemmt_kernelIiLi16ELi32ELi8ELc67ELc78ELc85ELb0ELb0EffPKPKfPKPfEviT_T9_T10_S7_lS9_S7_lS8_T11_S7_li.num_vgpr, 42
	.set _ZL29rocblas_internal_gemmt_kernelIiLi16ELi32ELi8ELc67ELc78ELc85ELb0ELb0EffPKPKfPKPfEviT_T9_T10_S7_lS9_S7_lS8_T11_S7_li.num_agpr, 0
	.set _ZL29rocblas_internal_gemmt_kernelIiLi16ELi32ELi8ELc67ELc78ELc85ELb0ELb0EffPKPKfPKPfEviT_T9_T10_S7_lS9_S7_lS8_T11_S7_li.numbered_sgpr, 24
	.set _ZL29rocblas_internal_gemmt_kernelIiLi16ELi32ELi8ELc67ELc78ELc85ELb0ELb0EffPKPKfPKPfEviT_T9_T10_S7_lS9_S7_lS8_T11_S7_li.num_named_barrier, 0
	.set _ZL29rocblas_internal_gemmt_kernelIiLi16ELi32ELi8ELc67ELc78ELc85ELb0ELb0EffPKPKfPKPfEviT_T9_T10_S7_lS9_S7_lS8_T11_S7_li.private_seg_size, 0
	.set _ZL29rocblas_internal_gemmt_kernelIiLi16ELi32ELi8ELc67ELc78ELc85ELb0ELb0EffPKPKfPKPfEviT_T9_T10_S7_lS9_S7_lS8_T11_S7_li.uses_vcc, 1
	.set _ZL29rocblas_internal_gemmt_kernelIiLi16ELi32ELi8ELc67ELc78ELc85ELb0ELb0EffPKPKfPKPfEviT_T9_T10_S7_lS9_S7_lS8_T11_S7_li.uses_flat_scratch, 0
	.set _ZL29rocblas_internal_gemmt_kernelIiLi16ELi32ELi8ELc67ELc78ELc85ELb0ELb0EffPKPKfPKPfEviT_T9_T10_S7_lS9_S7_lS8_T11_S7_li.has_dyn_sized_stack, 0
	.set _ZL29rocblas_internal_gemmt_kernelIiLi16ELi32ELi8ELc67ELc78ELc85ELb0ELb0EffPKPKfPKPfEviT_T9_T10_S7_lS9_S7_lS8_T11_S7_li.has_recursion, 0
	.set _ZL29rocblas_internal_gemmt_kernelIiLi16ELi32ELi8ELc67ELc78ELc85ELb0ELb0EffPKPKfPKPfEviT_T9_T10_S7_lS9_S7_lS8_T11_S7_li.has_indirect_call, 0
	.section	.AMDGPU.csdata,"",@progbits
; Kernel info:
; codeLenInByte = 1400
; TotalNumSgprs: 26
; NumVgprs: 42
; ScratchSize: 0
; MemoryBound: 0
; FloatMode: 240
; IeeeMode: 1
; LDSByteSize: 2048 bytes/workgroup (compile time only)
; SGPRBlocks: 0
; VGPRBlocks: 5
; NumSGPRsForWavesPerEU: 26
; NumVGPRsForWavesPerEU: 42
; Occupancy: 16
; WaveLimiterHint : 1
; COMPUTE_PGM_RSRC2:SCRATCH_EN: 0
; COMPUTE_PGM_RSRC2:USER_SGPR: 6
; COMPUTE_PGM_RSRC2:TRAP_HANDLER: 0
; COMPUTE_PGM_RSRC2:TGID_X_EN: 1
; COMPUTE_PGM_RSRC2:TGID_Y_EN: 1
; COMPUTE_PGM_RSRC2:TGID_Z_EN: 1
; COMPUTE_PGM_RSRC2:TIDIG_COMP_CNT: 1
	.section	.text._ZL29rocblas_internal_gemmt_kernelIiLi16ELi32ELi8ELc67ELc84ELc85ELb0ELb0EffPKPKfPKPfEviT_T9_T10_S7_lS9_S7_lS8_T11_S7_li,"axG",@progbits,_ZL29rocblas_internal_gemmt_kernelIiLi16ELi32ELi8ELc67ELc84ELc85ELb0ELb0EffPKPKfPKPfEviT_T9_T10_S7_lS9_S7_lS8_T11_S7_li,comdat
	.globl	_ZL29rocblas_internal_gemmt_kernelIiLi16ELi32ELi8ELc67ELc84ELc85ELb0ELb0EffPKPKfPKPfEviT_T9_T10_S7_lS9_S7_lS8_T11_S7_li ; -- Begin function _ZL29rocblas_internal_gemmt_kernelIiLi16ELi32ELi8ELc67ELc84ELc85ELb0ELb0EffPKPKfPKPfEviT_T9_T10_S7_lS9_S7_lS8_T11_S7_li
	.p2align	8
	.type	_ZL29rocblas_internal_gemmt_kernelIiLi16ELi32ELi8ELc67ELc84ELc85ELb0ELb0EffPKPKfPKPfEviT_T9_T10_S7_lS9_S7_lS8_T11_S7_li,@function
_ZL29rocblas_internal_gemmt_kernelIiLi16ELi32ELi8ELc67ELc84ELc85ELb0ELb0EffPKPKfPKPfEviT_T9_T10_S7_lS9_S7_lS8_T11_S7_li: ; @_ZL29rocblas_internal_gemmt_kernelIiLi16ELi32ELi8ELc67ELc84ELc85ELb0ELb0EffPKPKfPKPfEviT_T9_T10_S7_lS9_S7_lS8_T11_S7_li
; %bb.0:
	s_clause 0x1
	s_load_dword s10, s[4:5], 0x40
	s_load_dwordx4 s[12:15], s[4:5], 0x0
	s_waitcnt lgkmcnt(0)
	v_cmp_neq_f32_e64 s0, s10, 1.0
	s_and_b32 vcc_lo, exec_lo, s0
	s_cbranch_vccnz .LBB313_2
; %bb.1:
	v_cmp_neq_f32_e64 s0, s14, 0
	s_cmp_lg_u32 s13, 0
	s_cselect_b32 s1, -1, 0
	s_and_b32 s0, s1, s0
.LBB313_2:
	s_andn2_b32 vcc_lo, exec_lo, s0
	s_cbranch_vccnz .LBB313_26
; %bb.3:
	s_load_dwordx2 s[2:3], s[4:5], 0x48
	s_mov_b32 s9, 0
	v_mov_b32_e32 v11, 0
	s_lshl_b64 s[0:1], s[8:9], 3
	v_mov_b32_e32 v8, 0
	v_mov_b32_e32 v7, 0
	;; [unrolled: 1-line block ×3, first 2 shown]
	s_waitcnt lgkmcnt(0)
	s_add_u32 s2, s2, s0
	s_addc_u32 s3, s3, s1
	s_lshl_b32 s8, s6, 5
	s_load_dwordx2 s[2:3], s[2:3], 0x0
	s_lshl_b32 s11, s7, 5
	v_cmp_eq_f32_e64 s6, s14, 0
	s_cmp_lt_i32 s13, 1
	s_cselect_b32 s7, -1, 0
	s_or_b32 s6, s6, s7
	s_and_b32 vcc_lo, exec_lo, s6
	s_cbranch_vccnz .LBB313_10
; %bb.4:
	s_clause 0x4
	s_load_dword s6, s[4:5], 0x30
	s_load_dwordx4 s[16:19], s[4:5], 0x20
	s_load_dword s15, s[4:5], 0x18
	s_load_dwordx2 s[20:21], s[4:5], 0x10
	s_load_dwordx2 s[22:23], s[4:5], 0x38
	v_lshl_add_u32 v2, v1, 4, v0
	v_and_b32_e32 v9, 7, v0
	v_lshlrev_b32_e32 v14, 2, v0
	v_lshl_add_u32 v15, v1, 5, 0x400
	v_and_b32_e32 v3, 31, v2
	v_lshrrev_b32_e32 v4, 3, v2
	v_lshlrev_b32_e32 v5, 2, v9
	v_lshrrev_b32_e32 v10, 5, v2
	v_or_b32_e32 v6, s8, v3
	v_lshlrev_b32_e32 v7, 2, v3
	v_add_nc_u32_e32 v3, s8, v3
	v_add_nc_u32_e32 v2, s11, v4
	v_lshl_or_b32 v8, v4, 5, v5
	s_waitcnt lgkmcnt(0)
	s_ashr_i32 s7, s6, 31
	s_add_u32 s18, s18, s0
	v_mad_i64_i32 v[4:5], null, s15, v3, 0
	s_addc_u32 s19, s19, s1
	v_cmp_gt_i32_e32 vcc_lo, s12, v6
	v_lshl_or_b32 v12, v10, 7, v7
	s_add_u32 s0, s20, s0
	v_mad_i64_i32 v[6:7], null, s6, v9, 0
	s_addc_u32 s1, s21, s1
	s_load_dwordx2 s[18:19], s[18:19], 0x0
	s_load_dwordx2 s[20:21], s[0:1], 0x0
	v_lshlrev_b64 v[4:5], 2, v[4:5]
	v_add_nc_u32_e32 v13, 0x400, v8
	v_ashrrev_i32_e32 v3, 31, v2
	s_lshl_b64 s[16:17], s[16:17], 2
	v_lshlrev_b64 v[7:8], 2, v[6:7]
	v_lshlrev_b32_e32 v11, 2, v10
	v_add_co_u32 v4, s1, v4, s16
	v_add_co_ci_u32_e64 v5, null, s17, v5, s1
	s_lshl_b64 s[16:17], s[22:23], 2
	v_cmp_gt_i32_e64 s0, s12, v2
	v_lshlrev_b64 v[2:3], 2, v[2:3]
	v_add_co_u32 v7, s1, v7, s16
	v_add_co_ci_u32_e64 v8, null, s17, v8, s1
	v_add_co_u32 v4, s1, v4, v11
	v_add_co_ci_u32_e64 v5, null, 0, v5, s1
	;; [unrolled: 2-line block ×3, first 2 shown]
	s_waitcnt lgkmcnt(0)
	v_add_co_u32 v2, s1, s20, v4
	v_add_co_ci_u32_e64 v3, null, s21, v5, s1
	v_add_co_u32 v4, s1, s18, v7
	v_mov_b32_e32 v6, 0
	v_add_co_ci_u32_e64 v5, null, s19, v8, s1
	v_mov_b32_e32 v7, 0
	v_mov_b32_e32 v8, 0
	;; [unrolled: 1-line block ×3, first 2 shown]
	s_lshl_b64 s[6:7], s[6:7], 5
	s_branch .LBB313_6
.LBB313_5:                              ;   in Loop: Header=BB313_6 Depth=1
	s_or_b32 exec_lo, exec_lo, s1
	s_waitcnt vmcnt(0) lgkmcnt(0)
	ds_write_b32 v13, v17
	s_waitcnt lgkmcnt(0)
	s_barrier
	buffer_gl0_inv
	ds_read_b128 v[16:19], v15
	ds_read2_b32 v[32:33], v14 offset1:16
	ds_read_b128 v[20:23], v15 offset:512
	ds_read2_b32 v[34:35], v14 offset0:32 offset1:48
	ds_read2_b32 v[36:37], v14 offset0:64 offset1:80
	;; [unrolled: 1-line block ×3, first 2 shown]
	ds_read_b128 v[24:27], v15 offset:16
	ds_read2_b32 v[40:41], v14 offset0:128 offset1:144
	ds_read_b128 v[28:31], v15 offset:528
	v_add_co_u32 v2, s1, v2, 32
	v_add_co_ci_u32_e64 v3, null, 0, v3, s1
	v_add_co_u32 v4, s1, v4, s6
	v_add_co_ci_u32_e64 v5, null, s7, v5, s1
	s_add_i32 s9, s9, 8
	s_cmp_lt_i32 s9, s13
	s_waitcnt lgkmcnt(7)
	v_fmac_f32_e32 v11, v32, v16
	v_fmac_f32_e32 v8, v33, v16
	s_waitcnt lgkmcnt(6)
	v_fmac_f32_e32 v7, v32, v20
	v_fmac_f32_e32 v6, v33, v20
	ds_read2_b32 v[32:33], v14 offset0:160 offset1:176
	s_waitcnt lgkmcnt(6)
	v_fmac_f32_e32 v11, v34, v17
	v_fmac_f32_e32 v8, v35, v17
	v_fmac_f32_e32 v7, v34, v21
	v_fmac_f32_e32 v6, v35, v21
	ds_read2_b32 v[16:17], v14 offset0:192 offset1:208
	s_waitcnt lgkmcnt(6)
	v_fmac_f32_e32 v11, v36, v18
	v_fmac_f32_e32 v8, v37, v18
	;; [unrolled: 6-line block ×3, first 2 shown]
	v_fmac_f32_e32 v7, v38, v23
	v_fmac_f32_e32 v6, v39, v23
	s_waitcnt lgkmcnt(0)
	v_fmac_f32_e32 v11, v40, v24
	v_fmac_f32_e32 v8, v41, v24
	;; [unrolled: 1-line block ×4, first 2 shown]
	s_barrier
	v_fmac_f32_e32 v11, v32, v25
	v_fmac_f32_e32 v8, v33, v25
	;; [unrolled: 1-line block ×4, first 2 shown]
	buffer_gl0_inv
	v_fmac_f32_e32 v11, v16, v26
	v_fmac_f32_e32 v8, v17, v26
	;; [unrolled: 1-line block ×8, first 2 shown]
	s_cbranch_scc0 .LBB313_10
.LBB313_6:                              ; =>This Inner Loop Header: Depth=1
	v_add_nc_u32_e32 v16, s9, v10
	v_cmp_gt_i32_e64 s1, s13, v16
	v_mov_b32_e32 v16, 0
	s_and_b32 s15, vcc_lo, s1
	s_and_saveexec_b32 s1, s15
	s_cbranch_execz .LBB313_8
; %bb.7:                                ;   in Loop: Header=BB313_6 Depth=1
	flat_load_dword v16, v[2:3]
.LBB313_8:                              ;   in Loop: Header=BB313_6 Depth=1
	s_or_b32 exec_lo, exec_lo, s1
	v_add_nc_u32_e32 v17, s9, v9
	s_waitcnt vmcnt(0) lgkmcnt(0)
	ds_write_b32 v12, v16
	v_cmp_gt_i32_e64 s1, s13, v17
	v_mov_b32_e32 v17, 0
	s_and_b32 s15, s1, s0
	s_and_saveexec_b32 s1, s15
	s_cbranch_execz .LBB313_5
; %bb.9:                                ;   in Loop: Header=BB313_6 Depth=1
	flat_load_dword v17, v[4:5]
	s_branch .LBB313_5
.LBB313_10:
	s_clause 0x1
	s_load_dword s6, s[4:5], 0x50
	s_load_dwordx2 s[4:5], s[4:5], 0x58
	v_add_nc_u32_e32 v10, s11, v1
	v_add_nc_u32_e32 v0, s8, v0
	v_cmp_gt_i32_e64 s0, s12, v10
	v_cmp_le_i32_e32 vcc_lo, v0, v10
	s_waitcnt lgkmcnt(0)
	v_mad_i64_i32 v[1:2], null, v10, s6, 0
	s_lshl_b64 s[4:5], s[4:5], 2
	s_add_u32 s2, s2, s4
	v_cmp_neq_f32_e64 s4, s10, 0
	s_addc_u32 s3, s3, s5
	s_and_b32 s5, s0, vcc_lo
	v_lshlrev_b64 v[2:3], 2, v[1:2]
	v_ashrrev_i32_e32 v1, 31, v0
	v_cndmask_b32_e64 v9, 0, 1, s4
	v_add_co_u32 v4, s1, s2, v2
	v_add_co_ci_u32_e64 v5, null, s3, v3, s1
	s_and_saveexec_b32 s1, s5
	s_cbranch_execz .LBB313_14
; %bb.11:
	v_lshlrev_b64 v[2:3], 2, v[0:1]
	v_mul_f32_e32 v11, s14, v11
	v_add_co_u32 v2, vcc_lo, v4, v2
	v_add_co_ci_u32_e64 v3, null, v5, v3, vcc_lo
	s_andn2_b32 vcc_lo, exec_lo, s4
	s_cbranch_vccnz .LBB313_13
; %bb.12:
	flat_load_dword v12, v[2:3]
	s_waitcnt vmcnt(0) lgkmcnt(0)
	v_fmac_f32_e32 v11, s10, v12
.LBB313_13:
	flat_store_dword v[2:3], v11
.LBB313_14:
	s_or_b32 exec_lo, exec_lo, s1
	v_add_nc_u32_e32 v2, 16, v0
	v_cmp_le_i32_e32 vcc_lo, v2, v10
	v_ashrrev_i32_e32 v3, 31, v2
	s_and_b32 s0, s0, vcc_lo
	s_and_saveexec_b32 s1, s0
	s_cbranch_execz .LBB313_18
; %bb.15:
	v_lshlrev_b64 v[11:12], 2, v[2:3]
	v_cmp_ne_u32_e32 vcc_lo, 1, v9
	v_mul_f32_e32 v8, s14, v8
	v_add_co_u32 v4, s0, v4, v11
	v_add_co_ci_u32_e64 v5, null, v5, v12, s0
	s_cbranch_vccnz .LBB313_17
; %bb.16:
	flat_load_dword v11, v[4:5]
	s_waitcnt vmcnt(0) lgkmcnt(0)
	v_fmac_f32_e32 v8, s10, v11
.LBB313_17:
	flat_store_dword v[4:5], v8
.LBB313_18:
	s_or_b32 exec_lo, exec_lo, s1
	v_add_nc_u32_e32 v8, 16, v10
	v_mad_i64_i32 v[4:5], null, v8, s6, 0
	v_cmp_gt_i32_e64 s0, s12, v8
	v_cmp_le_i32_e32 vcc_lo, v0, v8
	v_lshlrev_b64 v[4:5], 2, v[4:5]
	v_add_co_u32 v4, s1, s2, v4
	v_add_co_ci_u32_e64 v5, null, s3, v5, s1
	s_and_b32 s1, s0, vcc_lo
	s_and_saveexec_b32 s2, s1
	s_cbranch_execz .LBB313_22
; %bb.19:
	v_lshlrev_b64 v[0:1], 2, v[0:1]
	v_cmp_ne_u32_e32 vcc_lo, 1, v9
	v_mul_f32_e32 v7, s14, v7
	v_add_co_u32 v0, s1, v4, v0
	v_add_co_ci_u32_e64 v1, null, v5, v1, s1
	s_cbranch_vccnz .LBB313_21
; %bb.20:
	flat_load_dword v10, v[0:1]
	s_waitcnt vmcnt(0) lgkmcnt(0)
	v_fmac_f32_e32 v7, s10, v10
.LBB313_21:
	flat_store_dword v[0:1], v7
.LBB313_22:
	s_or_b32 exec_lo, exec_lo, s2
	v_cmp_le_i32_e32 vcc_lo, v2, v8
	s_and_b32 s0, s0, vcc_lo
	s_and_saveexec_b32 s1, s0
	s_cbranch_execz .LBB313_26
; %bb.23:
	v_lshlrev_b64 v[0:1], 2, v[2:3]
	v_cmp_ne_u32_e32 vcc_lo, 1, v9
	v_mul_f32_e32 v2, s14, v6
	v_add_co_u32 v0, s0, v4, v0
	v_add_co_ci_u32_e64 v1, null, v5, v1, s0
	s_cbranch_vccnz .LBB313_25
; %bb.24:
	flat_load_dword v3, v[0:1]
	s_waitcnt vmcnt(0) lgkmcnt(0)
	v_fmac_f32_e32 v2, s10, v3
.LBB313_25:
	flat_store_dword v[0:1], v2
.LBB313_26:
	s_endpgm
	.section	.rodata,"a",@progbits
	.p2align	6, 0x0
	.amdhsa_kernel _ZL29rocblas_internal_gemmt_kernelIiLi16ELi32ELi8ELc67ELc84ELc85ELb0ELb0EffPKPKfPKPfEviT_T9_T10_S7_lS9_S7_lS8_T11_S7_li
		.amdhsa_group_segment_fixed_size 2048
		.amdhsa_private_segment_fixed_size 0
		.amdhsa_kernarg_size 100
		.amdhsa_user_sgpr_count 6
		.amdhsa_user_sgpr_private_segment_buffer 1
		.amdhsa_user_sgpr_dispatch_ptr 0
		.amdhsa_user_sgpr_queue_ptr 0
		.amdhsa_user_sgpr_kernarg_segment_ptr 1
		.amdhsa_user_sgpr_dispatch_id 0
		.amdhsa_user_sgpr_flat_scratch_init 0
		.amdhsa_user_sgpr_private_segment_size 0
		.amdhsa_wavefront_size32 1
		.amdhsa_uses_dynamic_stack 0
		.amdhsa_system_sgpr_private_segment_wavefront_offset 0
		.amdhsa_system_sgpr_workgroup_id_x 1
		.amdhsa_system_sgpr_workgroup_id_y 1
		.amdhsa_system_sgpr_workgroup_id_z 1
		.amdhsa_system_sgpr_workgroup_info 0
		.amdhsa_system_vgpr_workitem_id 1
		.amdhsa_next_free_vgpr 42
		.amdhsa_next_free_sgpr 24
		.amdhsa_reserve_vcc 1
		.amdhsa_reserve_flat_scratch 0
		.amdhsa_float_round_mode_32 0
		.amdhsa_float_round_mode_16_64 0
		.amdhsa_float_denorm_mode_32 3
		.amdhsa_float_denorm_mode_16_64 3
		.amdhsa_dx10_clamp 1
		.amdhsa_ieee_mode 1
		.amdhsa_fp16_overflow 0
		.amdhsa_workgroup_processor_mode 1
		.amdhsa_memory_ordered 1
		.amdhsa_forward_progress 1
		.amdhsa_shared_vgpr_count 0
		.amdhsa_exception_fp_ieee_invalid_op 0
		.amdhsa_exception_fp_denorm_src 0
		.amdhsa_exception_fp_ieee_div_zero 0
		.amdhsa_exception_fp_ieee_overflow 0
		.amdhsa_exception_fp_ieee_underflow 0
		.amdhsa_exception_fp_ieee_inexact 0
		.amdhsa_exception_int_div_zero 0
	.end_amdhsa_kernel
	.section	.text._ZL29rocblas_internal_gemmt_kernelIiLi16ELi32ELi8ELc67ELc84ELc85ELb0ELb0EffPKPKfPKPfEviT_T9_T10_S7_lS9_S7_lS8_T11_S7_li,"axG",@progbits,_ZL29rocblas_internal_gemmt_kernelIiLi16ELi32ELi8ELc67ELc84ELc85ELb0ELb0EffPKPKfPKPfEviT_T9_T10_S7_lS9_S7_lS8_T11_S7_li,comdat
.Lfunc_end313:
	.size	_ZL29rocblas_internal_gemmt_kernelIiLi16ELi32ELi8ELc67ELc84ELc85ELb0ELb0EffPKPKfPKPfEviT_T9_T10_S7_lS9_S7_lS8_T11_S7_li, .Lfunc_end313-_ZL29rocblas_internal_gemmt_kernelIiLi16ELi32ELi8ELc67ELc84ELc85ELb0ELb0EffPKPKfPKPfEviT_T9_T10_S7_lS9_S7_lS8_T11_S7_li
                                        ; -- End function
	.set _ZL29rocblas_internal_gemmt_kernelIiLi16ELi32ELi8ELc67ELc84ELc85ELb0ELb0EffPKPKfPKPfEviT_T9_T10_S7_lS9_S7_lS8_T11_S7_li.num_vgpr, 42
	.set _ZL29rocblas_internal_gemmt_kernelIiLi16ELi32ELi8ELc67ELc84ELc85ELb0ELb0EffPKPKfPKPfEviT_T9_T10_S7_lS9_S7_lS8_T11_S7_li.num_agpr, 0
	.set _ZL29rocblas_internal_gemmt_kernelIiLi16ELi32ELi8ELc67ELc84ELc85ELb0ELb0EffPKPKfPKPfEviT_T9_T10_S7_lS9_S7_lS8_T11_S7_li.numbered_sgpr, 24
	.set _ZL29rocblas_internal_gemmt_kernelIiLi16ELi32ELi8ELc67ELc84ELc85ELb0ELb0EffPKPKfPKPfEviT_T9_T10_S7_lS9_S7_lS8_T11_S7_li.num_named_barrier, 0
	.set _ZL29rocblas_internal_gemmt_kernelIiLi16ELi32ELi8ELc67ELc84ELc85ELb0ELb0EffPKPKfPKPfEviT_T9_T10_S7_lS9_S7_lS8_T11_S7_li.private_seg_size, 0
	.set _ZL29rocblas_internal_gemmt_kernelIiLi16ELi32ELi8ELc67ELc84ELc85ELb0ELb0EffPKPKfPKPfEviT_T9_T10_S7_lS9_S7_lS8_T11_S7_li.uses_vcc, 1
	.set _ZL29rocblas_internal_gemmt_kernelIiLi16ELi32ELi8ELc67ELc84ELc85ELb0ELb0EffPKPKfPKPfEviT_T9_T10_S7_lS9_S7_lS8_T11_S7_li.uses_flat_scratch, 0
	.set _ZL29rocblas_internal_gemmt_kernelIiLi16ELi32ELi8ELc67ELc84ELc85ELb0ELb0EffPKPKfPKPfEviT_T9_T10_S7_lS9_S7_lS8_T11_S7_li.has_dyn_sized_stack, 0
	.set _ZL29rocblas_internal_gemmt_kernelIiLi16ELi32ELi8ELc67ELc84ELc85ELb0ELb0EffPKPKfPKPfEviT_T9_T10_S7_lS9_S7_lS8_T11_S7_li.has_recursion, 0
	.set _ZL29rocblas_internal_gemmt_kernelIiLi16ELi32ELi8ELc67ELc84ELc85ELb0ELb0EffPKPKfPKPfEviT_T9_T10_S7_lS9_S7_lS8_T11_S7_li.has_indirect_call, 0
	.section	.AMDGPU.csdata,"",@progbits
; Kernel info:
; codeLenInByte = 1420
; TotalNumSgprs: 26
; NumVgprs: 42
; ScratchSize: 0
; MemoryBound: 0
; FloatMode: 240
; IeeeMode: 1
; LDSByteSize: 2048 bytes/workgroup (compile time only)
; SGPRBlocks: 0
; VGPRBlocks: 5
; NumSGPRsForWavesPerEU: 26
; NumVGPRsForWavesPerEU: 42
; Occupancy: 16
; WaveLimiterHint : 1
; COMPUTE_PGM_RSRC2:SCRATCH_EN: 0
; COMPUTE_PGM_RSRC2:USER_SGPR: 6
; COMPUTE_PGM_RSRC2:TRAP_HANDLER: 0
; COMPUTE_PGM_RSRC2:TGID_X_EN: 1
; COMPUTE_PGM_RSRC2:TGID_Y_EN: 1
; COMPUTE_PGM_RSRC2:TGID_Z_EN: 1
; COMPUTE_PGM_RSRC2:TIDIG_COMP_CNT: 1
	.section	.text._ZL29rocblas_internal_gemmt_kernelIiLi16ELi32ELi8ELc67ELc67ELc85ELb0ELb0EffPKPKfPKPfEviT_T9_T10_S7_lS9_S7_lS8_T11_S7_li,"axG",@progbits,_ZL29rocblas_internal_gemmt_kernelIiLi16ELi32ELi8ELc67ELc67ELc85ELb0ELb0EffPKPKfPKPfEviT_T9_T10_S7_lS9_S7_lS8_T11_S7_li,comdat
	.globl	_ZL29rocblas_internal_gemmt_kernelIiLi16ELi32ELi8ELc67ELc67ELc85ELb0ELb0EffPKPKfPKPfEviT_T9_T10_S7_lS9_S7_lS8_T11_S7_li ; -- Begin function _ZL29rocblas_internal_gemmt_kernelIiLi16ELi32ELi8ELc67ELc67ELc85ELb0ELb0EffPKPKfPKPfEviT_T9_T10_S7_lS9_S7_lS8_T11_S7_li
	.p2align	8
	.type	_ZL29rocblas_internal_gemmt_kernelIiLi16ELi32ELi8ELc67ELc67ELc85ELb0ELb0EffPKPKfPKPfEviT_T9_T10_S7_lS9_S7_lS8_T11_S7_li,@function
_ZL29rocblas_internal_gemmt_kernelIiLi16ELi32ELi8ELc67ELc67ELc85ELb0ELb0EffPKPKfPKPfEviT_T9_T10_S7_lS9_S7_lS8_T11_S7_li: ; @_ZL29rocblas_internal_gemmt_kernelIiLi16ELi32ELi8ELc67ELc67ELc85ELb0ELb0EffPKPKfPKPfEviT_T9_T10_S7_lS9_S7_lS8_T11_S7_li
; %bb.0:
	s_clause 0x1
	s_load_dword s10, s[4:5], 0x40
	s_load_dwordx4 s[12:15], s[4:5], 0x0
	s_waitcnt lgkmcnt(0)
	v_cmp_neq_f32_e64 s0, s10, 1.0
	s_and_b32 vcc_lo, exec_lo, s0
	s_cbranch_vccnz .LBB314_2
; %bb.1:
	v_cmp_neq_f32_e64 s0, s14, 0
	s_cmp_lg_u32 s13, 0
	s_cselect_b32 s1, -1, 0
	s_and_b32 s0, s1, s0
.LBB314_2:
	s_andn2_b32 vcc_lo, exec_lo, s0
	s_cbranch_vccnz .LBB314_26
; %bb.3:
	s_load_dwordx2 s[2:3], s[4:5], 0x48
	s_mov_b32 s9, 0
	v_mov_b32_e32 v11, 0
	s_lshl_b64 s[0:1], s[8:9], 3
	v_mov_b32_e32 v8, 0
	v_mov_b32_e32 v7, 0
	v_mov_b32_e32 v6, 0
	s_waitcnt lgkmcnt(0)
	s_add_u32 s2, s2, s0
	s_addc_u32 s3, s3, s1
	s_lshl_b32 s8, s6, 5
	s_load_dwordx2 s[2:3], s[2:3], 0x0
	s_lshl_b32 s11, s7, 5
	v_cmp_eq_f32_e64 s6, s14, 0
	s_cmp_lt_i32 s13, 1
	s_cselect_b32 s7, -1, 0
	s_or_b32 s6, s6, s7
	s_and_b32 vcc_lo, exec_lo, s6
	s_cbranch_vccnz .LBB314_10
; %bb.4:
	s_clause 0x4
	s_load_dword s6, s[4:5], 0x30
	s_load_dwordx4 s[16:19], s[4:5], 0x20
	s_load_dword s15, s[4:5], 0x18
	s_load_dwordx2 s[20:21], s[4:5], 0x10
	s_load_dwordx2 s[22:23], s[4:5], 0x38
	v_lshl_add_u32 v2, v1, 4, v0
	v_and_b32_e32 v9, 7, v0
	v_lshlrev_b32_e32 v14, 2, v0
	v_lshl_add_u32 v15, v1, 5, 0x400
	v_and_b32_e32 v3, 31, v2
	v_lshrrev_b32_e32 v4, 3, v2
	v_lshlrev_b32_e32 v5, 2, v9
	v_lshrrev_b32_e32 v10, 5, v2
	v_or_b32_e32 v6, s8, v3
	v_lshlrev_b32_e32 v7, 2, v3
	v_add_nc_u32_e32 v3, s8, v3
	v_add_nc_u32_e32 v2, s11, v4
	v_lshl_or_b32 v8, v4, 5, v5
	s_waitcnt lgkmcnt(0)
	s_ashr_i32 s7, s6, 31
	s_add_u32 s18, s18, s0
	v_mad_i64_i32 v[4:5], null, s15, v3, 0
	s_addc_u32 s19, s19, s1
	v_cmp_gt_i32_e32 vcc_lo, s12, v6
	v_lshl_or_b32 v12, v10, 7, v7
	s_add_u32 s0, s20, s0
	v_mad_i64_i32 v[6:7], null, s6, v9, 0
	s_addc_u32 s1, s21, s1
	s_load_dwordx2 s[18:19], s[18:19], 0x0
	s_load_dwordx2 s[20:21], s[0:1], 0x0
	v_lshlrev_b64 v[4:5], 2, v[4:5]
	v_add_nc_u32_e32 v13, 0x400, v8
	v_ashrrev_i32_e32 v3, 31, v2
	s_lshl_b64 s[16:17], s[16:17], 2
	v_lshlrev_b64 v[7:8], 2, v[6:7]
	v_lshlrev_b32_e32 v11, 2, v10
	v_add_co_u32 v4, s1, v4, s16
	v_add_co_ci_u32_e64 v5, null, s17, v5, s1
	s_lshl_b64 s[16:17], s[22:23], 2
	v_cmp_gt_i32_e64 s0, s12, v2
	v_lshlrev_b64 v[2:3], 2, v[2:3]
	v_add_co_u32 v7, s1, v7, s16
	v_add_co_ci_u32_e64 v8, null, s17, v8, s1
	v_add_co_u32 v4, s1, v4, v11
	v_add_co_ci_u32_e64 v5, null, 0, v5, s1
	v_add_co_u32 v7, s1, v7, v2
	v_add_co_ci_u32_e64 v8, null, v8, v3, s1
	s_waitcnt lgkmcnt(0)
	v_add_co_u32 v2, s1, s20, v4
	v_add_co_ci_u32_e64 v3, null, s21, v5, s1
	v_add_co_u32 v4, s1, s18, v7
	v_mov_b32_e32 v6, 0
	v_add_co_ci_u32_e64 v5, null, s19, v8, s1
	v_mov_b32_e32 v7, 0
	v_mov_b32_e32 v8, 0
	;; [unrolled: 1-line block ×3, first 2 shown]
	s_lshl_b64 s[6:7], s[6:7], 5
	s_branch .LBB314_6
.LBB314_5:                              ;   in Loop: Header=BB314_6 Depth=1
	s_or_b32 exec_lo, exec_lo, s1
	s_waitcnt vmcnt(0) lgkmcnt(0)
	ds_write_b32 v13, v17
	s_waitcnt lgkmcnt(0)
	s_barrier
	buffer_gl0_inv
	ds_read_b128 v[16:19], v15
	ds_read2_b32 v[32:33], v14 offset1:16
	ds_read_b128 v[20:23], v15 offset:512
	ds_read2_b32 v[34:35], v14 offset0:32 offset1:48
	ds_read2_b32 v[36:37], v14 offset0:64 offset1:80
	;; [unrolled: 1-line block ×3, first 2 shown]
	ds_read_b128 v[24:27], v15 offset:16
	ds_read2_b32 v[40:41], v14 offset0:128 offset1:144
	ds_read_b128 v[28:31], v15 offset:528
	v_add_co_u32 v2, s1, v2, 32
	v_add_co_ci_u32_e64 v3, null, 0, v3, s1
	v_add_co_u32 v4, s1, v4, s6
	v_add_co_ci_u32_e64 v5, null, s7, v5, s1
	s_add_i32 s9, s9, 8
	s_cmp_lt_i32 s9, s13
	s_waitcnt lgkmcnt(7)
	v_fmac_f32_e32 v11, v32, v16
	v_fmac_f32_e32 v8, v33, v16
	s_waitcnt lgkmcnt(6)
	v_fmac_f32_e32 v7, v32, v20
	v_fmac_f32_e32 v6, v33, v20
	ds_read2_b32 v[32:33], v14 offset0:160 offset1:176
	s_waitcnt lgkmcnt(6)
	v_fmac_f32_e32 v11, v34, v17
	v_fmac_f32_e32 v8, v35, v17
	v_fmac_f32_e32 v7, v34, v21
	v_fmac_f32_e32 v6, v35, v21
	ds_read2_b32 v[16:17], v14 offset0:192 offset1:208
	s_waitcnt lgkmcnt(6)
	v_fmac_f32_e32 v11, v36, v18
	v_fmac_f32_e32 v8, v37, v18
	;; [unrolled: 6-line block ×3, first 2 shown]
	v_fmac_f32_e32 v7, v38, v23
	v_fmac_f32_e32 v6, v39, v23
	s_waitcnt lgkmcnt(0)
	v_fmac_f32_e32 v11, v40, v24
	v_fmac_f32_e32 v8, v41, v24
	v_fmac_f32_e32 v7, v40, v28
	v_fmac_f32_e32 v6, v41, v28
	s_barrier
	v_fmac_f32_e32 v11, v32, v25
	v_fmac_f32_e32 v8, v33, v25
	;; [unrolled: 1-line block ×4, first 2 shown]
	buffer_gl0_inv
	v_fmac_f32_e32 v11, v16, v26
	v_fmac_f32_e32 v8, v17, v26
	;; [unrolled: 1-line block ×8, first 2 shown]
	s_cbranch_scc0 .LBB314_10
.LBB314_6:                              ; =>This Inner Loop Header: Depth=1
	v_add_nc_u32_e32 v16, s9, v10
	v_cmp_gt_i32_e64 s1, s13, v16
	v_mov_b32_e32 v16, 0
	s_and_b32 s15, vcc_lo, s1
	s_and_saveexec_b32 s1, s15
	s_cbranch_execz .LBB314_8
; %bb.7:                                ;   in Loop: Header=BB314_6 Depth=1
	flat_load_dword v16, v[2:3]
.LBB314_8:                              ;   in Loop: Header=BB314_6 Depth=1
	s_or_b32 exec_lo, exec_lo, s1
	v_add_nc_u32_e32 v17, s9, v9
	s_waitcnt vmcnt(0) lgkmcnt(0)
	ds_write_b32 v12, v16
	v_cmp_gt_i32_e64 s1, s13, v17
	v_mov_b32_e32 v17, 0
	s_and_b32 s15, s1, s0
	s_and_saveexec_b32 s1, s15
	s_cbranch_execz .LBB314_5
; %bb.9:                                ;   in Loop: Header=BB314_6 Depth=1
	flat_load_dword v17, v[4:5]
	s_branch .LBB314_5
.LBB314_10:
	s_clause 0x1
	s_load_dword s6, s[4:5], 0x50
	s_load_dwordx2 s[4:5], s[4:5], 0x58
	v_add_nc_u32_e32 v10, s11, v1
	v_add_nc_u32_e32 v0, s8, v0
	v_cmp_gt_i32_e64 s0, s12, v10
	v_cmp_le_i32_e32 vcc_lo, v0, v10
	s_waitcnt lgkmcnt(0)
	v_mad_i64_i32 v[1:2], null, v10, s6, 0
	s_lshl_b64 s[4:5], s[4:5], 2
	s_add_u32 s2, s2, s4
	v_cmp_neq_f32_e64 s4, s10, 0
	s_addc_u32 s3, s3, s5
	s_and_b32 s5, s0, vcc_lo
	v_lshlrev_b64 v[2:3], 2, v[1:2]
	v_ashrrev_i32_e32 v1, 31, v0
	v_cndmask_b32_e64 v9, 0, 1, s4
	v_add_co_u32 v4, s1, s2, v2
	v_add_co_ci_u32_e64 v5, null, s3, v3, s1
	s_and_saveexec_b32 s1, s5
	s_cbranch_execz .LBB314_14
; %bb.11:
	v_lshlrev_b64 v[2:3], 2, v[0:1]
	v_mul_f32_e32 v11, s14, v11
	v_add_co_u32 v2, vcc_lo, v4, v2
	v_add_co_ci_u32_e64 v3, null, v5, v3, vcc_lo
	s_andn2_b32 vcc_lo, exec_lo, s4
	s_cbranch_vccnz .LBB314_13
; %bb.12:
	flat_load_dword v12, v[2:3]
	s_waitcnt vmcnt(0) lgkmcnt(0)
	v_fmac_f32_e32 v11, s10, v12
.LBB314_13:
	flat_store_dword v[2:3], v11
.LBB314_14:
	s_or_b32 exec_lo, exec_lo, s1
	v_add_nc_u32_e32 v2, 16, v0
	v_cmp_le_i32_e32 vcc_lo, v2, v10
	v_ashrrev_i32_e32 v3, 31, v2
	s_and_b32 s0, s0, vcc_lo
	s_and_saveexec_b32 s1, s0
	s_cbranch_execz .LBB314_18
; %bb.15:
	v_lshlrev_b64 v[11:12], 2, v[2:3]
	v_cmp_ne_u32_e32 vcc_lo, 1, v9
	v_mul_f32_e32 v8, s14, v8
	v_add_co_u32 v4, s0, v4, v11
	v_add_co_ci_u32_e64 v5, null, v5, v12, s0
	s_cbranch_vccnz .LBB314_17
; %bb.16:
	flat_load_dword v11, v[4:5]
	s_waitcnt vmcnt(0) lgkmcnt(0)
	v_fmac_f32_e32 v8, s10, v11
.LBB314_17:
	flat_store_dword v[4:5], v8
.LBB314_18:
	s_or_b32 exec_lo, exec_lo, s1
	v_add_nc_u32_e32 v8, 16, v10
	v_mad_i64_i32 v[4:5], null, v8, s6, 0
	v_cmp_gt_i32_e64 s0, s12, v8
	v_cmp_le_i32_e32 vcc_lo, v0, v8
	v_lshlrev_b64 v[4:5], 2, v[4:5]
	v_add_co_u32 v4, s1, s2, v4
	v_add_co_ci_u32_e64 v5, null, s3, v5, s1
	s_and_b32 s1, s0, vcc_lo
	s_and_saveexec_b32 s2, s1
	s_cbranch_execz .LBB314_22
; %bb.19:
	v_lshlrev_b64 v[0:1], 2, v[0:1]
	v_cmp_ne_u32_e32 vcc_lo, 1, v9
	v_mul_f32_e32 v7, s14, v7
	v_add_co_u32 v0, s1, v4, v0
	v_add_co_ci_u32_e64 v1, null, v5, v1, s1
	s_cbranch_vccnz .LBB314_21
; %bb.20:
	flat_load_dword v10, v[0:1]
	s_waitcnt vmcnt(0) lgkmcnt(0)
	v_fmac_f32_e32 v7, s10, v10
.LBB314_21:
	flat_store_dword v[0:1], v7
.LBB314_22:
	s_or_b32 exec_lo, exec_lo, s2
	v_cmp_le_i32_e32 vcc_lo, v2, v8
	s_and_b32 s0, s0, vcc_lo
	s_and_saveexec_b32 s1, s0
	s_cbranch_execz .LBB314_26
; %bb.23:
	v_lshlrev_b64 v[0:1], 2, v[2:3]
	v_cmp_ne_u32_e32 vcc_lo, 1, v9
	v_mul_f32_e32 v2, s14, v6
	v_add_co_u32 v0, s0, v4, v0
	v_add_co_ci_u32_e64 v1, null, v5, v1, s0
	s_cbranch_vccnz .LBB314_25
; %bb.24:
	flat_load_dword v3, v[0:1]
	s_waitcnt vmcnt(0) lgkmcnt(0)
	v_fmac_f32_e32 v2, s10, v3
.LBB314_25:
	flat_store_dword v[0:1], v2
.LBB314_26:
	s_endpgm
	.section	.rodata,"a",@progbits
	.p2align	6, 0x0
	.amdhsa_kernel _ZL29rocblas_internal_gemmt_kernelIiLi16ELi32ELi8ELc67ELc67ELc85ELb0ELb0EffPKPKfPKPfEviT_T9_T10_S7_lS9_S7_lS8_T11_S7_li
		.amdhsa_group_segment_fixed_size 2048
		.amdhsa_private_segment_fixed_size 0
		.amdhsa_kernarg_size 100
		.amdhsa_user_sgpr_count 6
		.amdhsa_user_sgpr_private_segment_buffer 1
		.amdhsa_user_sgpr_dispatch_ptr 0
		.amdhsa_user_sgpr_queue_ptr 0
		.amdhsa_user_sgpr_kernarg_segment_ptr 1
		.amdhsa_user_sgpr_dispatch_id 0
		.amdhsa_user_sgpr_flat_scratch_init 0
		.amdhsa_user_sgpr_private_segment_size 0
		.amdhsa_wavefront_size32 1
		.amdhsa_uses_dynamic_stack 0
		.amdhsa_system_sgpr_private_segment_wavefront_offset 0
		.amdhsa_system_sgpr_workgroup_id_x 1
		.amdhsa_system_sgpr_workgroup_id_y 1
		.amdhsa_system_sgpr_workgroup_id_z 1
		.amdhsa_system_sgpr_workgroup_info 0
		.amdhsa_system_vgpr_workitem_id 1
		.amdhsa_next_free_vgpr 42
		.amdhsa_next_free_sgpr 24
		.amdhsa_reserve_vcc 1
		.amdhsa_reserve_flat_scratch 0
		.amdhsa_float_round_mode_32 0
		.amdhsa_float_round_mode_16_64 0
		.amdhsa_float_denorm_mode_32 3
		.amdhsa_float_denorm_mode_16_64 3
		.amdhsa_dx10_clamp 1
		.amdhsa_ieee_mode 1
		.amdhsa_fp16_overflow 0
		.amdhsa_workgroup_processor_mode 1
		.amdhsa_memory_ordered 1
		.amdhsa_forward_progress 1
		.amdhsa_shared_vgpr_count 0
		.amdhsa_exception_fp_ieee_invalid_op 0
		.amdhsa_exception_fp_denorm_src 0
		.amdhsa_exception_fp_ieee_div_zero 0
		.amdhsa_exception_fp_ieee_overflow 0
		.amdhsa_exception_fp_ieee_underflow 0
		.amdhsa_exception_fp_ieee_inexact 0
		.amdhsa_exception_int_div_zero 0
	.end_amdhsa_kernel
	.section	.text._ZL29rocblas_internal_gemmt_kernelIiLi16ELi32ELi8ELc67ELc67ELc85ELb0ELb0EffPKPKfPKPfEviT_T9_T10_S7_lS9_S7_lS8_T11_S7_li,"axG",@progbits,_ZL29rocblas_internal_gemmt_kernelIiLi16ELi32ELi8ELc67ELc67ELc85ELb0ELb0EffPKPKfPKPfEviT_T9_T10_S7_lS9_S7_lS8_T11_S7_li,comdat
.Lfunc_end314:
	.size	_ZL29rocblas_internal_gemmt_kernelIiLi16ELi32ELi8ELc67ELc67ELc85ELb0ELb0EffPKPKfPKPfEviT_T9_T10_S7_lS9_S7_lS8_T11_S7_li, .Lfunc_end314-_ZL29rocblas_internal_gemmt_kernelIiLi16ELi32ELi8ELc67ELc67ELc85ELb0ELb0EffPKPKfPKPfEviT_T9_T10_S7_lS9_S7_lS8_T11_S7_li
                                        ; -- End function
	.set _ZL29rocblas_internal_gemmt_kernelIiLi16ELi32ELi8ELc67ELc67ELc85ELb0ELb0EffPKPKfPKPfEviT_T9_T10_S7_lS9_S7_lS8_T11_S7_li.num_vgpr, 42
	.set _ZL29rocblas_internal_gemmt_kernelIiLi16ELi32ELi8ELc67ELc67ELc85ELb0ELb0EffPKPKfPKPfEviT_T9_T10_S7_lS9_S7_lS8_T11_S7_li.num_agpr, 0
	.set _ZL29rocblas_internal_gemmt_kernelIiLi16ELi32ELi8ELc67ELc67ELc85ELb0ELb0EffPKPKfPKPfEviT_T9_T10_S7_lS9_S7_lS8_T11_S7_li.numbered_sgpr, 24
	.set _ZL29rocblas_internal_gemmt_kernelIiLi16ELi32ELi8ELc67ELc67ELc85ELb0ELb0EffPKPKfPKPfEviT_T9_T10_S7_lS9_S7_lS8_T11_S7_li.num_named_barrier, 0
	.set _ZL29rocblas_internal_gemmt_kernelIiLi16ELi32ELi8ELc67ELc67ELc85ELb0ELb0EffPKPKfPKPfEviT_T9_T10_S7_lS9_S7_lS8_T11_S7_li.private_seg_size, 0
	.set _ZL29rocblas_internal_gemmt_kernelIiLi16ELi32ELi8ELc67ELc67ELc85ELb0ELb0EffPKPKfPKPfEviT_T9_T10_S7_lS9_S7_lS8_T11_S7_li.uses_vcc, 1
	.set _ZL29rocblas_internal_gemmt_kernelIiLi16ELi32ELi8ELc67ELc67ELc85ELb0ELb0EffPKPKfPKPfEviT_T9_T10_S7_lS9_S7_lS8_T11_S7_li.uses_flat_scratch, 0
	.set _ZL29rocblas_internal_gemmt_kernelIiLi16ELi32ELi8ELc67ELc67ELc85ELb0ELb0EffPKPKfPKPfEviT_T9_T10_S7_lS9_S7_lS8_T11_S7_li.has_dyn_sized_stack, 0
	.set _ZL29rocblas_internal_gemmt_kernelIiLi16ELi32ELi8ELc67ELc67ELc85ELb0ELb0EffPKPKfPKPfEviT_T9_T10_S7_lS9_S7_lS8_T11_S7_li.has_recursion, 0
	.set _ZL29rocblas_internal_gemmt_kernelIiLi16ELi32ELi8ELc67ELc67ELc85ELb0ELb0EffPKPKfPKPfEviT_T9_T10_S7_lS9_S7_lS8_T11_S7_li.has_indirect_call, 0
	.section	.AMDGPU.csdata,"",@progbits
; Kernel info:
; codeLenInByte = 1420
; TotalNumSgprs: 26
; NumVgprs: 42
; ScratchSize: 0
; MemoryBound: 0
; FloatMode: 240
; IeeeMode: 1
; LDSByteSize: 2048 bytes/workgroup (compile time only)
; SGPRBlocks: 0
; VGPRBlocks: 5
; NumSGPRsForWavesPerEU: 26
; NumVGPRsForWavesPerEU: 42
; Occupancy: 16
; WaveLimiterHint : 1
; COMPUTE_PGM_RSRC2:SCRATCH_EN: 0
; COMPUTE_PGM_RSRC2:USER_SGPR: 6
; COMPUTE_PGM_RSRC2:TRAP_HANDLER: 0
; COMPUTE_PGM_RSRC2:TGID_X_EN: 1
; COMPUTE_PGM_RSRC2:TGID_Y_EN: 1
; COMPUTE_PGM_RSRC2:TGID_Z_EN: 1
; COMPUTE_PGM_RSRC2:TIDIG_COMP_CNT: 1
	.section	.text._ZL29rocblas_internal_gemmt_kernelIiLi16ELi32ELi8ELc78ELc78ELc76ELb0ELb0EffPKPKfPKPfEviT_T9_T10_S7_lS9_S7_lS8_T11_S7_li,"axG",@progbits,_ZL29rocblas_internal_gemmt_kernelIiLi16ELi32ELi8ELc78ELc78ELc76ELb0ELb0EffPKPKfPKPfEviT_T9_T10_S7_lS9_S7_lS8_T11_S7_li,comdat
	.globl	_ZL29rocblas_internal_gemmt_kernelIiLi16ELi32ELi8ELc78ELc78ELc76ELb0ELb0EffPKPKfPKPfEviT_T9_T10_S7_lS9_S7_lS8_T11_S7_li ; -- Begin function _ZL29rocblas_internal_gemmt_kernelIiLi16ELi32ELi8ELc78ELc78ELc76ELb0ELb0EffPKPKfPKPfEviT_T9_T10_S7_lS9_S7_lS8_T11_S7_li
	.p2align	8
	.type	_ZL29rocblas_internal_gemmt_kernelIiLi16ELi32ELi8ELc78ELc78ELc76ELb0ELb0EffPKPKfPKPfEviT_T9_T10_S7_lS9_S7_lS8_T11_S7_li,@function
_ZL29rocblas_internal_gemmt_kernelIiLi16ELi32ELi8ELc78ELc78ELc76ELb0ELb0EffPKPKfPKPfEviT_T9_T10_S7_lS9_S7_lS8_T11_S7_li: ; @_ZL29rocblas_internal_gemmt_kernelIiLi16ELi32ELi8ELc78ELc78ELc76ELb0ELb0EffPKPKfPKPfEviT_T9_T10_S7_lS9_S7_lS8_T11_S7_li
; %bb.0:
	s_clause 0x1
	s_load_dword s10, s[4:5], 0x40
	s_load_dwordx4 s[12:15], s[4:5], 0x0
	s_waitcnt lgkmcnt(0)
	v_cmp_neq_f32_e64 s0, s10, 1.0
	s_and_b32 vcc_lo, exec_lo, s0
	s_cbranch_vccnz .LBB315_2
; %bb.1:
	v_cmp_neq_f32_e64 s0, s14, 0
	s_cmp_lg_u32 s13, 0
	s_cselect_b32 s1, -1, 0
	s_and_b32 s0, s1, s0
.LBB315_2:
	s_andn2_b32 vcc_lo, exec_lo, s0
	s_cbranch_vccnz .LBB315_26
; %bb.3:
	s_load_dwordx2 s[2:3], s[4:5], 0x48
	s_mov_b32 s9, 0
	v_mov_b32_e32 v11, 0
	s_lshl_b64 s[0:1], s[8:9], 3
	v_mov_b32_e32 v8, 0
	v_mov_b32_e32 v7, 0
	;; [unrolled: 1-line block ×3, first 2 shown]
	s_waitcnt lgkmcnt(0)
	s_add_u32 s2, s2, s0
	s_addc_u32 s3, s3, s1
	s_lshl_b32 s8, s6, 5
	s_load_dwordx2 s[2:3], s[2:3], 0x0
	s_lshl_b32 s11, s7, 5
	v_cmp_eq_f32_e64 s6, s14, 0
	s_cmp_lt_i32 s13, 1
	s_cselect_b32 s7, -1, 0
	s_or_b32 s6, s6, s7
	s_and_b32 vcc_lo, exec_lo, s6
	s_cbranch_vccnz .LBB315_10
; %bb.4:
	s_clause 0x4
	s_load_dword s6, s[4:5], 0x18
	s_load_dword s15, s[4:5], 0x30
	s_load_dwordx2 s[22:23], s[4:5], 0x38
	s_load_dwordx4 s[16:19], s[4:5], 0x20
	s_load_dwordx2 s[20:21], s[4:5], 0x10
	v_lshl_add_u32 v2, v1, 4, v0
	v_and_b32_e32 v9, 7, v0
	v_lshlrev_b32_e32 v14, 2, v0
	v_lshl_add_u32 v15, v1, 5, 0x400
	v_and_b32_e32 v3, 31, v2
	v_lshrrev_b32_e32 v4, 3, v2
	v_lshlrev_b32_e32 v8, 2, v9
	v_lshrrev_b32_e32 v10, 5, v2
	v_or_b32_e32 v5, s8, v3
	v_lshlrev_b32_e32 v6, 2, v3
	v_add_nc_u32_e32 v7, s11, v4
	v_lshl_or_b32 v11, v4, 5, v8
	v_add_nc_u32_e32 v2, s8, v3
	v_cmp_gt_i32_e32 vcc_lo, s12, v5
	s_waitcnt lgkmcnt(0)
	s_ashr_i32 s7, s6, 31
	v_mad_i64_i32 v[3:4], null, v10, s6, 0
	s_add_u32 s18, s18, s0
	s_addc_u32 s19, s19, s1
	s_add_u32 s0, s20, s0
	s_addc_u32 s1, s21, s1
	s_load_dwordx2 s[18:19], s[18:19], 0x0
	s_load_dwordx2 s[20:21], s[0:1], 0x0
	v_lshl_or_b32 v12, v10, 7, v6
	v_cmp_gt_i32_e64 s0, s12, v7
	v_lshlrev_b64 v[4:5], 2, v[3:4]
	v_mad_i64_i32 v[6:7], null, s15, v7, 0
	v_ashrrev_i32_e32 v3, 31, v2
	s_lshl_b64 s[16:17], s[16:17], 2
	v_add_nc_u32_e32 v13, 0x400, v11
	v_add_co_u32 v11, s1, v4, s16
	v_lshlrev_b64 v[2:3], 2, v[2:3]
	v_add_co_ci_u32_e64 v16, null, s17, v5, s1
	v_lshlrev_b64 v[4:5], 2, v[6:7]
	s_lshl_b64 s[16:17], s[22:23], 2
	v_mov_b32_e32 v6, 0
	v_add_co_u32 v2, s1, v11, v2
	v_add_co_ci_u32_e64 v3, null, v16, v3, s1
	v_add_co_u32 v4, s1, v4, s16
	v_add_co_ci_u32_e64 v5, null, s17, v5, s1
	s_waitcnt lgkmcnt(0)
	v_add_co_u32 v2, s1, s20, v2
	v_add_co_ci_u32_e64 v3, null, s21, v3, s1
	v_add_co_u32 v4, s1, v4, v8
	v_add_co_ci_u32_e64 v5, null, 0, v5, s1
	v_mov_b32_e32 v7, 0
	v_add_co_u32 v4, s1, s18, v4
	v_add_co_ci_u32_e64 v5, null, s19, v5, s1
	v_mov_b32_e32 v8, 0
	v_mov_b32_e32 v11, 0
	s_lshl_b64 s[6:7], s[6:7], 5
	s_branch .LBB315_6
.LBB315_5:                              ;   in Loop: Header=BB315_6 Depth=1
	s_or_b32 exec_lo, exec_lo, s1
	s_waitcnt vmcnt(0) lgkmcnt(0)
	ds_write_b32 v13, v17
	s_waitcnt lgkmcnt(0)
	s_barrier
	buffer_gl0_inv
	ds_read_b128 v[16:19], v15
	ds_read2_b32 v[32:33], v14 offset1:16
	ds_read_b128 v[20:23], v15 offset:512
	ds_read2_b32 v[34:35], v14 offset0:32 offset1:48
	ds_read2_b32 v[36:37], v14 offset0:64 offset1:80
	;; [unrolled: 1-line block ×3, first 2 shown]
	ds_read_b128 v[24:27], v15 offset:16
	ds_read2_b32 v[40:41], v14 offset0:128 offset1:144
	ds_read_b128 v[28:31], v15 offset:528
	v_add_co_u32 v2, s1, v2, s6
	v_add_co_ci_u32_e64 v3, null, s7, v3, s1
	v_add_co_u32 v4, s1, v4, 32
	v_add_co_ci_u32_e64 v5, null, 0, v5, s1
	s_add_i32 s9, s9, 8
	s_cmp_lt_i32 s9, s13
	s_waitcnt lgkmcnt(7)
	v_fmac_f32_e32 v11, v32, v16
	v_fmac_f32_e32 v8, v33, v16
	s_waitcnt lgkmcnt(6)
	v_fmac_f32_e32 v7, v32, v20
	v_fmac_f32_e32 v6, v33, v20
	ds_read2_b32 v[32:33], v14 offset0:160 offset1:176
	s_waitcnt lgkmcnt(6)
	v_fmac_f32_e32 v11, v34, v17
	v_fmac_f32_e32 v8, v35, v17
	v_fmac_f32_e32 v7, v34, v21
	v_fmac_f32_e32 v6, v35, v21
	ds_read2_b32 v[16:17], v14 offset0:192 offset1:208
	s_waitcnt lgkmcnt(6)
	v_fmac_f32_e32 v11, v36, v18
	v_fmac_f32_e32 v8, v37, v18
	;; [unrolled: 6-line block ×3, first 2 shown]
	v_fmac_f32_e32 v7, v38, v23
	v_fmac_f32_e32 v6, v39, v23
	s_waitcnt lgkmcnt(0)
	v_fmac_f32_e32 v11, v40, v24
	v_fmac_f32_e32 v8, v41, v24
	;; [unrolled: 1-line block ×4, first 2 shown]
	s_barrier
	v_fmac_f32_e32 v11, v32, v25
	v_fmac_f32_e32 v8, v33, v25
	;; [unrolled: 1-line block ×4, first 2 shown]
	buffer_gl0_inv
	v_fmac_f32_e32 v11, v16, v26
	v_fmac_f32_e32 v8, v17, v26
	v_fmac_f32_e32 v7, v16, v30
	v_fmac_f32_e32 v6, v17, v30
	v_fmac_f32_e32 v11, v20, v27
	v_fmac_f32_e32 v8, v21, v27
	v_fmac_f32_e32 v7, v20, v31
	v_fmac_f32_e32 v6, v21, v31
	s_cbranch_scc0 .LBB315_10
.LBB315_6:                              ; =>This Inner Loop Header: Depth=1
	v_add_nc_u32_e32 v16, s9, v10
	v_cmp_gt_i32_e64 s1, s13, v16
	v_mov_b32_e32 v16, 0
	s_and_b32 s15, vcc_lo, s1
	s_and_saveexec_b32 s1, s15
	s_cbranch_execz .LBB315_8
; %bb.7:                                ;   in Loop: Header=BB315_6 Depth=1
	flat_load_dword v16, v[2:3]
.LBB315_8:                              ;   in Loop: Header=BB315_6 Depth=1
	s_or_b32 exec_lo, exec_lo, s1
	v_add_nc_u32_e32 v17, s9, v9
	s_waitcnt vmcnt(0) lgkmcnt(0)
	ds_write_b32 v12, v16
	v_cmp_gt_i32_e64 s1, s13, v17
	v_mov_b32_e32 v17, 0
	s_and_b32 s15, s1, s0
	s_and_saveexec_b32 s1, s15
	s_cbranch_execz .LBB315_5
; %bb.9:                                ;   in Loop: Header=BB315_6 Depth=1
	flat_load_dword v17, v[4:5]
	s_branch .LBB315_5
.LBB315_10:
	s_clause 0x1
	s_load_dword s6, s[4:5], 0x50
	s_load_dwordx2 s[4:5], s[4:5], 0x58
	v_add_nc_u32_e32 v10, s11, v1
	v_add_nc_u32_e32 v0, s8, v0
	v_cmp_le_i32_e32 vcc_lo, v10, v0
	v_cmp_gt_i32_e64 s0, s12, v0
	s_waitcnt lgkmcnt(0)
	v_mad_i64_i32 v[1:2], null, v10, s6, 0
	s_lshl_b64 s[4:5], s[4:5], 2
	s_add_u32 s4, s2, s4
	v_cmp_neq_f32_e64 s2, s10, 0
	s_addc_u32 s3, s3, s5
	s_and_b32 s5, vcc_lo, s0
	v_lshlrev_b64 v[2:3], 2, v[1:2]
	v_ashrrev_i32_e32 v1, 31, v0
	v_cndmask_b32_e64 v9, 0, 1, s2
	v_add_co_u32 v4, s1, s4, v2
	v_add_co_ci_u32_e64 v5, null, s3, v3, s1
	s_and_saveexec_b32 s1, s5
	s_cbranch_execz .LBB315_14
; %bb.11:
	v_lshlrev_b64 v[2:3], 2, v[0:1]
	v_mul_f32_e32 v11, s14, v11
	v_add_co_u32 v2, vcc_lo, v4, v2
	v_add_co_ci_u32_e64 v3, null, v5, v3, vcc_lo
	s_andn2_b32 vcc_lo, exec_lo, s2
	s_cbranch_vccnz .LBB315_13
; %bb.12:
	flat_load_dword v12, v[2:3]
	s_waitcnt vmcnt(0) lgkmcnt(0)
	v_fmac_f32_e32 v11, s10, v12
.LBB315_13:
	flat_store_dword v[2:3], v11
.LBB315_14:
	s_or_b32 exec_lo, exec_lo, s1
	v_add_nc_u32_e32 v2, 16, v0
	v_cmp_le_i32_e32 vcc_lo, v10, v2
	v_cmp_gt_i32_e64 s1, s12, v2
	v_ashrrev_i32_e32 v3, 31, v2
	s_and_b32 s2, vcc_lo, s1
	s_and_saveexec_b32 s5, s2
	s_cbranch_execz .LBB315_18
; %bb.15:
	v_lshlrev_b64 v[11:12], 2, v[2:3]
	v_cmp_ne_u32_e32 vcc_lo, 1, v9
	v_mul_f32_e32 v8, s14, v8
	v_add_co_u32 v4, s2, v4, v11
	v_add_co_ci_u32_e64 v5, null, v5, v12, s2
	s_cbranch_vccnz .LBB315_17
; %bb.16:
	flat_load_dword v11, v[4:5]
	s_waitcnt vmcnt(0) lgkmcnt(0)
	v_fmac_f32_e32 v8, s10, v11
.LBB315_17:
	flat_store_dword v[4:5], v8
.LBB315_18:
	s_or_b32 exec_lo, exec_lo, s5
	v_add_nc_u32_e32 v8, 16, v10
	v_mad_i64_i32 v[4:5], null, v8, s6, 0
	v_cmp_le_i32_e32 vcc_lo, v8, v0
	s_and_b32 s0, vcc_lo, s0
	v_lshlrev_b64 v[4:5], 2, v[4:5]
	v_add_co_u32 v4, s2, s4, v4
	v_add_co_ci_u32_e64 v5, null, s3, v5, s2
	s_and_saveexec_b32 s2, s0
	s_cbranch_execz .LBB315_22
; %bb.19:
	v_lshlrev_b64 v[0:1], 2, v[0:1]
	v_cmp_ne_u32_e32 vcc_lo, 1, v9
	v_mul_f32_e32 v7, s14, v7
	v_add_co_u32 v0, s0, v4, v0
	v_add_co_ci_u32_e64 v1, null, v5, v1, s0
	s_cbranch_vccnz .LBB315_21
; %bb.20:
	flat_load_dword v10, v[0:1]
	s_waitcnt vmcnt(0) lgkmcnt(0)
	v_fmac_f32_e32 v7, s10, v10
.LBB315_21:
	flat_store_dword v[0:1], v7
.LBB315_22:
	s_or_b32 exec_lo, exec_lo, s2
	v_cmp_le_i32_e32 vcc_lo, v8, v2
	s_and_b32 s0, vcc_lo, s1
	s_and_saveexec_b32 s1, s0
	s_cbranch_execz .LBB315_26
; %bb.23:
	v_lshlrev_b64 v[0:1], 2, v[2:3]
	v_cmp_ne_u32_e32 vcc_lo, 1, v9
	v_mul_f32_e32 v2, s14, v6
	v_add_co_u32 v0, s0, v4, v0
	v_add_co_ci_u32_e64 v1, null, v5, v1, s0
	s_cbranch_vccnz .LBB315_25
; %bb.24:
	flat_load_dword v3, v[0:1]
	s_waitcnt vmcnt(0) lgkmcnt(0)
	v_fmac_f32_e32 v2, s10, v3
.LBB315_25:
	flat_store_dword v[0:1], v2
.LBB315_26:
	s_endpgm
	.section	.rodata,"a",@progbits
	.p2align	6, 0x0
	.amdhsa_kernel _ZL29rocblas_internal_gemmt_kernelIiLi16ELi32ELi8ELc78ELc78ELc76ELb0ELb0EffPKPKfPKPfEviT_T9_T10_S7_lS9_S7_lS8_T11_S7_li
		.amdhsa_group_segment_fixed_size 2048
		.amdhsa_private_segment_fixed_size 0
		.amdhsa_kernarg_size 100
		.amdhsa_user_sgpr_count 6
		.amdhsa_user_sgpr_private_segment_buffer 1
		.amdhsa_user_sgpr_dispatch_ptr 0
		.amdhsa_user_sgpr_queue_ptr 0
		.amdhsa_user_sgpr_kernarg_segment_ptr 1
		.amdhsa_user_sgpr_dispatch_id 0
		.amdhsa_user_sgpr_flat_scratch_init 0
		.amdhsa_user_sgpr_private_segment_size 0
		.amdhsa_wavefront_size32 1
		.amdhsa_uses_dynamic_stack 0
		.amdhsa_system_sgpr_private_segment_wavefront_offset 0
		.amdhsa_system_sgpr_workgroup_id_x 1
		.amdhsa_system_sgpr_workgroup_id_y 1
		.amdhsa_system_sgpr_workgroup_id_z 1
		.amdhsa_system_sgpr_workgroup_info 0
		.amdhsa_system_vgpr_workitem_id 1
		.amdhsa_next_free_vgpr 42
		.amdhsa_next_free_sgpr 24
		.amdhsa_reserve_vcc 1
		.amdhsa_reserve_flat_scratch 0
		.amdhsa_float_round_mode_32 0
		.amdhsa_float_round_mode_16_64 0
		.amdhsa_float_denorm_mode_32 3
		.amdhsa_float_denorm_mode_16_64 3
		.amdhsa_dx10_clamp 1
		.amdhsa_ieee_mode 1
		.amdhsa_fp16_overflow 0
		.amdhsa_workgroup_processor_mode 1
		.amdhsa_memory_ordered 1
		.amdhsa_forward_progress 1
		.amdhsa_shared_vgpr_count 0
		.amdhsa_exception_fp_ieee_invalid_op 0
		.amdhsa_exception_fp_denorm_src 0
		.amdhsa_exception_fp_ieee_div_zero 0
		.amdhsa_exception_fp_ieee_overflow 0
		.amdhsa_exception_fp_ieee_underflow 0
		.amdhsa_exception_fp_ieee_inexact 0
		.amdhsa_exception_int_div_zero 0
	.end_amdhsa_kernel
	.section	.text._ZL29rocblas_internal_gemmt_kernelIiLi16ELi32ELi8ELc78ELc78ELc76ELb0ELb0EffPKPKfPKPfEviT_T9_T10_S7_lS9_S7_lS8_T11_S7_li,"axG",@progbits,_ZL29rocblas_internal_gemmt_kernelIiLi16ELi32ELi8ELc78ELc78ELc76ELb0ELb0EffPKPKfPKPfEviT_T9_T10_S7_lS9_S7_lS8_T11_S7_li,comdat
.Lfunc_end315:
	.size	_ZL29rocblas_internal_gemmt_kernelIiLi16ELi32ELi8ELc78ELc78ELc76ELb0ELb0EffPKPKfPKPfEviT_T9_T10_S7_lS9_S7_lS8_T11_S7_li, .Lfunc_end315-_ZL29rocblas_internal_gemmt_kernelIiLi16ELi32ELi8ELc78ELc78ELc76ELb0ELb0EffPKPKfPKPfEviT_T9_T10_S7_lS9_S7_lS8_T11_S7_li
                                        ; -- End function
	.set _ZL29rocblas_internal_gemmt_kernelIiLi16ELi32ELi8ELc78ELc78ELc76ELb0ELb0EffPKPKfPKPfEviT_T9_T10_S7_lS9_S7_lS8_T11_S7_li.num_vgpr, 42
	.set _ZL29rocblas_internal_gemmt_kernelIiLi16ELi32ELi8ELc78ELc78ELc76ELb0ELb0EffPKPKfPKPfEviT_T9_T10_S7_lS9_S7_lS8_T11_S7_li.num_agpr, 0
	.set _ZL29rocblas_internal_gemmt_kernelIiLi16ELi32ELi8ELc78ELc78ELc76ELb0ELb0EffPKPKfPKPfEviT_T9_T10_S7_lS9_S7_lS8_T11_S7_li.numbered_sgpr, 24
	.set _ZL29rocblas_internal_gemmt_kernelIiLi16ELi32ELi8ELc78ELc78ELc76ELb0ELb0EffPKPKfPKPfEviT_T9_T10_S7_lS9_S7_lS8_T11_S7_li.num_named_barrier, 0
	.set _ZL29rocblas_internal_gemmt_kernelIiLi16ELi32ELi8ELc78ELc78ELc76ELb0ELb0EffPKPKfPKPfEviT_T9_T10_S7_lS9_S7_lS8_T11_S7_li.private_seg_size, 0
	.set _ZL29rocblas_internal_gemmt_kernelIiLi16ELi32ELi8ELc78ELc78ELc76ELb0ELb0EffPKPKfPKPfEviT_T9_T10_S7_lS9_S7_lS8_T11_S7_li.uses_vcc, 1
	.set _ZL29rocblas_internal_gemmt_kernelIiLi16ELi32ELi8ELc78ELc78ELc76ELb0ELb0EffPKPKfPKPfEviT_T9_T10_S7_lS9_S7_lS8_T11_S7_li.uses_flat_scratch, 0
	.set _ZL29rocblas_internal_gemmt_kernelIiLi16ELi32ELi8ELc78ELc78ELc76ELb0ELb0EffPKPKfPKPfEviT_T9_T10_S7_lS9_S7_lS8_T11_S7_li.has_dyn_sized_stack, 0
	.set _ZL29rocblas_internal_gemmt_kernelIiLi16ELi32ELi8ELc78ELc78ELc76ELb0ELb0EffPKPKfPKPfEviT_T9_T10_S7_lS9_S7_lS8_T11_S7_li.has_recursion, 0
	.set _ZL29rocblas_internal_gemmt_kernelIiLi16ELi32ELi8ELc78ELc78ELc76ELb0ELb0EffPKPKfPKPfEviT_T9_T10_S7_lS9_S7_lS8_T11_S7_li.has_indirect_call, 0
	.section	.AMDGPU.csdata,"",@progbits
; Kernel info:
; codeLenInByte = 1416
; TotalNumSgprs: 26
; NumVgprs: 42
; ScratchSize: 0
; MemoryBound: 0
; FloatMode: 240
; IeeeMode: 1
; LDSByteSize: 2048 bytes/workgroup (compile time only)
; SGPRBlocks: 0
; VGPRBlocks: 5
; NumSGPRsForWavesPerEU: 26
; NumVGPRsForWavesPerEU: 42
; Occupancy: 16
; WaveLimiterHint : 1
; COMPUTE_PGM_RSRC2:SCRATCH_EN: 0
; COMPUTE_PGM_RSRC2:USER_SGPR: 6
; COMPUTE_PGM_RSRC2:TRAP_HANDLER: 0
; COMPUTE_PGM_RSRC2:TGID_X_EN: 1
; COMPUTE_PGM_RSRC2:TGID_Y_EN: 1
; COMPUTE_PGM_RSRC2:TGID_Z_EN: 1
; COMPUTE_PGM_RSRC2:TIDIG_COMP_CNT: 1
	.section	.text._ZL29rocblas_internal_gemmt_kernelIiLi16ELi32ELi8ELc78ELc84ELc76ELb0ELb0EffPKPKfPKPfEviT_T9_T10_S7_lS9_S7_lS8_T11_S7_li,"axG",@progbits,_ZL29rocblas_internal_gemmt_kernelIiLi16ELi32ELi8ELc78ELc84ELc76ELb0ELb0EffPKPKfPKPfEviT_T9_T10_S7_lS9_S7_lS8_T11_S7_li,comdat
	.globl	_ZL29rocblas_internal_gemmt_kernelIiLi16ELi32ELi8ELc78ELc84ELc76ELb0ELb0EffPKPKfPKPfEviT_T9_T10_S7_lS9_S7_lS8_T11_S7_li ; -- Begin function _ZL29rocblas_internal_gemmt_kernelIiLi16ELi32ELi8ELc78ELc84ELc76ELb0ELb0EffPKPKfPKPfEviT_T9_T10_S7_lS9_S7_lS8_T11_S7_li
	.p2align	8
	.type	_ZL29rocblas_internal_gemmt_kernelIiLi16ELi32ELi8ELc78ELc84ELc76ELb0ELb0EffPKPKfPKPfEviT_T9_T10_S7_lS9_S7_lS8_T11_S7_li,@function
_ZL29rocblas_internal_gemmt_kernelIiLi16ELi32ELi8ELc78ELc84ELc76ELb0ELb0EffPKPKfPKPfEviT_T9_T10_S7_lS9_S7_lS8_T11_S7_li: ; @_ZL29rocblas_internal_gemmt_kernelIiLi16ELi32ELi8ELc78ELc84ELc76ELb0ELb0EffPKPKfPKPfEviT_T9_T10_S7_lS9_S7_lS8_T11_S7_li
; %bb.0:
	s_clause 0x1
	s_load_dword s20, s[4:5], 0x40
	s_load_dwordx4 s[12:15], s[4:5], 0x0
	s_waitcnt lgkmcnt(0)
	v_cmp_neq_f32_e64 s0, s20, 1.0
	s_and_b32 vcc_lo, exec_lo, s0
	s_cbranch_vccnz .LBB316_2
; %bb.1:
	v_cmp_neq_f32_e64 s0, s14, 0
	s_cmp_lg_u32 s13, 0
	s_cselect_b32 s1, -1, 0
	s_and_b32 s0, s1, s0
.LBB316_2:
	s_andn2_b32 vcc_lo, exec_lo, s0
	s_cbranch_vccnz .LBB316_26
; %bb.3:
	s_load_dwordx2 s[2:3], s[4:5], 0x48
	s_mov_b32 s9, 0
	v_mov_b32_e32 v12, 0
	s_lshl_b64 s[0:1], s[8:9], 3
	v_mov_b32_e32 v9, 0
	v_mov_b32_e32 v7, 0
	;; [unrolled: 1-line block ×3, first 2 shown]
	s_waitcnt lgkmcnt(0)
	s_add_u32 s2, s2, s0
	s_addc_u32 s3, s3, s1
	s_lshl_b32 s8, s6, 5
	s_load_dwordx2 s[2:3], s[2:3], 0x0
	s_lshl_b32 s15, s7, 5
	v_cmp_eq_f32_e64 s6, s14, 0
	s_cmp_lt_i32 s13, 1
	s_cselect_b32 s7, -1, 0
	s_or_b32 s6, s6, s7
	s_and_b32 vcc_lo, exec_lo, s6
	s_cbranch_vccnz .LBB316_10
; %bb.4:
	s_clause 0x3
	s_load_dword s6, s[4:5], 0x18
	s_load_dword s10, s[4:5], 0x30
	s_load_dwordx4 s[16:19], s[4:5], 0x20
	s_load_dwordx2 s[22:23], s[4:5], 0x10
	v_lshl_add_u32 v2, v1, 4, v0
	v_and_b32_e32 v8, 7, v0
	s_load_dwordx2 s[24:25], s[4:5], 0x38
	v_lshlrev_b32_e32 v14, 2, v0
	v_lshl_add_u32 v15, v1, 5, 0x400
	v_and_b32_e32 v9, 31, v2
	v_lshrrev_b32_e32 v10, 5, v2
	v_lshrrev_b32_e32 v3, 3, v2
	v_lshlrev_b32_e32 v4, 2, v8
	v_or_b32_e32 v5, s8, v9
	v_lshlrev_b32_e32 v6, 2, v9
	v_add_nc_u32_e32 v2, s15, v3
	v_lshl_or_b32 v3, v3, 5, v4
	v_add_nc_u32_e32 v16, s8, v9
	v_cmp_gt_i32_e32 vcc_lo, s12, v5
	v_lshl_or_b32 v11, v10, 7, v6
	s_waitcnt lgkmcnt(0)
	v_mad_i64_i32 v[4:5], null, v10, s6, 0
	s_ashr_i32 s7, s6, 31
	s_ashr_i32 s11, s10, 31
	s_add_u32 s18, s18, s0
	s_addc_u32 s19, s19, s1
	s_add_u32 s0, s22, s0
	v_mad_i64_i32 v[6:7], null, s10, v8, 0
	s_addc_u32 s1, s23, s1
	s_load_dwordx2 s[18:19], s[18:19], 0x0
	s_load_dwordx2 s[22:23], s[0:1], 0x0
	v_lshlrev_b64 v[4:5], 2, v[4:5]
	v_ashrrev_i32_e32 v17, 31, v16
	s_lshl_b64 s[16:17], s[16:17], 2
	v_add_nc_u32_e32 v13, 0x400, v3
	v_ashrrev_i32_e32 v3, 31, v2
	v_lshlrev_b64 v[6:7], 2, v[6:7]
	v_add_co_u32 v9, s1, v4, s16
	v_add_co_ci_u32_e64 v12, null, s17, v5, s1
	v_lshlrev_b64 v[4:5], 2, v[16:17]
	s_lshl_b64 s[16:17], s[24:25], 2
	v_cmp_gt_i32_e64 s0, s12, v2
	v_lshlrev_b64 v[2:3], 2, v[2:3]
	v_add_co_u32 v6, s1, v6, s16
	v_add_co_ci_u32_e64 v7, null, s17, v7, s1
	v_add_co_u32 v4, s1, v9, v4
	v_add_co_ci_u32_e64 v5, null, v12, v5, s1
	v_add_co_u32 v6, s1, v6, v2
	v_add_co_ci_u32_e64 v7, null, v7, v3, s1
	s_waitcnt lgkmcnt(0)
	v_add_co_u32 v2, s1, s22, v4
	v_add_co_ci_u32_e64 v3, null, s23, v5, s1
	v_add_co_u32 v4, s1, s18, v6
	v_add_co_ci_u32_e64 v5, null, s19, v7, s1
	v_mov_b32_e32 v6, 0
	v_mov_b32_e32 v7, 0
	;; [unrolled: 1-line block ×4, first 2 shown]
	s_lshl_b64 s[6:7], s[6:7], 5
	s_lshl_b64 s[10:11], s[10:11], 5
	s_branch .LBB316_6
.LBB316_5:                              ;   in Loop: Header=BB316_6 Depth=1
	s_or_b32 exec_lo, exec_lo, s1
	s_waitcnt vmcnt(0) lgkmcnt(0)
	ds_write_b32 v13, v17
	s_waitcnt lgkmcnt(0)
	s_barrier
	buffer_gl0_inv
	ds_read_b128 v[16:19], v15
	ds_read2_b32 v[32:33], v14 offset1:16
	ds_read_b128 v[20:23], v15 offset:512
	ds_read2_b32 v[34:35], v14 offset0:32 offset1:48
	ds_read2_b32 v[36:37], v14 offset0:64 offset1:80
	;; [unrolled: 1-line block ×3, first 2 shown]
	ds_read_b128 v[24:27], v15 offset:16
	ds_read2_b32 v[40:41], v14 offset0:128 offset1:144
	ds_read_b128 v[28:31], v15 offset:528
	v_add_co_u32 v2, s1, v2, s6
	v_add_co_ci_u32_e64 v3, null, s7, v3, s1
	v_add_co_u32 v4, s1, v4, s10
	v_add_co_ci_u32_e64 v5, null, s11, v5, s1
	s_add_i32 s9, s9, 8
	s_cmp_lt_i32 s9, s13
	s_waitcnt lgkmcnt(7)
	v_fmac_f32_e32 v12, v32, v16
	v_fmac_f32_e32 v9, v33, v16
	s_waitcnt lgkmcnt(6)
	v_fmac_f32_e32 v7, v32, v20
	v_fmac_f32_e32 v6, v33, v20
	ds_read2_b32 v[32:33], v14 offset0:160 offset1:176
	s_waitcnt lgkmcnt(6)
	v_fmac_f32_e32 v12, v34, v17
	v_fmac_f32_e32 v9, v35, v17
	v_fmac_f32_e32 v7, v34, v21
	v_fmac_f32_e32 v6, v35, v21
	ds_read2_b32 v[16:17], v14 offset0:192 offset1:208
	s_waitcnt lgkmcnt(6)
	v_fmac_f32_e32 v12, v36, v18
	v_fmac_f32_e32 v9, v37, v18
	;; [unrolled: 6-line block ×3, first 2 shown]
	v_fmac_f32_e32 v7, v38, v23
	v_fmac_f32_e32 v6, v39, v23
	s_waitcnt lgkmcnt(0)
	v_fmac_f32_e32 v12, v40, v24
	v_fmac_f32_e32 v9, v41, v24
	;; [unrolled: 1-line block ×4, first 2 shown]
	s_barrier
	v_fmac_f32_e32 v12, v32, v25
	v_fmac_f32_e32 v9, v33, v25
	;; [unrolled: 1-line block ×4, first 2 shown]
	buffer_gl0_inv
	v_fmac_f32_e32 v12, v16, v26
	v_fmac_f32_e32 v9, v17, v26
	;; [unrolled: 1-line block ×8, first 2 shown]
	s_cbranch_scc0 .LBB316_10
.LBB316_6:                              ; =>This Inner Loop Header: Depth=1
	v_add_nc_u32_e32 v16, s9, v10
	v_cmp_gt_i32_e64 s1, s13, v16
	v_mov_b32_e32 v16, 0
	s_and_b32 s16, vcc_lo, s1
	s_and_saveexec_b32 s1, s16
	s_cbranch_execz .LBB316_8
; %bb.7:                                ;   in Loop: Header=BB316_6 Depth=1
	flat_load_dword v16, v[2:3]
.LBB316_8:                              ;   in Loop: Header=BB316_6 Depth=1
	s_or_b32 exec_lo, exec_lo, s1
	v_add_nc_u32_e32 v17, s9, v8
	s_waitcnt vmcnt(0) lgkmcnt(0)
	ds_write_b32 v11, v16
	v_cmp_gt_i32_e64 s1, s13, v17
	v_mov_b32_e32 v17, 0
	s_and_b32 s16, s1, s0
	s_and_saveexec_b32 s1, s16
	s_cbranch_execz .LBB316_5
; %bb.9:                                ;   in Loop: Header=BB316_6 Depth=1
	flat_load_dword v17, v[4:5]
	s_branch .LBB316_5
.LBB316_10:
	s_clause 0x1
	s_load_dword s6, s[4:5], 0x50
	s_load_dwordx2 s[4:5], s[4:5], 0x58
	v_add_nc_u32_e32 v10, s15, v1
	v_add_nc_u32_e32 v0, s8, v0
	v_cmp_le_i32_e32 vcc_lo, v10, v0
	v_cmp_gt_i32_e64 s0, s12, v0
	s_waitcnt lgkmcnt(0)
	v_mad_i64_i32 v[1:2], null, v10, s6, 0
	s_lshl_b64 s[4:5], s[4:5], 2
	s_add_u32 s4, s2, s4
	v_cmp_neq_f32_e64 s2, s20, 0
	s_addc_u32 s3, s3, s5
	s_and_b32 s5, vcc_lo, s0
	v_lshlrev_b64 v[2:3], 2, v[1:2]
	v_ashrrev_i32_e32 v1, 31, v0
	v_cndmask_b32_e64 v8, 0, 1, s2
	v_add_co_u32 v4, s1, s4, v2
	v_add_co_ci_u32_e64 v5, null, s3, v3, s1
	s_and_saveexec_b32 s1, s5
	s_cbranch_execz .LBB316_14
; %bb.11:
	v_lshlrev_b64 v[2:3], 2, v[0:1]
	v_mul_f32_e32 v11, s14, v12
	v_add_co_u32 v2, vcc_lo, v4, v2
	v_add_co_ci_u32_e64 v3, null, v5, v3, vcc_lo
	s_andn2_b32 vcc_lo, exec_lo, s2
	s_cbranch_vccnz .LBB316_13
; %bb.12:
	flat_load_dword v12, v[2:3]
	s_waitcnt vmcnt(0) lgkmcnt(0)
	v_fmac_f32_e32 v11, s20, v12
.LBB316_13:
	flat_store_dword v[2:3], v11
.LBB316_14:
	s_or_b32 exec_lo, exec_lo, s1
	v_add_nc_u32_e32 v2, 16, v0
	v_cmp_le_i32_e32 vcc_lo, v10, v2
	v_cmp_gt_i32_e64 s1, s12, v2
	v_ashrrev_i32_e32 v3, 31, v2
	s_and_b32 s2, vcc_lo, s1
	s_and_saveexec_b32 s5, s2
	s_cbranch_execz .LBB316_18
; %bb.15:
	v_lshlrev_b64 v[11:12], 2, v[2:3]
	v_cmp_ne_u32_e32 vcc_lo, 1, v8
	v_mul_f32_e32 v9, s14, v9
	v_add_co_u32 v4, s2, v4, v11
	v_add_co_ci_u32_e64 v5, null, v5, v12, s2
	s_cbranch_vccnz .LBB316_17
; %bb.16:
	flat_load_dword v11, v[4:5]
	s_waitcnt vmcnt(0) lgkmcnt(0)
	v_fmac_f32_e32 v9, s20, v11
.LBB316_17:
	flat_store_dword v[4:5], v9
.LBB316_18:
	s_or_b32 exec_lo, exec_lo, s5
	v_add_nc_u32_e32 v9, 16, v10
	v_mad_i64_i32 v[4:5], null, v9, s6, 0
	v_cmp_le_i32_e32 vcc_lo, v9, v0
	s_and_b32 s0, vcc_lo, s0
	v_lshlrev_b64 v[4:5], 2, v[4:5]
	v_add_co_u32 v4, s2, s4, v4
	v_add_co_ci_u32_e64 v5, null, s3, v5, s2
	s_and_saveexec_b32 s2, s0
	s_cbranch_execz .LBB316_22
; %bb.19:
	v_lshlrev_b64 v[0:1], 2, v[0:1]
	v_cmp_ne_u32_e32 vcc_lo, 1, v8
	v_mul_f32_e32 v7, s14, v7
	v_add_co_u32 v0, s0, v4, v0
	v_add_co_ci_u32_e64 v1, null, v5, v1, s0
	s_cbranch_vccnz .LBB316_21
; %bb.20:
	flat_load_dword v10, v[0:1]
	s_waitcnt vmcnt(0) lgkmcnt(0)
	v_fmac_f32_e32 v7, s20, v10
.LBB316_21:
	flat_store_dword v[0:1], v7
.LBB316_22:
	s_or_b32 exec_lo, exec_lo, s2
	v_cmp_le_i32_e32 vcc_lo, v9, v2
	s_and_b32 s0, vcc_lo, s1
	s_and_saveexec_b32 s1, s0
	s_cbranch_execz .LBB316_26
; %bb.23:
	v_lshlrev_b64 v[0:1], 2, v[2:3]
	v_cmp_ne_u32_e32 vcc_lo, 1, v8
	v_mul_f32_e32 v2, s14, v6
	v_add_co_u32 v0, s0, v4, v0
	v_add_co_ci_u32_e64 v1, null, v5, v1, s0
	s_cbranch_vccnz .LBB316_25
; %bb.24:
	flat_load_dword v3, v[0:1]
	s_waitcnt vmcnt(0) lgkmcnt(0)
	v_fmac_f32_e32 v2, s20, v3
.LBB316_25:
	flat_store_dword v[0:1], v2
.LBB316_26:
	s_endpgm
	.section	.rodata,"a",@progbits
	.p2align	6, 0x0
	.amdhsa_kernel _ZL29rocblas_internal_gemmt_kernelIiLi16ELi32ELi8ELc78ELc84ELc76ELb0ELb0EffPKPKfPKPfEviT_T9_T10_S7_lS9_S7_lS8_T11_S7_li
		.amdhsa_group_segment_fixed_size 2048
		.amdhsa_private_segment_fixed_size 0
		.amdhsa_kernarg_size 100
		.amdhsa_user_sgpr_count 6
		.amdhsa_user_sgpr_private_segment_buffer 1
		.amdhsa_user_sgpr_dispatch_ptr 0
		.amdhsa_user_sgpr_queue_ptr 0
		.amdhsa_user_sgpr_kernarg_segment_ptr 1
		.amdhsa_user_sgpr_dispatch_id 0
		.amdhsa_user_sgpr_flat_scratch_init 0
		.amdhsa_user_sgpr_private_segment_size 0
		.amdhsa_wavefront_size32 1
		.amdhsa_uses_dynamic_stack 0
		.amdhsa_system_sgpr_private_segment_wavefront_offset 0
		.amdhsa_system_sgpr_workgroup_id_x 1
		.amdhsa_system_sgpr_workgroup_id_y 1
		.amdhsa_system_sgpr_workgroup_id_z 1
		.amdhsa_system_sgpr_workgroup_info 0
		.amdhsa_system_vgpr_workitem_id 1
		.amdhsa_next_free_vgpr 42
		.amdhsa_next_free_sgpr 26
		.amdhsa_reserve_vcc 1
		.amdhsa_reserve_flat_scratch 0
		.amdhsa_float_round_mode_32 0
		.amdhsa_float_round_mode_16_64 0
		.amdhsa_float_denorm_mode_32 3
		.amdhsa_float_denorm_mode_16_64 3
		.amdhsa_dx10_clamp 1
		.amdhsa_ieee_mode 1
		.amdhsa_fp16_overflow 0
		.amdhsa_workgroup_processor_mode 1
		.amdhsa_memory_ordered 1
		.amdhsa_forward_progress 1
		.amdhsa_shared_vgpr_count 0
		.amdhsa_exception_fp_ieee_invalid_op 0
		.amdhsa_exception_fp_denorm_src 0
		.amdhsa_exception_fp_ieee_div_zero 0
		.amdhsa_exception_fp_ieee_overflow 0
		.amdhsa_exception_fp_ieee_underflow 0
		.amdhsa_exception_fp_ieee_inexact 0
		.amdhsa_exception_int_div_zero 0
	.end_amdhsa_kernel
	.section	.text._ZL29rocblas_internal_gemmt_kernelIiLi16ELi32ELi8ELc78ELc84ELc76ELb0ELb0EffPKPKfPKPfEviT_T9_T10_S7_lS9_S7_lS8_T11_S7_li,"axG",@progbits,_ZL29rocblas_internal_gemmt_kernelIiLi16ELi32ELi8ELc78ELc84ELc76ELb0ELb0EffPKPKfPKPfEviT_T9_T10_S7_lS9_S7_lS8_T11_S7_li,comdat
.Lfunc_end316:
	.size	_ZL29rocblas_internal_gemmt_kernelIiLi16ELi32ELi8ELc78ELc84ELc76ELb0ELb0EffPKPKfPKPfEviT_T9_T10_S7_lS9_S7_lS8_T11_S7_li, .Lfunc_end316-_ZL29rocblas_internal_gemmt_kernelIiLi16ELi32ELi8ELc78ELc84ELc76ELb0ELb0EffPKPKfPKPfEviT_T9_T10_S7_lS9_S7_lS8_T11_S7_li
                                        ; -- End function
	.set _ZL29rocblas_internal_gemmt_kernelIiLi16ELi32ELi8ELc78ELc84ELc76ELb0ELb0EffPKPKfPKPfEviT_T9_T10_S7_lS9_S7_lS8_T11_S7_li.num_vgpr, 42
	.set _ZL29rocblas_internal_gemmt_kernelIiLi16ELi32ELi8ELc78ELc84ELc76ELb0ELb0EffPKPKfPKPfEviT_T9_T10_S7_lS9_S7_lS8_T11_S7_li.num_agpr, 0
	.set _ZL29rocblas_internal_gemmt_kernelIiLi16ELi32ELi8ELc78ELc84ELc76ELb0ELb0EffPKPKfPKPfEviT_T9_T10_S7_lS9_S7_lS8_T11_S7_li.numbered_sgpr, 26
	.set _ZL29rocblas_internal_gemmt_kernelIiLi16ELi32ELi8ELc78ELc84ELc76ELb0ELb0EffPKPKfPKPfEviT_T9_T10_S7_lS9_S7_lS8_T11_S7_li.num_named_barrier, 0
	.set _ZL29rocblas_internal_gemmt_kernelIiLi16ELi32ELi8ELc78ELc84ELc76ELb0ELb0EffPKPKfPKPfEviT_T9_T10_S7_lS9_S7_lS8_T11_S7_li.private_seg_size, 0
	.set _ZL29rocblas_internal_gemmt_kernelIiLi16ELi32ELi8ELc78ELc84ELc76ELb0ELb0EffPKPKfPKPfEviT_T9_T10_S7_lS9_S7_lS8_T11_S7_li.uses_vcc, 1
	.set _ZL29rocblas_internal_gemmt_kernelIiLi16ELi32ELi8ELc78ELc84ELc76ELb0ELb0EffPKPKfPKPfEviT_T9_T10_S7_lS9_S7_lS8_T11_S7_li.uses_flat_scratch, 0
	.set _ZL29rocblas_internal_gemmt_kernelIiLi16ELi32ELi8ELc78ELc84ELc76ELb0ELb0EffPKPKfPKPfEviT_T9_T10_S7_lS9_S7_lS8_T11_S7_li.has_dyn_sized_stack, 0
	.set _ZL29rocblas_internal_gemmt_kernelIiLi16ELi32ELi8ELc78ELc84ELc76ELb0ELb0EffPKPKfPKPfEviT_T9_T10_S7_lS9_S7_lS8_T11_S7_li.has_recursion, 0
	.set _ZL29rocblas_internal_gemmt_kernelIiLi16ELi32ELi8ELc78ELc84ELc76ELb0ELb0EffPKPKfPKPfEviT_T9_T10_S7_lS9_S7_lS8_T11_S7_li.has_indirect_call, 0
	.section	.AMDGPU.csdata,"",@progbits
; Kernel info:
; codeLenInByte = 1436
; TotalNumSgprs: 28
; NumVgprs: 42
; ScratchSize: 0
; MemoryBound: 0
; FloatMode: 240
; IeeeMode: 1
; LDSByteSize: 2048 bytes/workgroup (compile time only)
; SGPRBlocks: 0
; VGPRBlocks: 5
; NumSGPRsForWavesPerEU: 28
; NumVGPRsForWavesPerEU: 42
; Occupancy: 16
; WaveLimiterHint : 1
; COMPUTE_PGM_RSRC2:SCRATCH_EN: 0
; COMPUTE_PGM_RSRC2:USER_SGPR: 6
; COMPUTE_PGM_RSRC2:TRAP_HANDLER: 0
; COMPUTE_PGM_RSRC2:TGID_X_EN: 1
; COMPUTE_PGM_RSRC2:TGID_Y_EN: 1
; COMPUTE_PGM_RSRC2:TGID_Z_EN: 1
; COMPUTE_PGM_RSRC2:TIDIG_COMP_CNT: 1
	.section	.text._ZL29rocblas_internal_gemmt_kernelIiLi16ELi32ELi8ELc78ELc67ELc76ELb0ELb0EffPKPKfPKPfEviT_T9_T10_S7_lS9_S7_lS8_T11_S7_li,"axG",@progbits,_ZL29rocblas_internal_gemmt_kernelIiLi16ELi32ELi8ELc78ELc67ELc76ELb0ELb0EffPKPKfPKPfEviT_T9_T10_S7_lS9_S7_lS8_T11_S7_li,comdat
	.globl	_ZL29rocblas_internal_gemmt_kernelIiLi16ELi32ELi8ELc78ELc67ELc76ELb0ELb0EffPKPKfPKPfEviT_T9_T10_S7_lS9_S7_lS8_T11_S7_li ; -- Begin function _ZL29rocblas_internal_gemmt_kernelIiLi16ELi32ELi8ELc78ELc67ELc76ELb0ELb0EffPKPKfPKPfEviT_T9_T10_S7_lS9_S7_lS8_T11_S7_li
	.p2align	8
	.type	_ZL29rocblas_internal_gemmt_kernelIiLi16ELi32ELi8ELc78ELc67ELc76ELb0ELb0EffPKPKfPKPfEviT_T9_T10_S7_lS9_S7_lS8_T11_S7_li,@function
_ZL29rocblas_internal_gemmt_kernelIiLi16ELi32ELi8ELc78ELc67ELc76ELb0ELb0EffPKPKfPKPfEviT_T9_T10_S7_lS9_S7_lS8_T11_S7_li: ; @_ZL29rocblas_internal_gemmt_kernelIiLi16ELi32ELi8ELc78ELc67ELc76ELb0ELb0EffPKPKfPKPfEviT_T9_T10_S7_lS9_S7_lS8_T11_S7_li
; %bb.0:
	s_clause 0x1
	s_load_dword s20, s[4:5], 0x40
	s_load_dwordx4 s[12:15], s[4:5], 0x0
	s_waitcnt lgkmcnt(0)
	v_cmp_neq_f32_e64 s0, s20, 1.0
	s_and_b32 vcc_lo, exec_lo, s0
	s_cbranch_vccnz .LBB317_2
; %bb.1:
	v_cmp_neq_f32_e64 s0, s14, 0
	s_cmp_lg_u32 s13, 0
	s_cselect_b32 s1, -1, 0
	s_and_b32 s0, s1, s0
.LBB317_2:
	s_andn2_b32 vcc_lo, exec_lo, s0
	s_cbranch_vccnz .LBB317_26
; %bb.3:
	s_load_dwordx2 s[2:3], s[4:5], 0x48
	s_mov_b32 s9, 0
	v_mov_b32_e32 v12, 0
	s_lshl_b64 s[0:1], s[8:9], 3
	v_mov_b32_e32 v9, 0
	v_mov_b32_e32 v7, 0
	;; [unrolled: 1-line block ×3, first 2 shown]
	s_waitcnt lgkmcnt(0)
	s_add_u32 s2, s2, s0
	s_addc_u32 s3, s3, s1
	s_lshl_b32 s8, s6, 5
	s_load_dwordx2 s[2:3], s[2:3], 0x0
	s_lshl_b32 s15, s7, 5
	v_cmp_eq_f32_e64 s6, s14, 0
	s_cmp_lt_i32 s13, 1
	s_cselect_b32 s7, -1, 0
	s_or_b32 s6, s6, s7
	s_and_b32 vcc_lo, exec_lo, s6
	s_cbranch_vccnz .LBB317_10
; %bb.4:
	s_clause 0x3
	s_load_dword s6, s[4:5], 0x18
	s_load_dword s10, s[4:5], 0x30
	s_load_dwordx4 s[16:19], s[4:5], 0x20
	s_load_dwordx2 s[22:23], s[4:5], 0x10
	v_lshl_add_u32 v2, v1, 4, v0
	v_and_b32_e32 v8, 7, v0
	s_load_dwordx2 s[24:25], s[4:5], 0x38
	v_lshlrev_b32_e32 v14, 2, v0
	v_lshl_add_u32 v15, v1, 5, 0x400
	v_and_b32_e32 v9, 31, v2
	v_lshrrev_b32_e32 v10, 5, v2
	v_lshrrev_b32_e32 v3, 3, v2
	v_lshlrev_b32_e32 v4, 2, v8
	v_or_b32_e32 v5, s8, v9
	v_lshlrev_b32_e32 v6, 2, v9
	v_add_nc_u32_e32 v2, s15, v3
	v_lshl_or_b32 v3, v3, 5, v4
	v_add_nc_u32_e32 v16, s8, v9
	v_cmp_gt_i32_e32 vcc_lo, s12, v5
	v_lshl_or_b32 v11, v10, 7, v6
	s_waitcnt lgkmcnt(0)
	v_mad_i64_i32 v[4:5], null, v10, s6, 0
	s_ashr_i32 s7, s6, 31
	s_ashr_i32 s11, s10, 31
	s_add_u32 s18, s18, s0
	s_addc_u32 s19, s19, s1
	s_add_u32 s0, s22, s0
	v_mad_i64_i32 v[6:7], null, s10, v8, 0
	s_addc_u32 s1, s23, s1
	s_load_dwordx2 s[18:19], s[18:19], 0x0
	s_load_dwordx2 s[22:23], s[0:1], 0x0
	v_lshlrev_b64 v[4:5], 2, v[4:5]
	v_ashrrev_i32_e32 v17, 31, v16
	s_lshl_b64 s[16:17], s[16:17], 2
	v_add_nc_u32_e32 v13, 0x400, v3
	v_ashrrev_i32_e32 v3, 31, v2
	v_lshlrev_b64 v[6:7], 2, v[6:7]
	v_add_co_u32 v9, s1, v4, s16
	v_add_co_ci_u32_e64 v12, null, s17, v5, s1
	v_lshlrev_b64 v[4:5], 2, v[16:17]
	s_lshl_b64 s[16:17], s[24:25], 2
	v_cmp_gt_i32_e64 s0, s12, v2
	v_lshlrev_b64 v[2:3], 2, v[2:3]
	v_add_co_u32 v6, s1, v6, s16
	v_add_co_ci_u32_e64 v7, null, s17, v7, s1
	v_add_co_u32 v4, s1, v9, v4
	v_add_co_ci_u32_e64 v5, null, v12, v5, s1
	;; [unrolled: 2-line block ×3, first 2 shown]
	s_waitcnt lgkmcnt(0)
	v_add_co_u32 v2, s1, s22, v4
	v_add_co_ci_u32_e64 v3, null, s23, v5, s1
	v_add_co_u32 v4, s1, s18, v6
	v_add_co_ci_u32_e64 v5, null, s19, v7, s1
	v_mov_b32_e32 v6, 0
	v_mov_b32_e32 v7, 0
	;; [unrolled: 1-line block ×4, first 2 shown]
	s_lshl_b64 s[6:7], s[6:7], 5
	s_lshl_b64 s[10:11], s[10:11], 5
	s_branch .LBB317_6
.LBB317_5:                              ;   in Loop: Header=BB317_6 Depth=1
	s_or_b32 exec_lo, exec_lo, s1
	s_waitcnt vmcnt(0) lgkmcnt(0)
	ds_write_b32 v13, v17
	s_waitcnt lgkmcnt(0)
	s_barrier
	buffer_gl0_inv
	ds_read_b128 v[16:19], v15
	ds_read2_b32 v[32:33], v14 offset1:16
	ds_read_b128 v[20:23], v15 offset:512
	ds_read2_b32 v[34:35], v14 offset0:32 offset1:48
	ds_read2_b32 v[36:37], v14 offset0:64 offset1:80
	;; [unrolled: 1-line block ×3, first 2 shown]
	ds_read_b128 v[24:27], v15 offset:16
	ds_read2_b32 v[40:41], v14 offset0:128 offset1:144
	ds_read_b128 v[28:31], v15 offset:528
	v_add_co_u32 v2, s1, v2, s6
	v_add_co_ci_u32_e64 v3, null, s7, v3, s1
	v_add_co_u32 v4, s1, v4, s10
	v_add_co_ci_u32_e64 v5, null, s11, v5, s1
	s_add_i32 s9, s9, 8
	s_cmp_lt_i32 s9, s13
	s_waitcnt lgkmcnt(7)
	v_fmac_f32_e32 v12, v32, v16
	v_fmac_f32_e32 v9, v33, v16
	s_waitcnt lgkmcnt(6)
	v_fmac_f32_e32 v7, v32, v20
	v_fmac_f32_e32 v6, v33, v20
	ds_read2_b32 v[32:33], v14 offset0:160 offset1:176
	s_waitcnt lgkmcnt(6)
	v_fmac_f32_e32 v12, v34, v17
	v_fmac_f32_e32 v9, v35, v17
	v_fmac_f32_e32 v7, v34, v21
	v_fmac_f32_e32 v6, v35, v21
	ds_read2_b32 v[16:17], v14 offset0:192 offset1:208
	s_waitcnt lgkmcnt(6)
	v_fmac_f32_e32 v12, v36, v18
	v_fmac_f32_e32 v9, v37, v18
	;; [unrolled: 6-line block ×3, first 2 shown]
	v_fmac_f32_e32 v7, v38, v23
	v_fmac_f32_e32 v6, v39, v23
	s_waitcnt lgkmcnt(0)
	v_fmac_f32_e32 v12, v40, v24
	v_fmac_f32_e32 v9, v41, v24
	;; [unrolled: 1-line block ×4, first 2 shown]
	s_barrier
	v_fmac_f32_e32 v12, v32, v25
	v_fmac_f32_e32 v9, v33, v25
	;; [unrolled: 1-line block ×4, first 2 shown]
	buffer_gl0_inv
	v_fmac_f32_e32 v12, v16, v26
	v_fmac_f32_e32 v9, v17, v26
	;; [unrolled: 1-line block ×8, first 2 shown]
	s_cbranch_scc0 .LBB317_10
.LBB317_6:                              ; =>This Inner Loop Header: Depth=1
	v_add_nc_u32_e32 v16, s9, v10
	v_cmp_gt_i32_e64 s1, s13, v16
	v_mov_b32_e32 v16, 0
	s_and_b32 s16, vcc_lo, s1
	s_and_saveexec_b32 s1, s16
	s_cbranch_execz .LBB317_8
; %bb.7:                                ;   in Loop: Header=BB317_6 Depth=1
	flat_load_dword v16, v[2:3]
.LBB317_8:                              ;   in Loop: Header=BB317_6 Depth=1
	s_or_b32 exec_lo, exec_lo, s1
	v_add_nc_u32_e32 v17, s9, v8
	s_waitcnt vmcnt(0) lgkmcnt(0)
	ds_write_b32 v11, v16
	v_cmp_gt_i32_e64 s1, s13, v17
	v_mov_b32_e32 v17, 0
	s_and_b32 s16, s1, s0
	s_and_saveexec_b32 s1, s16
	s_cbranch_execz .LBB317_5
; %bb.9:                                ;   in Loop: Header=BB317_6 Depth=1
	flat_load_dword v17, v[4:5]
	s_branch .LBB317_5
.LBB317_10:
	s_clause 0x1
	s_load_dword s6, s[4:5], 0x50
	s_load_dwordx2 s[4:5], s[4:5], 0x58
	v_add_nc_u32_e32 v10, s15, v1
	v_add_nc_u32_e32 v0, s8, v0
	v_cmp_le_i32_e32 vcc_lo, v10, v0
	v_cmp_gt_i32_e64 s0, s12, v0
	s_waitcnt lgkmcnt(0)
	v_mad_i64_i32 v[1:2], null, v10, s6, 0
	s_lshl_b64 s[4:5], s[4:5], 2
	s_add_u32 s4, s2, s4
	v_cmp_neq_f32_e64 s2, s20, 0
	s_addc_u32 s3, s3, s5
	s_and_b32 s5, vcc_lo, s0
	v_lshlrev_b64 v[2:3], 2, v[1:2]
	v_ashrrev_i32_e32 v1, 31, v0
	v_cndmask_b32_e64 v8, 0, 1, s2
	v_add_co_u32 v4, s1, s4, v2
	v_add_co_ci_u32_e64 v5, null, s3, v3, s1
	s_and_saveexec_b32 s1, s5
	s_cbranch_execz .LBB317_14
; %bb.11:
	v_lshlrev_b64 v[2:3], 2, v[0:1]
	v_mul_f32_e32 v11, s14, v12
	v_add_co_u32 v2, vcc_lo, v4, v2
	v_add_co_ci_u32_e64 v3, null, v5, v3, vcc_lo
	s_andn2_b32 vcc_lo, exec_lo, s2
	s_cbranch_vccnz .LBB317_13
; %bb.12:
	flat_load_dword v12, v[2:3]
	s_waitcnt vmcnt(0) lgkmcnt(0)
	v_fmac_f32_e32 v11, s20, v12
.LBB317_13:
	flat_store_dword v[2:3], v11
.LBB317_14:
	s_or_b32 exec_lo, exec_lo, s1
	v_add_nc_u32_e32 v2, 16, v0
	v_cmp_le_i32_e32 vcc_lo, v10, v2
	v_cmp_gt_i32_e64 s1, s12, v2
	v_ashrrev_i32_e32 v3, 31, v2
	s_and_b32 s2, vcc_lo, s1
	s_and_saveexec_b32 s5, s2
	s_cbranch_execz .LBB317_18
; %bb.15:
	v_lshlrev_b64 v[11:12], 2, v[2:3]
	v_cmp_ne_u32_e32 vcc_lo, 1, v8
	v_mul_f32_e32 v9, s14, v9
	v_add_co_u32 v4, s2, v4, v11
	v_add_co_ci_u32_e64 v5, null, v5, v12, s2
	s_cbranch_vccnz .LBB317_17
; %bb.16:
	flat_load_dword v11, v[4:5]
	s_waitcnt vmcnt(0) lgkmcnt(0)
	v_fmac_f32_e32 v9, s20, v11
.LBB317_17:
	flat_store_dword v[4:5], v9
.LBB317_18:
	s_or_b32 exec_lo, exec_lo, s5
	v_add_nc_u32_e32 v9, 16, v10
	v_mad_i64_i32 v[4:5], null, v9, s6, 0
	v_cmp_le_i32_e32 vcc_lo, v9, v0
	s_and_b32 s0, vcc_lo, s0
	v_lshlrev_b64 v[4:5], 2, v[4:5]
	v_add_co_u32 v4, s2, s4, v4
	v_add_co_ci_u32_e64 v5, null, s3, v5, s2
	s_and_saveexec_b32 s2, s0
	s_cbranch_execz .LBB317_22
; %bb.19:
	v_lshlrev_b64 v[0:1], 2, v[0:1]
	v_cmp_ne_u32_e32 vcc_lo, 1, v8
	v_mul_f32_e32 v7, s14, v7
	v_add_co_u32 v0, s0, v4, v0
	v_add_co_ci_u32_e64 v1, null, v5, v1, s0
	s_cbranch_vccnz .LBB317_21
; %bb.20:
	flat_load_dword v10, v[0:1]
	s_waitcnt vmcnt(0) lgkmcnt(0)
	v_fmac_f32_e32 v7, s20, v10
.LBB317_21:
	flat_store_dword v[0:1], v7
.LBB317_22:
	s_or_b32 exec_lo, exec_lo, s2
	v_cmp_le_i32_e32 vcc_lo, v9, v2
	s_and_b32 s0, vcc_lo, s1
	s_and_saveexec_b32 s1, s0
	s_cbranch_execz .LBB317_26
; %bb.23:
	v_lshlrev_b64 v[0:1], 2, v[2:3]
	v_cmp_ne_u32_e32 vcc_lo, 1, v8
	v_mul_f32_e32 v2, s14, v6
	v_add_co_u32 v0, s0, v4, v0
	v_add_co_ci_u32_e64 v1, null, v5, v1, s0
	s_cbranch_vccnz .LBB317_25
; %bb.24:
	flat_load_dword v3, v[0:1]
	s_waitcnt vmcnt(0) lgkmcnt(0)
	v_fmac_f32_e32 v2, s20, v3
.LBB317_25:
	flat_store_dword v[0:1], v2
.LBB317_26:
	s_endpgm
	.section	.rodata,"a",@progbits
	.p2align	6, 0x0
	.amdhsa_kernel _ZL29rocblas_internal_gemmt_kernelIiLi16ELi32ELi8ELc78ELc67ELc76ELb0ELb0EffPKPKfPKPfEviT_T9_T10_S7_lS9_S7_lS8_T11_S7_li
		.amdhsa_group_segment_fixed_size 2048
		.amdhsa_private_segment_fixed_size 0
		.amdhsa_kernarg_size 100
		.amdhsa_user_sgpr_count 6
		.amdhsa_user_sgpr_private_segment_buffer 1
		.amdhsa_user_sgpr_dispatch_ptr 0
		.amdhsa_user_sgpr_queue_ptr 0
		.amdhsa_user_sgpr_kernarg_segment_ptr 1
		.amdhsa_user_sgpr_dispatch_id 0
		.amdhsa_user_sgpr_flat_scratch_init 0
		.amdhsa_user_sgpr_private_segment_size 0
		.amdhsa_wavefront_size32 1
		.amdhsa_uses_dynamic_stack 0
		.amdhsa_system_sgpr_private_segment_wavefront_offset 0
		.amdhsa_system_sgpr_workgroup_id_x 1
		.amdhsa_system_sgpr_workgroup_id_y 1
		.amdhsa_system_sgpr_workgroup_id_z 1
		.amdhsa_system_sgpr_workgroup_info 0
		.amdhsa_system_vgpr_workitem_id 1
		.amdhsa_next_free_vgpr 42
		.amdhsa_next_free_sgpr 26
		.amdhsa_reserve_vcc 1
		.amdhsa_reserve_flat_scratch 0
		.amdhsa_float_round_mode_32 0
		.amdhsa_float_round_mode_16_64 0
		.amdhsa_float_denorm_mode_32 3
		.amdhsa_float_denorm_mode_16_64 3
		.amdhsa_dx10_clamp 1
		.amdhsa_ieee_mode 1
		.amdhsa_fp16_overflow 0
		.amdhsa_workgroup_processor_mode 1
		.amdhsa_memory_ordered 1
		.amdhsa_forward_progress 1
		.amdhsa_shared_vgpr_count 0
		.amdhsa_exception_fp_ieee_invalid_op 0
		.amdhsa_exception_fp_denorm_src 0
		.amdhsa_exception_fp_ieee_div_zero 0
		.amdhsa_exception_fp_ieee_overflow 0
		.amdhsa_exception_fp_ieee_underflow 0
		.amdhsa_exception_fp_ieee_inexact 0
		.amdhsa_exception_int_div_zero 0
	.end_amdhsa_kernel
	.section	.text._ZL29rocblas_internal_gemmt_kernelIiLi16ELi32ELi8ELc78ELc67ELc76ELb0ELb0EffPKPKfPKPfEviT_T9_T10_S7_lS9_S7_lS8_T11_S7_li,"axG",@progbits,_ZL29rocblas_internal_gemmt_kernelIiLi16ELi32ELi8ELc78ELc67ELc76ELb0ELb0EffPKPKfPKPfEviT_T9_T10_S7_lS9_S7_lS8_T11_S7_li,comdat
.Lfunc_end317:
	.size	_ZL29rocblas_internal_gemmt_kernelIiLi16ELi32ELi8ELc78ELc67ELc76ELb0ELb0EffPKPKfPKPfEviT_T9_T10_S7_lS9_S7_lS8_T11_S7_li, .Lfunc_end317-_ZL29rocblas_internal_gemmt_kernelIiLi16ELi32ELi8ELc78ELc67ELc76ELb0ELb0EffPKPKfPKPfEviT_T9_T10_S7_lS9_S7_lS8_T11_S7_li
                                        ; -- End function
	.set _ZL29rocblas_internal_gemmt_kernelIiLi16ELi32ELi8ELc78ELc67ELc76ELb0ELb0EffPKPKfPKPfEviT_T9_T10_S7_lS9_S7_lS8_T11_S7_li.num_vgpr, 42
	.set _ZL29rocblas_internal_gemmt_kernelIiLi16ELi32ELi8ELc78ELc67ELc76ELb0ELb0EffPKPKfPKPfEviT_T9_T10_S7_lS9_S7_lS8_T11_S7_li.num_agpr, 0
	.set _ZL29rocblas_internal_gemmt_kernelIiLi16ELi32ELi8ELc78ELc67ELc76ELb0ELb0EffPKPKfPKPfEviT_T9_T10_S7_lS9_S7_lS8_T11_S7_li.numbered_sgpr, 26
	.set _ZL29rocblas_internal_gemmt_kernelIiLi16ELi32ELi8ELc78ELc67ELc76ELb0ELb0EffPKPKfPKPfEviT_T9_T10_S7_lS9_S7_lS8_T11_S7_li.num_named_barrier, 0
	.set _ZL29rocblas_internal_gemmt_kernelIiLi16ELi32ELi8ELc78ELc67ELc76ELb0ELb0EffPKPKfPKPfEviT_T9_T10_S7_lS9_S7_lS8_T11_S7_li.private_seg_size, 0
	.set _ZL29rocblas_internal_gemmt_kernelIiLi16ELi32ELi8ELc78ELc67ELc76ELb0ELb0EffPKPKfPKPfEviT_T9_T10_S7_lS9_S7_lS8_T11_S7_li.uses_vcc, 1
	.set _ZL29rocblas_internal_gemmt_kernelIiLi16ELi32ELi8ELc78ELc67ELc76ELb0ELb0EffPKPKfPKPfEviT_T9_T10_S7_lS9_S7_lS8_T11_S7_li.uses_flat_scratch, 0
	.set _ZL29rocblas_internal_gemmt_kernelIiLi16ELi32ELi8ELc78ELc67ELc76ELb0ELb0EffPKPKfPKPfEviT_T9_T10_S7_lS9_S7_lS8_T11_S7_li.has_dyn_sized_stack, 0
	.set _ZL29rocblas_internal_gemmt_kernelIiLi16ELi32ELi8ELc78ELc67ELc76ELb0ELb0EffPKPKfPKPfEviT_T9_T10_S7_lS9_S7_lS8_T11_S7_li.has_recursion, 0
	.set _ZL29rocblas_internal_gemmt_kernelIiLi16ELi32ELi8ELc78ELc67ELc76ELb0ELb0EffPKPKfPKPfEviT_T9_T10_S7_lS9_S7_lS8_T11_S7_li.has_indirect_call, 0
	.section	.AMDGPU.csdata,"",@progbits
; Kernel info:
; codeLenInByte = 1436
; TotalNumSgprs: 28
; NumVgprs: 42
; ScratchSize: 0
; MemoryBound: 0
; FloatMode: 240
; IeeeMode: 1
; LDSByteSize: 2048 bytes/workgroup (compile time only)
; SGPRBlocks: 0
; VGPRBlocks: 5
; NumSGPRsForWavesPerEU: 28
; NumVGPRsForWavesPerEU: 42
; Occupancy: 16
; WaveLimiterHint : 1
; COMPUTE_PGM_RSRC2:SCRATCH_EN: 0
; COMPUTE_PGM_RSRC2:USER_SGPR: 6
; COMPUTE_PGM_RSRC2:TRAP_HANDLER: 0
; COMPUTE_PGM_RSRC2:TGID_X_EN: 1
; COMPUTE_PGM_RSRC2:TGID_Y_EN: 1
; COMPUTE_PGM_RSRC2:TGID_Z_EN: 1
; COMPUTE_PGM_RSRC2:TIDIG_COMP_CNT: 1
	.section	.text._ZL29rocblas_internal_gemmt_kernelIiLi16ELi32ELi8ELc84ELc78ELc76ELb0ELb0EffPKPKfPKPfEviT_T9_T10_S7_lS9_S7_lS8_T11_S7_li,"axG",@progbits,_ZL29rocblas_internal_gemmt_kernelIiLi16ELi32ELi8ELc84ELc78ELc76ELb0ELb0EffPKPKfPKPfEviT_T9_T10_S7_lS9_S7_lS8_T11_S7_li,comdat
	.globl	_ZL29rocblas_internal_gemmt_kernelIiLi16ELi32ELi8ELc84ELc78ELc76ELb0ELb0EffPKPKfPKPfEviT_T9_T10_S7_lS9_S7_lS8_T11_S7_li ; -- Begin function _ZL29rocblas_internal_gemmt_kernelIiLi16ELi32ELi8ELc84ELc78ELc76ELb0ELb0EffPKPKfPKPfEviT_T9_T10_S7_lS9_S7_lS8_T11_S7_li
	.p2align	8
	.type	_ZL29rocblas_internal_gemmt_kernelIiLi16ELi32ELi8ELc84ELc78ELc76ELb0ELb0EffPKPKfPKPfEviT_T9_T10_S7_lS9_S7_lS8_T11_S7_li,@function
_ZL29rocblas_internal_gemmt_kernelIiLi16ELi32ELi8ELc84ELc78ELc76ELb0ELb0EffPKPKfPKPfEviT_T9_T10_S7_lS9_S7_lS8_T11_S7_li: ; @_ZL29rocblas_internal_gemmt_kernelIiLi16ELi32ELi8ELc84ELc78ELc76ELb0ELb0EffPKPKfPKPfEviT_T9_T10_S7_lS9_S7_lS8_T11_S7_li
; %bb.0:
	s_clause 0x1
	s_load_dword s10, s[4:5], 0x40
	s_load_dwordx4 s[12:15], s[4:5], 0x0
	s_waitcnt lgkmcnt(0)
	v_cmp_neq_f32_e64 s0, s10, 1.0
	s_and_b32 vcc_lo, exec_lo, s0
	s_cbranch_vccnz .LBB318_2
; %bb.1:
	v_cmp_neq_f32_e64 s0, s14, 0
	s_cmp_lg_u32 s13, 0
	s_cselect_b32 s1, -1, 0
	s_and_b32 s0, s1, s0
.LBB318_2:
	s_andn2_b32 vcc_lo, exec_lo, s0
	s_cbranch_vccnz .LBB318_26
; %bb.3:
	s_load_dwordx2 s[2:3], s[4:5], 0x48
	s_mov_b32 s9, 0
	v_mov_b32_e32 v11, 0
	s_lshl_b64 s[0:1], s[8:9], 3
	v_cmp_eq_f32_e64 s8, s14, 0
	v_mov_b32_e32 v8, 0
	v_mov_b32_e32 v7, 0
	;; [unrolled: 1-line block ×3, first 2 shown]
	s_waitcnt lgkmcnt(0)
	s_add_u32 s2, s2, s0
	s_addc_u32 s3, s3, s1
	s_lshl_b32 s6, s6, 5
	s_load_dwordx2 s[2:3], s[2:3], 0x0
	s_lshl_b32 s7, s7, 5
	s_cmp_lt_i32 s13, 1
	s_cselect_b32 s11, -1, 0
	s_or_b32 s8, s8, s11
	s_and_b32 vcc_lo, exec_lo, s8
	s_cbranch_vccnz .LBB318_10
; %bb.4:
	s_clause 0x4
	s_load_dwordx4 s[16:19], s[4:5], 0x20
	s_load_dword s8, s[4:5], 0x18
	s_load_dwordx2 s[20:21], s[4:5], 0x10
	s_load_dword s11, s[4:5], 0x30
	s_load_dwordx2 s[22:23], s[4:5], 0x38
	v_lshl_add_u32 v2, v1, 4, v0
	v_and_b32_e32 v9, 7, v0
	v_lshlrev_b32_e32 v14, 2, v0
	v_lshl_add_u32 v15, v1, 5, 0x400
	v_and_b32_e32 v3, 31, v2
	v_lshrrev_b32_e32 v4, 3, v2
	v_lshrrev_b32_e32 v10, 5, v2
	v_lshlrev_b32_e32 v7, 2, v9
	v_or_b32_e32 v2, s6, v3
	v_lshlrev_b32_e32 v8, 2, v3
	v_add_nc_u32_e32 v3, s6, v3
	v_add_nc_u32_e32 v6, s7, v4
	v_lshl_or_b32 v11, v4, 5, v7
	v_cmp_gt_i32_e32 vcc_lo, s12, v2
	s_waitcnt lgkmcnt(0)
	s_add_u32 s18, s18, s0
	v_mad_i64_i32 v[2:3], null, s8, v3, 0
	s_addc_u32 s19, s19, s1
	s_add_u32 s0, s20, s0
	v_mad_i64_i32 v[4:5], null, s11, v6, 0
	s_addc_u32 s1, s21, s1
	s_load_dwordx2 s[18:19], s[18:19], 0x0
	s_load_dwordx2 s[20:21], s[0:1], 0x0
	v_lshlrev_b64 v[2:3], 2, v[2:3]
	s_lshl_b64 s[16:17], s[16:17], 2
	v_lshl_or_b32 v12, v10, 7, v8
	v_lshlrev_b32_e32 v8, 2, v10
	v_lshlrev_b64 v[4:5], 2, v[4:5]
	v_cmp_gt_i32_e64 s0, s12, v6
	v_add_co_u32 v2, s1, v2, s16
	v_add_co_ci_u32_e64 v3, null, s17, v3, s1
	s_lshl_b64 s[16:17], s[22:23], 2
	v_add_nc_u32_e32 v13, 0x400, v11
	v_add_co_u32 v4, s1, v4, s16
	v_add_co_ci_u32_e64 v5, null, s17, v5, s1
	v_add_co_u32 v2, s1, v2, v8
	v_add_co_ci_u32_e64 v3, null, 0, v3, s1
	;; [unrolled: 2-line block ×3, first 2 shown]
	s_waitcnt lgkmcnt(0)
	v_add_co_u32 v2, s1, s20, v2
	v_add_co_ci_u32_e64 v3, null, s21, v3, s1
	v_add_co_u32 v4, s1, s18, v4
	v_mov_b32_e32 v6, 0
	v_add_co_ci_u32_e64 v5, null, s19, v5, s1
	v_mov_b32_e32 v7, 0
	v_mov_b32_e32 v8, 0
	;; [unrolled: 1-line block ×3, first 2 shown]
	s_branch .LBB318_6
.LBB318_5:                              ;   in Loop: Header=BB318_6 Depth=1
	s_or_b32 exec_lo, exec_lo, s1
	s_waitcnt vmcnt(0) lgkmcnt(0)
	ds_write_b32 v13, v17
	s_waitcnt lgkmcnt(0)
	s_barrier
	buffer_gl0_inv
	ds_read_b128 v[16:19], v15
	ds_read2_b32 v[32:33], v14 offset1:16
	ds_read_b128 v[20:23], v15 offset:512
	ds_read2_b32 v[34:35], v14 offset0:32 offset1:48
	ds_read2_b32 v[36:37], v14 offset0:64 offset1:80
	;; [unrolled: 1-line block ×3, first 2 shown]
	ds_read_b128 v[24:27], v15 offset:16
	ds_read2_b32 v[40:41], v14 offset0:128 offset1:144
	ds_read_b128 v[28:31], v15 offset:528
	v_add_co_u32 v2, s1, v2, 32
	v_add_co_ci_u32_e64 v3, null, 0, v3, s1
	v_add_co_u32 v4, s1, v4, 32
	v_add_co_ci_u32_e64 v5, null, 0, v5, s1
	s_add_i32 s9, s9, 8
	s_cmp_lt_i32 s9, s13
	s_waitcnt lgkmcnt(7)
	v_fmac_f32_e32 v11, v32, v16
	v_fmac_f32_e32 v8, v33, v16
	s_waitcnt lgkmcnt(6)
	v_fmac_f32_e32 v7, v32, v20
	v_fmac_f32_e32 v6, v33, v20
	ds_read2_b32 v[32:33], v14 offset0:160 offset1:176
	s_waitcnt lgkmcnt(6)
	v_fmac_f32_e32 v11, v34, v17
	v_fmac_f32_e32 v8, v35, v17
	v_fmac_f32_e32 v7, v34, v21
	v_fmac_f32_e32 v6, v35, v21
	ds_read2_b32 v[16:17], v14 offset0:192 offset1:208
	s_waitcnt lgkmcnt(6)
	v_fmac_f32_e32 v11, v36, v18
	v_fmac_f32_e32 v8, v37, v18
	;; [unrolled: 6-line block ×3, first 2 shown]
	v_fmac_f32_e32 v7, v38, v23
	v_fmac_f32_e32 v6, v39, v23
	s_waitcnt lgkmcnt(0)
	v_fmac_f32_e32 v11, v40, v24
	v_fmac_f32_e32 v8, v41, v24
	;; [unrolled: 1-line block ×4, first 2 shown]
	s_barrier
	v_fmac_f32_e32 v11, v32, v25
	v_fmac_f32_e32 v8, v33, v25
	;; [unrolled: 1-line block ×4, first 2 shown]
	buffer_gl0_inv
	v_fmac_f32_e32 v11, v16, v26
	v_fmac_f32_e32 v8, v17, v26
	;; [unrolled: 1-line block ×8, first 2 shown]
	s_cbranch_scc0 .LBB318_10
.LBB318_6:                              ; =>This Inner Loop Header: Depth=1
	v_add_nc_u32_e32 v16, s9, v10
	v_cmp_gt_i32_e64 s1, s13, v16
	v_mov_b32_e32 v16, 0
	s_and_b32 s8, vcc_lo, s1
	s_and_saveexec_b32 s1, s8
	s_cbranch_execz .LBB318_8
; %bb.7:                                ;   in Loop: Header=BB318_6 Depth=1
	flat_load_dword v16, v[2:3]
.LBB318_8:                              ;   in Loop: Header=BB318_6 Depth=1
	s_or_b32 exec_lo, exec_lo, s1
	v_add_nc_u32_e32 v17, s9, v9
	s_waitcnt vmcnt(0) lgkmcnt(0)
	ds_write_b32 v12, v16
	v_cmp_gt_i32_e64 s1, s13, v17
	v_mov_b32_e32 v17, 0
	s_and_b32 s8, s1, s0
	s_and_saveexec_b32 s1, s8
	s_cbranch_execz .LBB318_5
; %bb.9:                                ;   in Loop: Header=BB318_6 Depth=1
	flat_load_dword v17, v[4:5]
	s_branch .LBB318_5
.LBB318_10:
	s_clause 0x1
	s_load_dword s8, s[4:5], 0x50
	s_load_dwordx2 s[4:5], s[4:5], 0x58
	v_add_nc_u32_e32 v10, s7, v1
	v_add_nc_u32_e32 v0, s6, v0
	v_cmp_le_i32_e32 vcc_lo, v10, v0
	v_cmp_gt_i32_e64 s0, s12, v0
	s_waitcnt lgkmcnt(0)
	v_mad_i64_i32 v[1:2], null, v10, s8, 0
	s_lshl_b64 s[4:5], s[4:5], 2
	s_add_u32 s4, s2, s4
	v_cmp_neq_f32_e64 s2, s10, 0
	s_addc_u32 s3, s3, s5
	s_and_b32 s5, vcc_lo, s0
	v_lshlrev_b64 v[2:3], 2, v[1:2]
	v_ashrrev_i32_e32 v1, 31, v0
	v_cndmask_b32_e64 v9, 0, 1, s2
	v_add_co_u32 v4, s1, s4, v2
	v_add_co_ci_u32_e64 v5, null, s3, v3, s1
	s_and_saveexec_b32 s1, s5
	s_cbranch_execz .LBB318_14
; %bb.11:
	v_lshlrev_b64 v[2:3], 2, v[0:1]
	v_mul_f32_e32 v11, s14, v11
	v_add_co_u32 v2, vcc_lo, v4, v2
	v_add_co_ci_u32_e64 v3, null, v5, v3, vcc_lo
	s_andn2_b32 vcc_lo, exec_lo, s2
	s_cbranch_vccnz .LBB318_13
; %bb.12:
	flat_load_dword v12, v[2:3]
	s_waitcnt vmcnt(0) lgkmcnt(0)
	v_fmac_f32_e32 v11, s10, v12
.LBB318_13:
	flat_store_dword v[2:3], v11
.LBB318_14:
	s_or_b32 exec_lo, exec_lo, s1
	v_add_nc_u32_e32 v2, 16, v0
	v_cmp_le_i32_e32 vcc_lo, v10, v2
	v_cmp_gt_i32_e64 s1, s12, v2
	v_ashrrev_i32_e32 v3, 31, v2
	s_and_b32 s2, vcc_lo, s1
	s_and_saveexec_b32 s5, s2
	s_cbranch_execz .LBB318_18
; %bb.15:
	v_lshlrev_b64 v[11:12], 2, v[2:3]
	v_cmp_ne_u32_e32 vcc_lo, 1, v9
	v_mul_f32_e32 v8, s14, v8
	v_add_co_u32 v4, s2, v4, v11
	v_add_co_ci_u32_e64 v5, null, v5, v12, s2
	s_cbranch_vccnz .LBB318_17
; %bb.16:
	flat_load_dword v11, v[4:5]
	s_waitcnt vmcnt(0) lgkmcnt(0)
	v_fmac_f32_e32 v8, s10, v11
.LBB318_17:
	flat_store_dword v[4:5], v8
.LBB318_18:
	s_or_b32 exec_lo, exec_lo, s5
	v_add_nc_u32_e32 v8, 16, v10
	v_mad_i64_i32 v[4:5], null, v8, s8, 0
	v_cmp_le_i32_e32 vcc_lo, v8, v0
	s_and_b32 s0, vcc_lo, s0
	v_lshlrev_b64 v[4:5], 2, v[4:5]
	v_add_co_u32 v4, s2, s4, v4
	v_add_co_ci_u32_e64 v5, null, s3, v5, s2
	s_and_saveexec_b32 s2, s0
	s_cbranch_execz .LBB318_22
; %bb.19:
	v_lshlrev_b64 v[0:1], 2, v[0:1]
	v_cmp_ne_u32_e32 vcc_lo, 1, v9
	v_mul_f32_e32 v7, s14, v7
	v_add_co_u32 v0, s0, v4, v0
	v_add_co_ci_u32_e64 v1, null, v5, v1, s0
	s_cbranch_vccnz .LBB318_21
; %bb.20:
	flat_load_dword v10, v[0:1]
	s_waitcnt vmcnt(0) lgkmcnt(0)
	v_fmac_f32_e32 v7, s10, v10
.LBB318_21:
	flat_store_dword v[0:1], v7
.LBB318_22:
	s_or_b32 exec_lo, exec_lo, s2
	v_cmp_le_i32_e32 vcc_lo, v8, v2
	s_and_b32 s0, vcc_lo, s1
	s_and_saveexec_b32 s1, s0
	s_cbranch_execz .LBB318_26
; %bb.23:
	v_lshlrev_b64 v[0:1], 2, v[2:3]
	v_cmp_ne_u32_e32 vcc_lo, 1, v9
	v_mul_f32_e32 v2, s14, v6
	v_add_co_u32 v0, s0, v4, v0
	v_add_co_ci_u32_e64 v1, null, v5, v1, s0
	s_cbranch_vccnz .LBB318_25
; %bb.24:
	flat_load_dword v3, v[0:1]
	s_waitcnt vmcnt(0) lgkmcnt(0)
	v_fmac_f32_e32 v2, s10, v3
.LBB318_25:
	flat_store_dword v[0:1], v2
.LBB318_26:
	s_endpgm
	.section	.rodata,"a",@progbits
	.p2align	6, 0x0
	.amdhsa_kernel _ZL29rocblas_internal_gemmt_kernelIiLi16ELi32ELi8ELc84ELc78ELc76ELb0ELb0EffPKPKfPKPfEviT_T9_T10_S7_lS9_S7_lS8_T11_S7_li
		.amdhsa_group_segment_fixed_size 2048
		.amdhsa_private_segment_fixed_size 0
		.amdhsa_kernarg_size 100
		.amdhsa_user_sgpr_count 6
		.amdhsa_user_sgpr_private_segment_buffer 1
		.amdhsa_user_sgpr_dispatch_ptr 0
		.amdhsa_user_sgpr_queue_ptr 0
		.amdhsa_user_sgpr_kernarg_segment_ptr 1
		.amdhsa_user_sgpr_dispatch_id 0
		.amdhsa_user_sgpr_flat_scratch_init 0
		.amdhsa_user_sgpr_private_segment_size 0
		.amdhsa_wavefront_size32 1
		.amdhsa_uses_dynamic_stack 0
		.amdhsa_system_sgpr_private_segment_wavefront_offset 0
		.amdhsa_system_sgpr_workgroup_id_x 1
		.amdhsa_system_sgpr_workgroup_id_y 1
		.amdhsa_system_sgpr_workgroup_id_z 1
		.amdhsa_system_sgpr_workgroup_info 0
		.amdhsa_system_vgpr_workitem_id 1
		.amdhsa_next_free_vgpr 42
		.amdhsa_next_free_sgpr 24
		.amdhsa_reserve_vcc 1
		.amdhsa_reserve_flat_scratch 0
		.amdhsa_float_round_mode_32 0
		.amdhsa_float_round_mode_16_64 0
		.amdhsa_float_denorm_mode_32 3
		.amdhsa_float_denorm_mode_16_64 3
		.amdhsa_dx10_clamp 1
		.amdhsa_ieee_mode 1
		.amdhsa_fp16_overflow 0
		.amdhsa_workgroup_processor_mode 1
		.amdhsa_memory_ordered 1
		.amdhsa_forward_progress 1
		.amdhsa_shared_vgpr_count 0
		.amdhsa_exception_fp_ieee_invalid_op 0
		.amdhsa_exception_fp_denorm_src 0
		.amdhsa_exception_fp_ieee_div_zero 0
		.amdhsa_exception_fp_ieee_overflow 0
		.amdhsa_exception_fp_ieee_underflow 0
		.amdhsa_exception_fp_ieee_inexact 0
		.amdhsa_exception_int_div_zero 0
	.end_amdhsa_kernel
	.section	.text._ZL29rocblas_internal_gemmt_kernelIiLi16ELi32ELi8ELc84ELc78ELc76ELb0ELb0EffPKPKfPKPfEviT_T9_T10_S7_lS9_S7_lS8_T11_S7_li,"axG",@progbits,_ZL29rocblas_internal_gemmt_kernelIiLi16ELi32ELi8ELc84ELc78ELc76ELb0ELb0EffPKPKfPKPfEviT_T9_T10_S7_lS9_S7_lS8_T11_S7_li,comdat
.Lfunc_end318:
	.size	_ZL29rocblas_internal_gemmt_kernelIiLi16ELi32ELi8ELc84ELc78ELc76ELb0ELb0EffPKPKfPKPfEviT_T9_T10_S7_lS9_S7_lS8_T11_S7_li, .Lfunc_end318-_ZL29rocblas_internal_gemmt_kernelIiLi16ELi32ELi8ELc84ELc78ELc76ELb0ELb0EffPKPKfPKPfEviT_T9_T10_S7_lS9_S7_lS8_T11_S7_li
                                        ; -- End function
	.set _ZL29rocblas_internal_gemmt_kernelIiLi16ELi32ELi8ELc84ELc78ELc76ELb0ELb0EffPKPKfPKPfEviT_T9_T10_S7_lS9_S7_lS8_T11_S7_li.num_vgpr, 42
	.set _ZL29rocblas_internal_gemmt_kernelIiLi16ELi32ELi8ELc84ELc78ELc76ELb0ELb0EffPKPKfPKPfEviT_T9_T10_S7_lS9_S7_lS8_T11_S7_li.num_agpr, 0
	.set _ZL29rocblas_internal_gemmt_kernelIiLi16ELi32ELi8ELc84ELc78ELc76ELb0ELb0EffPKPKfPKPfEviT_T9_T10_S7_lS9_S7_lS8_T11_S7_li.numbered_sgpr, 24
	.set _ZL29rocblas_internal_gemmt_kernelIiLi16ELi32ELi8ELc84ELc78ELc76ELb0ELb0EffPKPKfPKPfEviT_T9_T10_S7_lS9_S7_lS8_T11_S7_li.num_named_barrier, 0
	.set _ZL29rocblas_internal_gemmt_kernelIiLi16ELi32ELi8ELc84ELc78ELc76ELb0ELb0EffPKPKfPKPfEviT_T9_T10_S7_lS9_S7_lS8_T11_S7_li.private_seg_size, 0
	.set _ZL29rocblas_internal_gemmt_kernelIiLi16ELi32ELi8ELc84ELc78ELc76ELb0ELb0EffPKPKfPKPfEviT_T9_T10_S7_lS9_S7_lS8_T11_S7_li.uses_vcc, 1
	.set _ZL29rocblas_internal_gemmt_kernelIiLi16ELi32ELi8ELc84ELc78ELc76ELb0ELb0EffPKPKfPKPfEviT_T9_T10_S7_lS9_S7_lS8_T11_S7_li.uses_flat_scratch, 0
	.set _ZL29rocblas_internal_gemmt_kernelIiLi16ELi32ELi8ELc84ELc78ELc76ELb0ELb0EffPKPKfPKPfEviT_T9_T10_S7_lS9_S7_lS8_T11_S7_li.has_dyn_sized_stack, 0
	.set _ZL29rocblas_internal_gemmt_kernelIiLi16ELi32ELi8ELc84ELc78ELc76ELb0ELb0EffPKPKfPKPfEviT_T9_T10_S7_lS9_S7_lS8_T11_S7_li.has_recursion, 0
	.set _ZL29rocblas_internal_gemmt_kernelIiLi16ELi32ELi8ELc84ELc78ELc76ELb0ELb0EffPKPKfPKPfEviT_T9_T10_S7_lS9_S7_lS8_T11_S7_li.has_indirect_call, 0
	.section	.AMDGPU.csdata,"",@progbits
; Kernel info:
; codeLenInByte = 1400
; TotalNumSgprs: 26
; NumVgprs: 42
; ScratchSize: 0
; MemoryBound: 0
; FloatMode: 240
; IeeeMode: 1
; LDSByteSize: 2048 bytes/workgroup (compile time only)
; SGPRBlocks: 0
; VGPRBlocks: 5
; NumSGPRsForWavesPerEU: 26
; NumVGPRsForWavesPerEU: 42
; Occupancy: 16
; WaveLimiterHint : 1
; COMPUTE_PGM_RSRC2:SCRATCH_EN: 0
; COMPUTE_PGM_RSRC2:USER_SGPR: 6
; COMPUTE_PGM_RSRC2:TRAP_HANDLER: 0
; COMPUTE_PGM_RSRC2:TGID_X_EN: 1
; COMPUTE_PGM_RSRC2:TGID_Y_EN: 1
; COMPUTE_PGM_RSRC2:TGID_Z_EN: 1
; COMPUTE_PGM_RSRC2:TIDIG_COMP_CNT: 1
	.section	.text._ZL29rocblas_internal_gemmt_kernelIiLi16ELi32ELi8ELc84ELc84ELc76ELb0ELb0EffPKPKfPKPfEviT_T9_T10_S7_lS9_S7_lS8_T11_S7_li,"axG",@progbits,_ZL29rocblas_internal_gemmt_kernelIiLi16ELi32ELi8ELc84ELc84ELc76ELb0ELb0EffPKPKfPKPfEviT_T9_T10_S7_lS9_S7_lS8_T11_S7_li,comdat
	.globl	_ZL29rocblas_internal_gemmt_kernelIiLi16ELi32ELi8ELc84ELc84ELc76ELb0ELb0EffPKPKfPKPfEviT_T9_T10_S7_lS9_S7_lS8_T11_S7_li ; -- Begin function _ZL29rocblas_internal_gemmt_kernelIiLi16ELi32ELi8ELc84ELc84ELc76ELb0ELb0EffPKPKfPKPfEviT_T9_T10_S7_lS9_S7_lS8_T11_S7_li
	.p2align	8
	.type	_ZL29rocblas_internal_gemmt_kernelIiLi16ELi32ELi8ELc84ELc84ELc76ELb0ELb0EffPKPKfPKPfEviT_T9_T10_S7_lS9_S7_lS8_T11_S7_li,@function
_ZL29rocblas_internal_gemmt_kernelIiLi16ELi32ELi8ELc84ELc84ELc76ELb0ELb0EffPKPKfPKPfEviT_T9_T10_S7_lS9_S7_lS8_T11_S7_li: ; @_ZL29rocblas_internal_gemmt_kernelIiLi16ELi32ELi8ELc84ELc84ELc76ELb0ELb0EffPKPKfPKPfEviT_T9_T10_S7_lS9_S7_lS8_T11_S7_li
; %bb.0:
	s_clause 0x1
	s_load_dword s10, s[4:5], 0x40
	s_load_dwordx4 s[12:15], s[4:5], 0x0
	s_waitcnt lgkmcnt(0)
	v_cmp_neq_f32_e64 s0, s10, 1.0
	s_and_b32 vcc_lo, exec_lo, s0
	s_cbranch_vccnz .LBB319_2
; %bb.1:
	v_cmp_neq_f32_e64 s0, s14, 0
	s_cmp_lg_u32 s13, 0
	s_cselect_b32 s1, -1, 0
	s_and_b32 s0, s1, s0
.LBB319_2:
	s_andn2_b32 vcc_lo, exec_lo, s0
	s_cbranch_vccnz .LBB319_26
; %bb.3:
	s_load_dwordx2 s[2:3], s[4:5], 0x48
	s_mov_b32 s9, 0
	v_mov_b32_e32 v11, 0
	s_lshl_b64 s[0:1], s[8:9], 3
	v_mov_b32_e32 v8, 0
	v_mov_b32_e32 v7, 0
	;; [unrolled: 1-line block ×3, first 2 shown]
	s_waitcnt lgkmcnt(0)
	s_add_u32 s2, s2, s0
	s_addc_u32 s3, s3, s1
	s_lshl_b32 s8, s6, 5
	s_load_dwordx2 s[2:3], s[2:3], 0x0
	s_lshl_b32 s11, s7, 5
	v_cmp_eq_f32_e64 s6, s14, 0
	s_cmp_lt_i32 s13, 1
	s_cselect_b32 s7, -1, 0
	s_or_b32 s6, s6, s7
	s_and_b32 vcc_lo, exec_lo, s6
	s_cbranch_vccnz .LBB319_10
; %bb.4:
	s_clause 0x4
	s_load_dword s6, s[4:5], 0x30
	s_load_dwordx4 s[16:19], s[4:5], 0x20
	s_load_dword s15, s[4:5], 0x18
	s_load_dwordx2 s[20:21], s[4:5], 0x10
	s_load_dwordx2 s[22:23], s[4:5], 0x38
	v_lshl_add_u32 v2, v1, 4, v0
	v_and_b32_e32 v9, 7, v0
	v_lshlrev_b32_e32 v14, 2, v0
	v_lshl_add_u32 v15, v1, 5, 0x400
	v_and_b32_e32 v3, 31, v2
	v_lshrrev_b32_e32 v4, 3, v2
	v_lshlrev_b32_e32 v5, 2, v9
	v_lshrrev_b32_e32 v10, 5, v2
	v_or_b32_e32 v6, s8, v3
	v_lshlrev_b32_e32 v7, 2, v3
	v_add_nc_u32_e32 v3, s8, v3
	v_add_nc_u32_e32 v2, s11, v4
	v_lshl_or_b32 v8, v4, 5, v5
	s_waitcnt lgkmcnt(0)
	s_ashr_i32 s7, s6, 31
	s_add_u32 s18, s18, s0
	v_mad_i64_i32 v[4:5], null, s15, v3, 0
	s_addc_u32 s19, s19, s1
	v_cmp_gt_i32_e32 vcc_lo, s12, v6
	v_lshl_or_b32 v12, v10, 7, v7
	s_add_u32 s0, s20, s0
	v_mad_i64_i32 v[6:7], null, s6, v9, 0
	s_addc_u32 s1, s21, s1
	s_load_dwordx2 s[18:19], s[18:19], 0x0
	s_load_dwordx2 s[20:21], s[0:1], 0x0
	v_lshlrev_b64 v[4:5], 2, v[4:5]
	v_add_nc_u32_e32 v13, 0x400, v8
	v_ashrrev_i32_e32 v3, 31, v2
	s_lshl_b64 s[16:17], s[16:17], 2
	v_lshlrev_b64 v[7:8], 2, v[6:7]
	v_lshlrev_b32_e32 v11, 2, v10
	v_add_co_u32 v4, s1, v4, s16
	v_add_co_ci_u32_e64 v5, null, s17, v5, s1
	s_lshl_b64 s[16:17], s[22:23], 2
	v_cmp_gt_i32_e64 s0, s12, v2
	v_lshlrev_b64 v[2:3], 2, v[2:3]
	v_add_co_u32 v7, s1, v7, s16
	v_add_co_ci_u32_e64 v8, null, s17, v8, s1
	v_add_co_u32 v4, s1, v4, v11
	v_add_co_ci_u32_e64 v5, null, 0, v5, s1
	;; [unrolled: 2-line block ×3, first 2 shown]
	s_waitcnt lgkmcnt(0)
	v_add_co_u32 v2, s1, s20, v4
	v_add_co_ci_u32_e64 v3, null, s21, v5, s1
	v_add_co_u32 v4, s1, s18, v7
	v_mov_b32_e32 v6, 0
	v_add_co_ci_u32_e64 v5, null, s19, v8, s1
	v_mov_b32_e32 v7, 0
	v_mov_b32_e32 v8, 0
	;; [unrolled: 1-line block ×3, first 2 shown]
	s_lshl_b64 s[6:7], s[6:7], 5
	s_branch .LBB319_6
.LBB319_5:                              ;   in Loop: Header=BB319_6 Depth=1
	s_or_b32 exec_lo, exec_lo, s1
	s_waitcnt vmcnt(0) lgkmcnt(0)
	ds_write_b32 v13, v17
	s_waitcnt lgkmcnt(0)
	s_barrier
	buffer_gl0_inv
	ds_read_b128 v[16:19], v15
	ds_read2_b32 v[32:33], v14 offset1:16
	ds_read_b128 v[20:23], v15 offset:512
	ds_read2_b32 v[34:35], v14 offset0:32 offset1:48
	ds_read2_b32 v[36:37], v14 offset0:64 offset1:80
	ds_read2_b32 v[38:39], v14 offset0:96 offset1:112
	ds_read_b128 v[24:27], v15 offset:16
	ds_read2_b32 v[40:41], v14 offset0:128 offset1:144
	ds_read_b128 v[28:31], v15 offset:528
	v_add_co_u32 v2, s1, v2, 32
	v_add_co_ci_u32_e64 v3, null, 0, v3, s1
	v_add_co_u32 v4, s1, v4, s6
	v_add_co_ci_u32_e64 v5, null, s7, v5, s1
	s_add_i32 s9, s9, 8
	s_cmp_lt_i32 s9, s13
	s_waitcnt lgkmcnt(7)
	v_fmac_f32_e32 v11, v32, v16
	v_fmac_f32_e32 v8, v33, v16
	s_waitcnt lgkmcnt(6)
	v_fmac_f32_e32 v7, v32, v20
	v_fmac_f32_e32 v6, v33, v20
	ds_read2_b32 v[32:33], v14 offset0:160 offset1:176
	s_waitcnt lgkmcnt(6)
	v_fmac_f32_e32 v11, v34, v17
	v_fmac_f32_e32 v8, v35, v17
	v_fmac_f32_e32 v7, v34, v21
	v_fmac_f32_e32 v6, v35, v21
	ds_read2_b32 v[16:17], v14 offset0:192 offset1:208
	s_waitcnt lgkmcnt(6)
	v_fmac_f32_e32 v11, v36, v18
	v_fmac_f32_e32 v8, v37, v18
	;; [unrolled: 6-line block ×3, first 2 shown]
	v_fmac_f32_e32 v7, v38, v23
	v_fmac_f32_e32 v6, v39, v23
	s_waitcnt lgkmcnt(0)
	v_fmac_f32_e32 v11, v40, v24
	v_fmac_f32_e32 v8, v41, v24
	;; [unrolled: 1-line block ×4, first 2 shown]
	s_barrier
	v_fmac_f32_e32 v11, v32, v25
	v_fmac_f32_e32 v8, v33, v25
	v_fmac_f32_e32 v7, v32, v29
	v_fmac_f32_e32 v6, v33, v29
	buffer_gl0_inv
	v_fmac_f32_e32 v11, v16, v26
	v_fmac_f32_e32 v8, v17, v26
	;; [unrolled: 1-line block ×8, first 2 shown]
	s_cbranch_scc0 .LBB319_10
.LBB319_6:                              ; =>This Inner Loop Header: Depth=1
	v_add_nc_u32_e32 v16, s9, v10
	v_cmp_gt_i32_e64 s1, s13, v16
	v_mov_b32_e32 v16, 0
	s_and_b32 s15, vcc_lo, s1
	s_and_saveexec_b32 s1, s15
	s_cbranch_execz .LBB319_8
; %bb.7:                                ;   in Loop: Header=BB319_6 Depth=1
	flat_load_dword v16, v[2:3]
.LBB319_8:                              ;   in Loop: Header=BB319_6 Depth=1
	s_or_b32 exec_lo, exec_lo, s1
	v_add_nc_u32_e32 v17, s9, v9
	s_waitcnt vmcnt(0) lgkmcnt(0)
	ds_write_b32 v12, v16
	v_cmp_gt_i32_e64 s1, s13, v17
	v_mov_b32_e32 v17, 0
	s_and_b32 s15, s1, s0
	s_and_saveexec_b32 s1, s15
	s_cbranch_execz .LBB319_5
; %bb.9:                                ;   in Loop: Header=BB319_6 Depth=1
	flat_load_dword v17, v[4:5]
	s_branch .LBB319_5
.LBB319_10:
	s_clause 0x1
	s_load_dword s6, s[4:5], 0x50
	s_load_dwordx2 s[4:5], s[4:5], 0x58
	v_add_nc_u32_e32 v10, s11, v1
	v_add_nc_u32_e32 v0, s8, v0
	v_cmp_le_i32_e32 vcc_lo, v10, v0
	v_cmp_gt_i32_e64 s0, s12, v0
	s_waitcnt lgkmcnt(0)
	v_mad_i64_i32 v[1:2], null, v10, s6, 0
	s_lshl_b64 s[4:5], s[4:5], 2
	s_add_u32 s4, s2, s4
	v_cmp_neq_f32_e64 s2, s10, 0
	s_addc_u32 s3, s3, s5
	s_and_b32 s5, vcc_lo, s0
	v_lshlrev_b64 v[2:3], 2, v[1:2]
	v_ashrrev_i32_e32 v1, 31, v0
	v_cndmask_b32_e64 v9, 0, 1, s2
	v_add_co_u32 v4, s1, s4, v2
	v_add_co_ci_u32_e64 v5, null, s3, v3, s1
	s_and_saveexec_b32 s1, s5
	s_cbranch_execz .LBB319_14
; %bb.11:
	v_lshlrev_b64 v[2:3], 2, v[0:1]
	v_mul_f32_e32 v11, s14, v11
	v_add_co_u32 v2, vcc_lo, v4, v2
	v_add_co_ci_u32_e64 v3, null, v5, v3, vcc_lo
	s_andn2_b32 vcc_lo, exec_lo, s2
	s_cbranch_vccnz .LBB319_13
; %bb.12:
	flat_load_dword v12, v[2:3]
	s_waitcnt vmcnt(0) lgkmcnt(0)
	v_fmac_f32_e32 v11, s10, v12
.LBB319_13:
	flat_store_dword v[2:3], v11
.LBB319_14:
	s_or_b32 exec_lo, exec_lo, s1
	v_add_nc_u32_e32 v2, 16, v0
	v_cmp_le_i32_e32 vcc_lo, v10, v2
	v_cmp_gt_i32_e64 s1, s12, v2
	v_ashrrev_i32_e32 v3, 31, v2
	s_and_b32 s2, vcc_lo, s1
	s_and_saveexec_b32 s5, s2
	s_cbranch_execz .LBB319_18
; %bb.15:
	v_lshlrev_b64 v[11:12], 2, v[2:3]
	v_cmp_ne_u32_e32 vcc_lo, 1, v9
	v_mul_f32_e32 v8, s14, v8
	v_add_co_u32 v4, s2, v4, v11
	v_add_co_ci_u32_e64 v5, null, v5, v12, s2
	s_cbranch_vccnz .LBB319_17
; %bb.16:
	flat_load_dword v11, v[4:5]
	s_waitcnt vmcnt(0) lgkmcnt(0)
	v_fmac_f32_e32 v8, s10, v11
.LBB319_17:
	flat_store_dword v[4:5], v8
.LBB319_18:
	s_or_b32 exec_lo, exec_lo, s5
	v_add_nc_u32_e32 v8, 16, v10
	v_mad_i64_i32 v[4:5], null, v8, s6, 0
	v_cmp_le_i32_e32 vcc_lo, v8, v0
	s_and_b32 s0, vcc_lo, s0
	v_lshlrev_b64 v[4:5], 2, v[4:5]
	v_add_co_u32 v4, s2, s4, v4
	v_add_co_ci_u32_e64 v5, null, s3, v5, s2
	s_and_saveexec_b32 s2, s0
	s_cbranch_execz .LBB319_22
; %bb.19:
	v_lshlrev_b64 v[0:1], 2, v[0:1]
	v_cmp_ne_u32_e32 vcc_lo, 1, v9
	v_mul_f32_e32 v7, s14, v7
	v_add_co_u32 v0, s0, v4, v0
	v_add_co_ci_u32_e64 v1, null, v5, v1, s0
	s_cbranch_vccnz .LBB319_21
; %bb.20:
	flat_load_dword v10, v[0:1]
	s_waitcnt vmcnt(0) lgkmcnt(0)
	v_fmac_f32_e32 v7, s10, v10
.LBB319_21:
	flat_store_dword v[0:1], v7
.LBB319_22:
	s_or_b32 exec_lo, exec_lo, s2
	v_cmp_le_i32_e32 vcc_lo, v8, v2
	s_and_b32 s0, vcc_lo, s1
	s_and_saveexec_b32 s1, s0
	s_cbranch_execz .LBB319_26
; %bb.23:
	v_lshlrev_b64 v[0:1], 2, v[2:3]
	v_cmp_ne_u32_e32 vcc_lo, 1, v9
	v_mul_f32_e32 v2, s14, v6
	v_add_co_u32 v0, s0, v4, v0
	v_add_co_ci_u32_e64 v1, null, v5, v1, s0
	s_cbranch_vccnz .LBB319_25
; %bb.24:
	flat_load_dword v3, v[0:1]
	s_waitcnt vmcnt(0) lgkmcnt(0)
	v_fmac_f32_e32 v2, s10, v3
.LBB319_25:
	flat_store_dword v[0:1], v2
.LBB319_26:
	s_endpgm
	.section	.rodata,"a",@progbits
	.p2align	6, 0x0
	.amdhsa_kernel _ZL29rocblas_internal_gemmt_kernelIiLi16ELi32ELi8ELc84ELc84ELc76ELb0ELb0EffPKPKfPKPfEviT_T9_T10_S7_lS9_S7_lS8_T11_S7_li
		.amdhsa_group_segment_fixed_size 2048
		.amdhsa_private_segment_fixed_size 0
		.amdhsa_kernarg_size 100
		.amdhsa_user_sgpr_count 6
		.amdhsa_user_sgpr_private_segment_buffer 1
		.amdhsa_user_sgpr_dispatch_ptr 0
		.amdhsa_user_sgpr_queue_ptr 0
		.amdhsa_user_sgpr_kernarg_segment_ptr 1
		.amdhsa_user_sgpr_dispatch_id 0
		.amdhsa_user_sgpr_flat_scratch_init 0
		.amdhsa_user_sgpr_private_segment_size 0
		.amdhsa_wavefront_size32 1
		.amdhsa_uses_dynamic_stack 0
		.amdhsa_system_sgpr_private_segment_wavefront_offset 0
		.amdhsa_system_sgpr_workgroup_id_x 1
		.amdhsa_system_sgpr_workgroup_id_y 1
		.amdhsa_system_sgpr_workgroup_id_z 1
		.amdhsa_system_sgpr_workgroup_info 0
		.amdhsa_system_vgpr_workitem_id 1
		.amdhsa_next_free_vgpr 42
		.amdhsa_next_free_sgpr 24
		.amdhsa_reserve_vcc 1
		.amdhsa_reserve_flat_scratch 0
		.amdhsa_float_round_mode_32 0
		.amdhsa_float_round_mode_16_64 0
		.amdhsa_float_denorm_mode_32 3
		.amdhsa_float_denorm_mode_16_64 3
		.amdhsa_dx10_clamp 1
		.amdhsa_ieee_mode 1
		.amdhsa_fp16_overflow 0
		.amdhsa_workgroup_processor_mode 1
		.amdhsa_memory_ordered 1
		.amdhsa_forward_progress 1
		.amdhsa_shared_vgpr_count 0
		.amdhsa_exception_fp_ieee_invalid_op 0
		.amdhsa_exception_fp_denorm_src 0
		.amdhsa_exception_fp_ieee_div_zero 0
		.amdhsa_exception_fp_ieee_overflow 0
		.amdhsa_exception_fp_ieee_underflow 0
		.amdhsa_exception_fp_ieee_inexact 0
		.amdhsa_exception_int_div_zero 0
	.end_amdhsa_kernel
	.section	.text._ZL29rocblas_internal_gemmt_kernelIiLi16ELi32ELi8ELc84ELc84ELc76ELb0ELb0EffPKPKfPKPfEviT_T9_T10_S7_lS9_S7_lS8_T11_S7_li,"axG",@progbits,_ZL29rocblas_internal_gemmt_kernelIiLi16ELi32ELi8ELc84ELc84ELc76ELb0ELb0EffPKPKfPKPfEviT_T9_T10_S7_lS9_S7_lS8_T11_S7_li,comdat
.Lfunc_end319:
	.size	_ZL29rocblas_internal_gemmt_kernelIiLi16ELi32ELi8ELc84ELc84ELc76ELb0ELb0EffPKPKfPKPfEviT_T9_T10_S7_lS9_S7_lS8_T11_S7_li, .Lfunc_end319-_ZL29rocblas_internal_gemmt_kernelIiLi16ELi32ELi8ELc84ELc84ELc76ELb0ELb0EffPKPKfPKPfEviT_T9_T10_S7_lS9_S7_lS8_T11_S7_li
                                        ; -- End function
	.set _ZL29rocblas_internal_gemmt_kernelIiLi16ELi32ELi8ELc84ELc84ELc76ELb0ELb0EffPKPKfPKPfEviT_T9_T10_S7_lS9_S7_lS8_T11_S7_li.num_vgpr, 42
	.set _ZL29rocblas_internal_gemmt_kernelIiLi16ELi32ELi8ELc84ELc84ELc76ELb0ELb0EffPKPKfPKPfEviT_T9_T10_S7_lS9_S7_lS8_T11_S7_li.num_agpr, 0
	.set _ZL29rocblas_internal_gemmt_kernelIiLi16ELi32ELi8ELc84ELc84ELc76ELb0ELb0EffPKPKfPKPfEviT_T9_T10_S7_lS9_S7_lS8_T11_S7_li.numbered_sgpr, 24
	.set _ZL29rocblas_internal_gemmt_kernelIiLi16ELi32ELi8ELc84ELc84ELc76ELb0ELb0EffPKPKfPKPfEviT_T9_T10_S7_lS9_S7_lS8_T11_S7_li.num_named_barrier, 0
	.set _ZL29rocblas_internal_gemmt_kernelIiLi16ELi32ELi8ELc84ELc84ELc76ELb0ELb0EffPKPKfPKPfEviT_T9_T10_S7_lS9_S7_lS8_T11_S7_li.private_seg_size, 0
	.set _ZL29rocblas_internal_gemmt_kernelIiLi16ELi32ELi8ELc84ELc84ELc76ELb0ELb0EffPKPKfPKPfEviT_T9_T10_S7_lS9_S7_lS8_T11_S7_li.uses_vcc, 1
	.set _ZL29rocblas_internal_gemmt_kernelIiLi16ELi32ELi8ELc84ELc84ELc76ELb0ELb0EffPKPKfPKPfEviT_T9_T10_S7_lS9_S7_lS8_T11_S7_li.uses_flat_scratch, 0
	.set _ZL29rocblas_internal_gemmt_kernelIiLi16ELi32ELi8ELc84ELc84ELc76ELb0ELb0EffPKPKfPKPfEviT_T9_T10_S7_lS9_S7_lS8_T11_S7_li.has_dyn_sized_stack, 0
	.set _ZL29rocblas_internal_gemmt_kernelIiLi16ELi32ELi8ELc84ELc84ELc76ELb0ELb0EffPKPKfPKPfEviT_T9_T10_S7_lS9_S7_lS8_T11_S7_li.has_recursion, 0
	.set _ZL29rocblas_internal_gemmt_kernelIiLi16ELi32ELi8ELc84ELc84ELc76ELb0ELb0EffPKPKfPKPfEviT_T9_T10_S7_lS9_S7_lS8_T11_S7_li.has_indirect_call, 0
	.section	.AMDGPU.csdata,"",@progbits
; Kernel info:
; codeLenInByte = 1420
; TotalNumSgprs: 26
; NumVgprs: 42
; ScratchSize: 0
; MemoryBound: 0
; FloatMode: 240
; IeeeMode: 1
; LDSByteSize: 2048 bytes/workgroup (compile time only)
; SGPRBlocks: 0
; VGPRBlocks: 5
; NumSGPRsForWavesPerEU: 26
; NumVGPRsForWavesPerEU: 42
; Occupancy: 16
; WaveLimiterHint : 1
; COMPUTE_PGM_RSRC2:SCRATCH_EN: 0
; COMPUTE_PGM_RSRC2:USER_SGPR: 6
; COMPUTE_PGM_RSRC2:TRAP_HANDLER: 0
; COMPUTE_PGM_RSRC2:TGID_X_EN: 1
; COMPUTE_PGM_RSRC2:TGID_Y_EN: 1
; COMPUTE_PGM_RSRC2:TGID_Z_EN: 1
; COMPUTE_PGM_RSRC2:TIDIG_COMP_CNT: 1
	.section	.text._ZL29rocblas_internal_gemmt_kernelIiLi16ELi32ELi8ELc84ELc67ELc76ELb0ELb0EffPKPKfPKPfEviT_T9_T10_S7_lS9_S7_lS8_T11_S7_li,"axG",@progbits,_ZL29rocblas_internal_gemmt_kernelIiLi16ELi32ELi8ELc84ELc67ELc76ELb0ELb0EffPKPKfPKPfEviT_T9_T10_S7_lS9_S7_lS8_T11_S7_li,comdat
	.globl	_ZL29rocblas_internal_gemmt_kernelIiLi16ELi32ELi8ELc84ELc67ELc76ELb0ELb0EffPKPKfPKPfEviT_T9_T10_S7_lS9_S7_lS8_T11_S7_li ; -- Begin function _ZL29rocblas_internal_gemmt_kernelIiLi16ELi32ELi8ELc84ELc67ELc76ELb0ELb0EffPKPKfPKPfEviT_T9_T10_S7_lS9_S7_lS8_T11_S7_li
	.p2align	8
	.type	_ZL29rocblas_internal_gemmt_kernelIiLi16ELi32ELi8ELc84ELc67ELc76ELb0ELb0EffPKPKfPKPfEviT_T9_T10_S7_lS9_S7_lS8_T11_S7_li,@function
_ZL29rocblas_internal_gemmt_kernelIiLi16ELi32ELi8ELc84ELc67ELc76ELb0ELb0EffPKPKfPKPfEviT_T9_T10_S7_lS9_S7_lS8_T11_S7_li: ; @_ZL29rocblas_internal_gemmt_kernelIiLi16ELi32ELi8ELc84ELc67ELc76ELb0ELb0EffPKPKfPKPfEviT_T9_T10_S7_lS9_S7_lS8_T11_S7_li
; %bb.0:
	s_clause 0x1
	s_load_dword s10, s[4:5], 0x40
	s_load_dwordx4 s[12:15], s[4:5], 0x0
	s_waitcnt lgkmcnt(0)
	v_cmp_neq_f32_e64 s0, s10, 1.0
	s_and_b32 vcc_lo, exec_lo, s0
	s_cbranch_vccnz .LBB320_2
; %bb.1:
	v_cmp_neq_f32_e64 s0, s14, 0
	s_cmp_lg_u32 s13, 0
	s_cselect_b32 s1, -1, 0
	s_and_b32 s0, s1, s0
.LBB320_2:
	s_andn2_b32 vcc_lo, exec_lo, s0
	s_cbranch_vccnz .LBB320_26
; %bb.3:
	s_load_dwordx2 s[2:3], s[4:5], 0x48
	s_mov_b32 s9, 0
	v_mov_b32_e32 v11, 0
	s_lshl_b64 s[0:1], s[8:9], 3
	v_mov_b32_e32 v8, 0
	v_mov_b32_e32 v7, 0
	;; [unrolled: 1-line block ×3, first 2 shown]
	s_waitcnt lgkmcnt(0)
	s_add_u32 s2, s2, s0
	s_addc_u32 s3, s3, s1
	s_lshl_b32 s8, s6, 5
	s_load_dwordx2 s[2:3], s[2:3], 0x0
	s_lshl_b32 s11, s7, 5
	v_cmp_eq_f32_e64 s6, s14, 0
	s_cmp_lt_i32 s13, 1
	s_cselect_b32 s7, -1, 0
	s_or_b32 s6, s6, s7
	s_and_b32 vcc_lo, exec_lo, s6
	s_cbranch_vccnz .LBB320_10
; %bb.4:
	s_clause 0x4
	s_load_dword s6, s[4:5], 0x30
	s_load_dwordx4 s[16:19], s[4:5], 0x20
	s_load_dword s15, s[4:5], 0x18
	s_load_dwordx2 s[20:21], s[4:5], 0x10
	s_load_dwordx2 s[22:23], s[4:5], 0x38
	v_lshl_add_u32 v2, v1, 4, v0
	v_and_b32_e32 v9, 7, v0
	v_lshlrev_b32_e32 v14, 2, v0
	v_lshl_add_u32 v15, v1, 5, 0x400
	v_and_b32_e32 v3, 31, v2
	v_lshrrev_b32_e32 v4, 3, v2
	v_lshlrev_b32_e32 v5, 2, v9
	v_lshrrev_b32_e32 v10, 5, v2
	v_or_b32_e32 v6, s8, v3
	v_lshlrev_b32_e32 v7, 2, v3
	v_add_nc_u32_e32 v3, s8, v3
	v_add_nc_u32_e32 v2, s11, v4
	v_lshl_or_b32 v8, v4, 5, v5
	s_waitcnt lgkmcnt(0)
	s_ashr_i32 s7, s6, 31
	s_add_u32 s18, s18, s0
	v_mad_i64_i32 v[4:5], null, s15, v3, 0
	s_addc_u32 s19, s19, s1
	v_cmp_gt_i32_e32 vcc_lo, s12, v6
	v_lshl_or_b32 v12, v10, 7, v7
	s_add_u32 s0, s20, s0
	v_mad_i64_i32 v[6:7], null, s6, v9, 0
	s_addc_u32 s1, s21, s1
	s_load_dwordx2 s[18:19], s[18:19], 0x0
	s_load_dwordx2 s[20:21], s[0:1], 0x0
	v_lshlrev_b64 v[4:5], 2, v[4:5]
	v_add_nc_u32_e32 v13, 0x400, v8
	v_ashrrev_i32_e32 v3, 31, v2
	s_lshl_b64 s[16:17], s[16:17], 2
	v_lshlrev_b64 v[7:8], 2, v[6:7]
	v_lshlrev_b32_e32 v11, 2, v10
	v_add_co_u32 v4, s1, v4, s16
	v_add_co_ci_u32_e64 v5, null, s17, v5, s1
	s_lshl_b64 s[16:17], s[22:23], 2
	v_cmp_gt_i32_e64 s0, s12, v2
	v_lshlrev_b64 v[2:3], 2, v[2:3]
	v_add_co_u32 v7, s1, v7, s16
	v_add_co_ci_u32_e64 v8, null, s17, v8, s1
	v_add_co_u32 v4, s1, v4, v11
	v_add_co_ci_u32_e64 v5, null, 0, v5, s1
	;; [unrolled: 2-line block ×3, first 2 shown]
	s_waitcnt lgkmcnt(0)
	v_add_co_u32 v2, s1, s20, v4
	v_add_co_ci_u32_e64 v3, null, s21, v5, s1
	v_add_co_u32 v4, s1, s18, v7
	v_mov_b32_e32 v6, 0
	v_add_co_ci_u32_e64 v5, null, s19, v8, s1
	v_mov_b32_e32 v7, 0
	v_mov_b32_e32 v8, 0
	;; [unrolled: 1-line block ×3, first 2 shown]
	s_lshl_b64 s[6:7], s[6:7], 5
	s_branch .LBB320_6
.LBB320_5:                              ;   in Loop: Header=BB320_6 Depth=1
	s_or_b32 exec_lo, exec_lo, s1
	s_waitcnt vmcnt(0) lgkmcnt(0)
	ds_write_b32 v13, v17
	s_waitcnt lgkmcnt(0)
	s_barrier
	buffer_gl0_inv
	ds_read_b128 v[16:19], v15
	ds_read2_b32 v[32:33], v14 offset1:16
	ds_read_b128 v[20:23], v15 offset:512
	ds_read2_b32 v[34:35], v14 offset0:32 offset1:48
	ds_read2_b32 v[36:37], v14 offset0:64 offset1:80
	;; [unrolled: 1-line block ×3, first 2 shown]
	ds_read_b128 v[24:27], v15 offset:16
	ds_read2_b32 v[40:41], v14 offset0:128 offset1:144
	ds_read_b128 v[28:31], v15 offset:528
	v_add_co_u32 v2, s1, v2, 32
	v_add_co_ci_u32_e64 v3, null, 0, v3, s1
	v_add_co_u32 v4, s1, v4, s6
	v_add_co_ci_u32_e64 v5, null, s7, v5, s1
	s_add_i32 s9, s9, 8
	s_cmp_lt_i32 s9, s13
	s_waitcnt lgkmcnt(7)
	v_fmac_f32_e32 v11, v32, v16
	v_fmac_f32_e32 v8, v33, v16
	s_waitcnt lgkmcnt(6)
	v_fmac_f32_e32 v7, v32, v20
	v_fmac_f32_e32 v6, v33, v20
	ds_read2_b32 v[32:33], v14 offset0:160 offset1:176
	s_waitcnt lgkmcnt(6)
	v_fmac_f32_e32 v11, v34, v17
	v_fmac_f32_e32 v8, v35, v17
	v_fmac_f32_e32 v7, v34, v21
	v_fmac_f32_e32 v6, v35, v21
	ds_read2_b32 v[16:17], v14 offset0:192 offset1:208
	s_waitcnt lgkmcnt(6)
	v_fmac_f32_e32 v11, v36, v18
	v_fmac_f32_e32 v8, v37, v18
	;; [unrolled: 6-line block ×3, first 2 shown]
	v_fmac_f32_e32 v7, v38, v23
	v_fmac_f32_e32 v6, v39, v23
	s_waitcnt lgkmcnt(0)
	v_fmac_f32_e32 v11, v40, v24
	v_fmac_f32_e32 v8, v41, v24
	;; [unrolled: 1-line block ×4, first 2 shown]
	s_barrier
	v_fmac_f32_e32 v11, v32, v25
	v_fmac_f32_e32 v8, v33, v25
	;; [unrolled: 1-line block ×4, first 2 shown]
	buffer_gl0_inv
	v_fmac_f32_e32 v11, v16, v26
	v_fmac_f32_e32 v8, v17, v26
	;; [unrolled: 1-line block ×8, first 2 shown]
	s_cbranch_scc0 .LBB320_10
.LBB320_6:                              ; =>This Inner Loop Header: Depth=1
	v_add_nc_u32_e32 v16, s9, v10
	v_cmp_gt_i32_e64 s1, s13, v16
	v_mov_b32_e32 v16, 0
	s_and_b32 s15, vcc_lo, s1
	s_and_saveexec_b32 s1, s15
	s_cbranch_execz .LBB320_8
; %bb.7:                                ;   in Loop: Header=BB320_6 Depth=1
	flat_load_dword v16, v[2:3]
.LBB320_8:                              ;   in Loop: Header=BB320_6 Depth=1
	s_or_b32 exec_lo, exec_lo, s1
	v_add_nc_u32_e32 v17, s9, v9
	s_waitcnt vmcnt(0) lgkmcnt(0)
	ds_write_b32 v12, v16
	v_cmp_gt_i32_e64 s1, s13, v17
	v_mov_b32_e32 v17, 0
	s_and_b32 s15, s1, s0
	s_and_saveexec_b32 s1, s15
	s_cbranch_execz .LBB320_5
; %bb.9:                                ;   in Loop: Header=BB320_6 Depth=1
	flat_load_dword v17, v[4:5]
	s_branch .LBB320_5
.LBB320_10:
	s_clause 0x1
	s_load_dword s6, s[4:5], 0x50
	s_load_dwordx2 s[4:5], s[4:5], 0x58
	v_add_nc_u32_e32 v10, s11, v1
	v_add_nc_u32_e32 v0, s8, v0
	v_cmp_le_i32_e32 vcc_lo, v10, v0
	v_cmp_gt_i32_e64 s0, s12, v0
	s_waitcnt lgkmcnt(0)
	v_mad_i64_i32 v[1:2], null, v10, s6, 0
	s_lshl_b64 s[4:5], s[4:5], 2
	s_add_u32 s4, s2, s4
	v_cmp_neq_f32_e64 s2, s10, 0
	s_addc_u32 s3, s3, s5
	s_and_b32 s5, vcc_lo, s0
	v_lshlrev_b64 v[2:3], 2, v[1:2]
	v_ashrrev_i32_e32 v1, 31, v0
	v_cndmask_b32_e64 v9, 0, 1, s2
	v_add_co_u32 v4, s1, s4, v2
	v_add_co_ci_u32_e64 v5, null, s3, v3, s1
	s_and_saveexec_b32 s1, s5
	s_cbranch_execz .LBB320_14
; %bb.11:
	v_lshlrev_b64 v[2:3], 2, v[0:1]
	v_mul_f32_e32 v11, s14, v11
	v_add_co_u32 v2, vcc_lo, v4, v2
	v_add_co_ci_u32_e64 v3, null, v5, v3, vcc_lo
	s_andn2_b32 vcc_lo, exec_lo, s2
	s_cbranch_vccnz .LBB320_13
; %bb.12:
	flat_load_dword v12, v[2:3]
	s_waitcnt vmcnt(0) lgkmcnt(0)
	v_fmac_f32_e32 v11, s10, v12
.LBB320_13:
	flat_store_dword v[2:3], v11
.LBB320_14:
	s_or_b32 exec_lo, exec_lo, s1
	v_add_nc_u32_e32 v2, 16, v0
	v_cmp_le_i32_e32 vcc_lo, v10, v2
	v_cmp_gt_i32_e64 s1, s12, v2
	v_ashrrev_i32_e32 v3, 31, v2
	s_and_b32 s2, vcc_lo, s1
	s_and_saveexec_b32 s5, s2
	s_cbranch_execz .LBB320_18
; %bb.15:
	v_lshlrev_b64 v[11:12], 2, v[2:3]
	v_cmp_ne_u32_e32 vcc_lo, 1, v9
	v_mul_f32_e32 v8, s14, v8
	v_add_co_u32 v4, s2, v4, v11
	v_add_co_ci_u32_e64 v5, null, v5, v12, s2
	s_cbranch_vccnz .LBB320_17
; %bb.16:
	flat_load_dword v11, v[4:5]
	s_waitcnt vmcnt(0) lgkmcnt(0)
	v_fmac_f32_e32 v8, s10, v11
.LBB320_17:
	flat_store_dword v[4:5], v8
.LBB320_18:
	s_or_b32 exec_lo, exec_lo, s5
	v_add_nc_u32_e32 v8, 16, v10
	v_mad_i64_i32 v[4:5], null, v8, s6, 0
	v_cmp_le_i32_e32 vcc_lo, v8, v0
	s_and_b32 s0, vcc_lo, s0
	v_lshlrev_b64 v[4:5], 2, v[4:5]
	v_add_co_u32 v4, s2, s4, v4
	v_add_co_ci_u32_e64 v5, null, s3, v5, s2
	s_and_saveexec_b32 s2, s0
	s_cbranch_execz .LBB320_22
; %bb.19:
	v_lshlrev_b64 v[0:1], 2, v[0:1]
	v_cmp_ne_u32_e32 vcc_lo, 1, v9
	v_mul_f32_e32 v7, s14, v7
	v_add_co_u32 v0, s0, v4, v0
	v_add_co_ci_u32_e64 v1, null, v5, v1, s0
	s_cbranch_vccnz .LBB320_21
; %bb.20:
	flat_load_dword v10, v[0:1]
	s_waitcnt vmcnt(0) lgkmcnt(0)
	v_fmac_f32_e32 v7, s10, v10
.LBB320_21:
	flat_store_dword v[0:1], v7
.LBB320_22:
	s_or_b32 exec_lo, exec_lo, s2
	v_cmp_le_i32_e32 vcc_lo, v8, v2
	s_and_b32 s0, vcc_lo, s1
	s_and_saveexec_b32 s1, s0
	s_cbranch_execz .LBB320_26
; %bb.23:
	v_lshlrev_b64 v[0:1], 2, v[2:3]
	v_cmp_ne_u32_e32 vcc_lo, 1, v9
	v_mul_f32_e32 v2, s14, v6
	v_add_co_u32 v0, s0, v4, v0
	v_add_co_ci_u32_e64 v1, null, v5, v1, s0
	s_cbranch_vccnz .LBB320_25
; %bb.24:
	flat_load_dword v3, v[0:1]
	s_waitcnt vmcnt(0) lgkmcnt(0)
	v_fmac_f32_e32 v2, s10, v3
.LBB320_25:
	flat_store_dword v[0:1], v2
.LBB320_26:
	s_endpgm
	.section	.rodata,"a",@progbits
	.p2align	6, 0x0
	.amdhsa_kernel _ZL29rocblas_internal_gemmt_kernelIiLi16ELi32ELi8ELc84ELc67ELc76ELb0ELb0EffPKPKfPKPfEviT_T9_T10_S7_lS9_S7_lS8_T11_S7_li
		.amdhsa_group_segment_fixed_size 2048
		.amdhsa_private_segment_fixed_size 0
		.amdhsa_kernarg_size 100
		.amdhsa_user_sgpr_count 6
		.amdhsa_user_sgpr_private_segment_buffer 1
		.amdhsa_user_sgpr_dispatch_ptr 0
		.amdhsa_user_sgpr_queue_ptr 0
		.amdhsa_user_sgpr_kernarg_segment_ptr 1
		.amdhsa_user_sgpr_dispatch_id 0
		.amdhsa_user_sgpr_flat_scratch_init 0
		.amdhsa_user_sgpr_private_segment_size 0
		.amdhsa_wavefront_size32 1
		.amdhsa_uses_dynamic_stack 0
		.amdhsa_system_sgpr_private_segment_wavefront_offset 0
		.amdhsa_system_sgpr_workgroup_id_x 1
		.amdhsa_system_sgpr_workgroup_id_y 1
		.amdhsa_system_sgpr_workgroup_id_z 1
		.amdhsa_system_sgpr_workgroup_info 0
		.amdhsa_system_vgpr_workitem_id 1
		.amdhsa_next_free_vgpr 42
		.amdhsa_next_free_sgpr 24
		.amdhsa_reserve_vcc 1
		.amdhsa_reserve_flat_scratch 0
		.amdhsa_float_round_mode_32 0
		.amdhsa_float_round_mode_16_64 0
		.amdhsa_float_denorm_mode_32 3
		.amdhsa_float_denorm_mode_16_64 3
		.amdhsa_dx10_clamp 1
		.amdhsa_ieee_mode 1
		.amdhsa_fp16_overflow 0
		.amdhsa_workgroup_processor_mode 1
		.amdhsa_memory_ordered 1
		.amdhsa_forward_progress 1
		.amdhsa_shared_vgpr_count 0
		.amdhsa_exception_fp_ieee_invalid_op 0
		.amdhsa_exception_fp_denorm_src 0
		.amdhsa_exception_fp_ieee_div_zero 0
		.amdhsa_exception_fp_ieee_overflow 0
		.amdhsa_exception_fp_ieee_underflow 0
		.amdhsa_exception_fp_ieee_inexact 0
		.amdhsa_exception_int_div_zero 0
	.end_amdhsa_kernel
	.section	.text._ZL29rocblas_internal_gemmt_kernelIiLi16ELi32ELi8ELc84ELc67ELc76ELb0ELb0EffPKPKfPKPfEviT_T9_T10_S7_lS9_S7_lS8_T11_S7_li,"axG",@progbits,_ZL29rocblas_internal_gemmt_kernelIiLi16ELi32ELi8ELc84ELc67ELc76ELb0ELb0EffPKPKfPKPfEviT_T9_T10_S7_lS9_S7_lS8_T11_S7_li,comdat
.Lfunc_end320:
	.size	_ZL29rocblas_internal_gemmt_kernelIiLi16ELi32ELi8ELc84ELc67ELc76ELb0ELb0EffPKPKfPKPfEviT_T9_T10_S7_lS9_S7_lS8_T11_S7_li, .Lfunc_end320-_ZL29rocblas_internal_gemmt_kernelIiLi16ELi32ELi8ELc84ELc67ELc76ELb0ELb0EffPKPKfPKPfEviT_T9_T10_S7_lS9_S7_lS8_T11_S7_li
                                        ; -- End function
	.set _ZL29rocblas_internal_gemmt_kernelIiLi16ELi32ELi8ELc84ELc67ELc76ELb0ELb0EffPKPKfPKPfEviT_T9_T10_S7_lS9_S7_lS8_T11_S7_li.num_vgpr, 42
	.set _ZL29rocblas_internal_gemmt_kernelIiLi16ELi32ELi8ELc84ELc67ELc76ELb0ELb0EffPKPKfPKPfEviT_T9_T10_S7_lS9_S7_lS8_T11_S7_li.num_agpr, 0
	.set _ZL29rocblas_internal_gemmt_kernelIiLi16ELi32ELi8ELc84ELc67ELc76ELb0ELb0EffPKPKfPKPfEviT_T9_T10_S7_lS9_S7_lS8_T11_S7_li.numbered_sgpr, 24
	.set _ZL29rocblas_internal_gemmt_kernelIiLi16ELi32ELi8ELc84ELc67ELc76ELb0ELb0EffPKPKfPKPfEviT_T9_T10_S7_lS9_S7_lS8_T11_S7_li.num_named_barrier, 0
	.set _ZL29rocblas_internal_gemmt_kernelIiLi16ELi32ELi8ELc84ELc67ELc76ELb0ELb0EffPKPKfPKPfEviT_T9_T10_S7_lS9_S7_lS8_T11_S7_li.private_seg_size, 0
	.set _ZL29rocblas_internal_gemmt_kernelIiLi16ELi32ELi8ELc84ELc67ELc76ELb0ELb0EffPKPKfPKPfEviT_T9_T10_S7_lS9_S7_lS8_T11_S7_li.uses_vcc, 1
	.set _ZL29rocblas_internal_gemmt_kernelIiLi16ELi32ELi8ELc84ELc67ELc76ELb0ELb0EffPKPKfPKPfEviT_T9_T10_S7_lS9_S7_lS8_T11_S7_li.uses_flat_scratch, 0
	.set _ZL29rocblas_internal_gemmt_kernelIiLi16ELi32ELi8ELc84ELc67ELc76ELb0ELb0EffPKPKfPKPfEviT_T9_T10_S7_lS9_S7_lS8_T11_S7_li.has_dyn_sized_stack, 0
	.set _ZL29rocblas_internal_gemmt_kernelIiLi16ELi32ELi8ELc84ELc67ELc76ELb0ELb0EffPKPKfPKPfEviT_T9_T10_S7_lS9_S7_lS8_T11_S7_li.has_recursion, 0
	.set _ZL29rocblas_internal_gemmt_kernelIiLi16ELi32ELi8ELc84ELc67ELc76ELb0ELb0EffPKPKfPKPfEviT_T9_T10_S7_lS9_S7_lS8_T11_S7_li.has_indirect_call, 0
	.section	.AMDGPU.csdata,"",@progbits
; Kernel info:
; codeLenInByte = 1420
; TotalNumSgprs: 26
; NumVgprs: 42
; ScratchSize: 0
; MemoryBound: 0
; FloatMode: 240
; IeeeMode: 1
; LDSByteSize: 2048 bytes/workgroup (compile time only)
; SGPRBlocks: 0
; VGPRBlocks: 5
; NumSGPRsForWavesPerEU: 26
; NumVGPRsForWavesPerEU: 42
; Occupancy: 16
; WaveLimiterHint : 1
; COMPUTE_PGM_RSRC2:SCRATCH_EN: 0
; COMPUTE_PGM_RSRC2:USER_SGPR: 6
; COMPUTE_PGM_RSRC2:TRAP_HANDLER: 0
; COMPUTE_PGM_RSRC2:TGID_X_EN: 1
; COMPUTE_PGM_RSRC2:TGID_Y_EN: 1
; COMPUTE_PGM_RSRC2:TGID_Z_EN: 1
; COMPUTE_PGM_RSRC2:TIDIG_COMP_CNT: 1
	.section	.text._ZL29rocblas_internal_gemmt_kernelIiLi16ELi32ELi8ELc67ELc78ELc76ELb0ELb0EffPKPKfPKPfEviT_T9_T10_S7_lS9_S7_lS8_T11_S7_li,"axG",@progbits,_ZL29rocblas_internal_gemmt_kernelIiLi16ELi32ELi8ELc67ELc78ELc76ELb0ELb0EffPKPKfPKPfEviT_T9_T10_S7_lS9_S7_lS8_T11_S7_li,comdat
	.globl	_ZL29rocblas_internal_gemmt_kernelIiLi16ELi32ELi8ELc67ELc78ELc76ELb0ELb0EffPKPKfPKPfEviT_T9_T10_S7_lS9_S7_lS8_T11_S7_li ; -- Begin function _ZL29rocblas_internal_gemmt_kernelIiLi16ELi32ELi8ELc67ELc78ELc76ELb0ELb0EffPKPKfPKPfEviT_T9_T10_S7_lS9_S7_lS8_T11_S7_li
	.p2align	8
	.type	_ZL29rocblas_internal_gemmt_kernelIiLi16ELi32ELi8ELc67ELc78ELc76ELb0ELb0EffPKPKfPKPfEviT_T9_T10_S7_lS9_S7_lS8_T11_S7_li,@function
_ZL29rocblas_internal_gemmt_kernelIiLi16ELi32ELi8ELc67ELc78ELc76ELb0ELb0EffPKPKfPKPfEviT_T9_T10_S7_lS9_S7_lS8_T11_S7_li: ; @_ZL29rocblas_internal_gemmt_kernelIiLi16ELi32ELi8ELc67ELc78ELc76ELb0ELb0EffPKPKfPKPfEviT_T9_T10_S7_lS9_S7_lS8_T11_S7_li
; %bb.0:
	s_clause 0x1
	s_load_dword s10, s[4:5], 0x40
	s_load_dwordx4 s[12:15], s[4:5], 0x0
	s_waitcnt lgkmcnt(0)
	v_cmp_neq_f32_e64 s0, s10, 1.0
	s_and_b32 vcc_lo, exec_lo, s0
	s_cbranch_vccnz .LBB321_2
; %bb.1:
	v_cmp_neq_f32_e64 s0, s14, 0
	s_cmp_lg_u32 s13, 0
	s_cselect_b32 s1, -1, 0
	s_and_b32 s0, s1, s0
.LBB321_2:
	s_andn2_b32 vcc_lo, exec_lo, s0
	s_cbranch_vccnz .LBB321_26
; %bb.3:
	s_load_dwordx2 s[2:3], s[4:5], 0x48
	s_mov_b32 s9, 0
	v_mov_b32_e32 v11, 0
	s_lshl_b64 s[0:1], s[8:9], 3
	v_cmp_eq_f32_e64 s8, s14, 0
	v_mov_b32_e32 v8, 0
	v_mov_b32_e32 v7, 0
	;; [unrolled: 1-line block ×3, first 2 shown]
	s_waitcnt lgkmcnt(0)
	s_add_u32 s2, s2, s0
	s_addc_u32 s3, s3, s1
	s_lshl_b32 s6, s6, 5
	s_load_dwordx2 s[2:3], s[2:3], 0x0
	s_lshl_b32 s7, s7, 5
	s_cmp_lt_i32 s13, 1
	s_cselect_b32 s11, -1, 0
	s_or_b32 s8, s8, s11
	s_and_b32 vcc_lo, exec_lo, s8
	s_cbranch_vccnz .LBB321_10
; %bb.4:
	s_clause 0x4
	s_load_dwordx4 s[16:19], s[4:5], 0x20
	s_load_dword s8, s[4:5], 0x18
	s_load_dwordx2 s[20:21], s[4:5], 0x10
	s_load_dword s11, s[4:5], 0x30
	s_load_dwordx2 s[22:23], s[4:5], 0x38
	v_lshl_add_u32 v2, v1, 4, v0
	v_and_b32_e32 v9, 7, v0
	v_lshlrev_b32_e32 v14, 2, v0
	v_lshl_add_u32 v15, v1, 5, 0x400
	v_and_b32_e32 v3, 31, v2
	v_lshrrev_b32_e32 v4, 3, v2
	v_lshrrev_b32_e32 v10, 5, v2
	v_lshlrev_b32_e32 v7, 2, v9
	v_or_b32_e32 v2, s6, v3
	v_lshlrev_b32_e32 v8, 2, v3
	v_add_nc_u32_e32 v3, s6, v3
	v_add_nc_u32_e32 v6, s7, v4
	v_lshl_or_b32 v11, v4, 5, v7
	v_cmp_gt_i32_e32 vcc_lo, s12, v2
	s_waitcnt lgkmcnt(0)
	s_add_u32 s18, s18, s0
	v_mad_i64_i32 v[2:3], null, s8, v3, 0
	s_addc_u32 s19, s19, s1
	s_add_u32 s0, s20, s0
	v_mad_i64_i32 v[4:5], null, s11, v6, 0
	s_addc_u32 s1, s21, s1
	s_load_dwordx2 s[18:19], s[18:19], 0x0
	s_load_dwordx2 s[20:21], s[0:1], 0x0
	v_lshlrev_b64 v[2:3], 2, v[2:3]
	s_lshl_b64 s[16:17], s[16:17], 2
	v_lshl_or_b32 v12, v10, 7, v8
	v_lshlrev_b32_e32 v8, 2, v10
	v_lshlrev_b64 v[4:5], 2, v[4:5]
	v_cmp_gt_i32_e64 s0, s12, v6
	v_add_co_u32 v2, s1, v2, s16
	v_add_co_ci_u32_e64 v3, null, s17, v3, s1
	s_lshl_b64 s[16:17], s[22:23], 2
	v_add_nc_u32_e32 v13, 0x400, v11
	v_add_co_u32 v4, s1, v4, s16
	v_add_co_ci_u32_e64 v5, null, s17, v5, s1
	v_add_co_u32 v2, s1, v2, v8
	v_add_co_ci_u32_e64 v3, null, 0, v3, s1
	;; [unrolled: 2-line block ×3, first 2 shown]
	s_waitcnt lgkmcnt(0)
	v_add_co_u32 v2, s1, s20, v2
	v_add_co_ci_u32_e64 v3, null, s21, v3, s1
	v_add_co_u32 v4, s1, s18, v4
	v_mov_b32_e32 v6, 0
	v_add_co_ci_u32_e64 v5, null, s19, v5, s1
	v_mov_b32_e32 v7, 0
	v_mov_b32_e32 v8, 0
	;; [unrolled: 1-line block ×3, first 2 shown]
	s_branch .LBB321_6
.LBB321_5:                              ;   in Loop: Header=BB321_6 Depth=1
	s_or_b32 exec_lo, exec_lo, s1
	s_waitcnt vmcnt(0) lgkmcnt(0)
	ds_write_b32 v13, v17
	s_waitcnt lgkmcnt(0)
	s_barrier
	buffer_gl0_inv
	ds_read_b128 v[16:19], v15
	ds_read2_b32 v[32:33], v14 offset1:16
	ds_read_b128 v[20:23], v15 offset:512
	ds_read2_b32 v[34:35], v14 offset0:32 offset1:48
	ds_read2_b32 v[36:37], v14 offset0:64 offset1:80
	;; [unrolled: 1-line block ×3, first 2 shown]
	ds_read_b128 v[24:27], v15 offset:16
	ds_read2_b32 v[40:41], v14 offset0:128 offset1:144
	ds_read_b128 v[28:31], v15 offset:528
	v_add_co_u32 v2, s1, v2, 32
	v_add_co_ci_u32_e64 v3, null, 0, v3, s1
	v_add_co_u32 v4, s1, v4, 32
	v_add_co_ci_u32_e64 v5, null, 0, v5, s1
	s_add_i32 s9, s9, 8
	s_cmp_lt_i32 s9, s13
	s_waitcnt lgkmcnt(7)
	v_fmac_f32_e32 v11, v32, v16
	v_fmac_f32_e32 v8, v33, v16
	s_waitcnt lgkmcnt(6)
	v_fmac_f32_e32 v7, v32, v20
	v_fmac_f32_e32 v6, v33, v20
	ds_read2_b32 v[32:33], v14 offset0:160 offset1:176
	s_waitcnt lgkmcnt(6)
	v_fmac_f32_e32 v11, v34, v17
	v_fmac_f32_e32 v8, v35, v17
	v_fmac_f32_e32 v7, v34, v21
	v_fmac_f32_e32 v6, v35, v21
	ds_read2_b32 v[16:17], v14 offset0:192 offset1:208
	s_waitcnt lgkmcnt(6)
	v_fmac_f32_e32 v11, v36, v18
	v_fmac_f32_e32 v8, v37, v18
	;; [unrolled: 6-line block ×3, first 2 shown]
	v_fmac_f32_e32 v7, v38, v23
	v_fmac_f32_e32 v6, v39, v23
	s_waitcnt lgkmcnt(0)
	v_fmac_f32_e32 v11, v40, v24
	v_fmac_f32_e32 v8, v41, v24
	;; [unrolled: 1-line block ×4, first 2 shown]
	s_barrier
	v_fmac_f32_e32 v11, v32, v25
	v_fmac_f32_e32 v8, v33, v25
	;; [unrolled: 1-line block ×4, first 2 shown]
	buffer_gl0_inv
	v_fmac_f32_e32 v11, v16, v26
	v_fmac_f32_e32 v8, v17, v26
	;; [unrolled: 1-line block ×8, first 2 shown]
	s_cbranch_scc0 .LBB321_10
.LBB321_6:                              ; =>This Inner Loop Header: Depth=1
	v_add_nc_u32_e32 v16, s9, v10
	v_cmp_gt_i32_e64 s1, s13, v16
	v_mov_b32_e32 v16, 0
	s_and_b32 s8, vcc_lo, s1
	s_and_saveexec_b32 s1, s8
	s_cbranch_execz .LBB321_8
; %bb.7:                                ;   in Loop: Header=BB321_6 Depth=1
	flat_load_dword v16, v[2:3]
.LBB321_8:                              ;   in Loop: Header=BB321_6 Depth=1
	s_or_b32 exec_lo, exec_lo, s1
	v_add_nc_u32_e32 v17, s9, v9
	s_waitcnt vmcnt(0) lgkmcnt(0)
	ds_write_b32 v12, v16
	v_cmp_gt_i32_e64 s1, s13, v17
	v_mov_b32_e32 v17, 0
	s_and_b32 s8, s1, s0
	s_and_saveexec_b32 s1, s8
	s_cbranch_execz .LBB321_5
; %bb.9:                                ;   in Loop: Header=BB321_6 Depth=1
	flat_load_dword v17, v[4:5]
	s_branch .LBB321_5
.LBB321_10:
	s_clause 0x1
	s_load_dword s8, s[4:5], 0x50
	s_load_dwordx2 s[4:5], s[4:5], 0x58
	v_add_nc_u32_e32 v10, s7, v1
	v_add_nc_u32_e32 v0, s6, v0
	v_cmp_le_i32_e32 vcc_lo, v10, v0
	v_cmp_gt_i32_e64 s0, s12, v0
	s_waitcnt lgkmcnt(0)
	v_mad_i64_i32 v[1:2], null, v10, s8, 0
	s_lshl_b64 s[4:5], s[4:5], 2
	s_add_u32 s4, s2, s4
	v_cmp_neq_f32_e64 s2, s10, 0
	s_addc_u32 s3, s3, s5
	s_and_b32 s5, vcc_lo, s0
	v_lshlrev_b64 v[2:3], 2, v[1:2]
	v_ashrrev_i32_e32 v1, 31, v0
	v_cndmask_b32_e64 v9, 0, 1, s2
	v_add_co_u32 v4, s1, s4, v2
	v_add_co_ci_u32_e64 v5, null, s3, v3, s1
	s_and_saveexec_b32 s1, s5
	s_cbranch_execz .LBB321_14
; %bb.11:
	v_lshlrev_b64 v[2:3], 2, v[0:1]
	v_mul_f32_e32 v11, s14, v11
	v_add_co_u32 v2, vcc_lo, v4, v2
	v_add_co_ci_u32_e64 v3, null, v5, v3, vcc_lo
	s_andn2_b32 vcc_lo, exec_lo, s2
	s_cbranch_vccnz .LBB321_13
; %bb.12:
	flat_load_dword v12, v[2:3]
	s_waitcnt vmcnt(0) lgkmcnt(0)
	v_fmac_f32_e32 v11, s10, v12
.LBB321_13:
	flat_store_dword v[2:3], v11
.LBB321_14:
	s_or_b32 exec_lo, exec_lo, s1
	v_add_nc_u32_e32 v2, 16, v0
	v_cmp_le_i32_e32 vcc_lo, v10, v2
	v_cmp_gt_i32_e64 s1, s12, v2
	v_ashrrev_i32_e32 v3, 31, v2
	s_and_b32 s2, vcc_lo, s1
	s_and_saveexec_b32 s5, s2
	s_cbranch_execz .LBB321_18
; %bb.15:
	v_lshlrev_b64 v[11:12], 2, v[2:3]
	v_cmp_ne_u32_e32 vcc_lo, 1, v9
	v_mul_f32_e32 v8, s14, v8
	v_add_co_u32 v4, s2, v4, v11
	v_add_co_ci_u32_e64 v5, null, v5, v12, s2
	s_cbranch_vccnz .LBB321_17
; %bb.16:
	flat_load_dword v11, v[4:5]
	s_waitcnt vmcnt(0) lgkmcnt(0)
	v_fmac_f32_e32 v8, s10, v11
.LBB321_17:
	flat_store_dword v[4:5], v8
.LBB321_18:
	s_or_b32 exec_lo, exec_lo, s5
	v_add_nc_u32_e32 v8, 16, v10
	v_mad_i64_i32 v[4:5], null, v8, s8, 0
	v_cmp_le_i32_e32 vcc_lo, v8, v0
	s_and_b32 s0, vcc_lo, s0
	v_lshlrev_b64 v[4:5], 2, v[4:5]
	v_add_co_u32 v4, s2, s4, v4
	v_add_co_ci_u32_e64 v5, null, s3, v5, s2
	s_and_saveexec_b32 s2, s0
	s_cbranch_execz .LBB321_22
; %bb.19:
	v_lshlrev_b64 v[0:1], 2, v[0:1]
	v_cmp_ne_u32_e32 vcc_lo, 1, v9
	v_mul_f32_e32 v7, s14, v7
	v_add_co_u32 v0, s0, v4, v0
	v_add_co_ci_u32_e64 v1, null, v5, v1, s0
	s_cbranch_vccnz .LBB321_21
; %bb.20:
	flat_load_dword v10, v[0:1]
	s_waitcnt vmcnt(0) lgkmcnt(0)
	v_fmac_f32_e32 v7, s10, v10
.LBB321_21:
	flat_store_dword v[0:1], v7
.LBB321_22:
	s_or_b32 exec_lo, exec_lo, s2
	v_cmp_le_i32_e32 vcc_lo, v8, v2
	s_and_b32 s0, vcc_lo, s1
	s_and_saveexec_b32 s1, s0
	s_cbranch_execz .LBB321_26
; %bb.23:
	v_lshlrev_b64 v[0:1], 2, v[2:3]
	v_cmp_ne_u32_e32 vcc_lo, 1, v9
	v_mul_f32_e32 v2, s14, v6
	v_add_co_u32 v0, s0, v4, v0
	v_add_co_ci_u32_e64 v1, null, v5, v1, s0
	s_cbranch_vccnz .LBB321_25
; %bb.24:
	flat_load_dword v3, v[0:1]
	s_waitcnt vmcnt(0) lgkmcnt(0)
	v_fmac_f32_e32 v2, s10, v3
.LBB321_25:
	flat_store_dword v[0:1], v2
.LBB321_26:
	s_endpgm
	.section	.rodata,"a",@progbits
	.p2align	6, 0x0
	.amdhsa_kernel _ZL29rocblas_internal_gemmt_kernelIiLi16ELi32ELi8ELc67ELc78ELc76ELb0ELb0EffPKPKfPKPfEviT_T9_T10_S7_lS9_S7_lS8_T11_S7_li
		.amdhsa_group_segment_fixed_size 2048
		.amdhsa_private_segment_fixed_size 0
		.amdhsa_kernarg_size 100
		.amdhsa_user_sgpr_count 6
		.amdhsa_user_sgpr_private_segment_buffer 1
		.amdhsa_user_sgpr_dispatch_ptr 0
		.amdhsa_user_sgpr_queue_ptr 0
		.amdhsa_user_sgpr_kernarg_segment_ptr 1
		.amdhsa_user_sgpr_dispatch_id 0
		.amdhsa_user_sgpr_flat_scratch_init 0
		.amdhsa_user_sgpr_private_segment_size 0
		.amdhsa_wavefront_size32 1
		.amdhsa_uses_dynamic_stack 0
		.amdhsa_system_sgpr_private_segment_wavefront_offset 0
		.amdhsa_system_sgpr_workgroup_id_x 1
		.amdhsa_system_sgpr_workgroup_id_y 1
		.amdhsa_system_sgpr_workgroup_id_z 1
		.amdhsa_system_sgpr_workgroup_info 0
		.amdhsa_system_vgpr_workitem_id 1
		.amdhsa_next_free_vgpr 42
		.amdhsa_next_free_sgpr 24
		.amdhsa_reserve_vcc 1
		.amdhsa_reserve_flat_scratch 0
		.amdhsa_float_round_mode_32 0
		.amdhsa_float_round_mode_16_64 0
		.amdhsa_float_denorm_mode_32 3
		.amdhsa_float_denorm_mode_16_64 3
		.amdhsa_dx10_clamp 1
		.amdhsa_ieee_mode 1
		.amdhsa_fp16_overflow 0
		.amdhsa_workgroup_processor_mode 1
		.amdhsa_memory_ordered 1
		.amdhsa_forward_progress 1
		.amdhsa_shared_vgpr_count 0
		.amdhsa_exception_fp_ieee_invalid_op 0
		.amdhsa_exception_fp_denorm_src 0
		.amdhsa_exception_fp_ieee_div_zero 0
		.amdhsa_exception_fp_ieee_overflow 0
		.amdhsa_exception_fp_ieee_underflow 0
		.amdhsa_exception_fp_ieee_inexact 0
		.amdhsa_exception_int_div_zero 0
	.end_amdhsa_kernel
	.section	.text._ZL29rocblas_internal_gemmt_kernelIiLi16ELi32ELi8ELc67ELc78ELc76ELb0ELb0EffPKPKfPKPfEviT_T9_T10_S7_lS9_S7_lS8_T11_S7_li,"axG",@progbits,_ZL29rocblas_internal_gemmt_kernelIiLi16ELi32ELi8ELc67ELc78ELc76ELb0ELb0EffPKPKfPKPfEviT_T9_T10_S7_lS9_S7_lS8_T11_S7_li,comdat
.Lfunc_end321:
	.size	_ZL29rocblas_internal_gemmt_kernelIiLi16ELi32ELi8ELc67ELc78ELc76ELb0ELb0EffPKPKfPKPfEviT_T9_T10_S7_lS9_S7_lS8_T11_S7_li, .Lfunc_end321-_ZL29rocblas_internal_gemmt_kernelIiLi16ELi32ELi8ELc67ELc78ELc76ELb0ELb0EffPKPKfPKPfEviT_T9_T10_S7_lS9_S7_lS8_T11_S7_li
                                        ; -- End function
	.set _ZL29rocblas_internal_gemmt_kernelIiLi16ELi32ELi8ELc67ELc78ELc76ELb0ELb0EffPKPKfPKPfEviT_T9_T10_S7_lS9_S7_lS8_T11_S7_li.num_vgpr, 42
	.set _ZL29rocblas_internal_gemmt_kernelIiLi16ELi32ELi8ELc67ELc78ELc76ELb0ELb0EffPKPKfPKPfEviT_T9_T10_S7_lS9_S7_lS8_T11_S7_li.num_agpr, 0
	.set _ZL29rocblas_internal_gemmt_kernelIiLi16ELi32ELi8ELc67ELc78ELc76ELb0ELb0EffPKPKfPKPfEviT_T9_T10_S7_lS9_S7_lS8_T11_S7_li.numbered_sgpr, 24
	.set _ZL29rocblas_internal_gemmt_kernelIiLi16ELi32ELi8ELc67ELc78ELc76ELb0ELb0EffPKPKfPKPfEviT_T9_T10_S7_lS9_S7_lS8_T11_S7_li.num_named_barrier, 0
	.set _ZL29rocblas_internal_gemmt_kernelIiLi16ELi32ELi8ELc67ELc78ELc76ELb0ELb0EffPKPKfPKPfEviT_T9_T10_S7_lS9_S7_lS8_T11_S7_li.private_seg_size, 0
	.set _ZL29rocblas_internal_gemmt_kernelIiLi16ELi32ELi8ELc67ELc78ELc76ELb0ELb0EffPKPKfPKPfEviT_T9_T10_S7_lS9_S7_lS8_T11_S7_li.uses_vcc, 1
	.set _ZL29rocblas_internal_gemmt_kernelIiLi16ELi32ELi8ELc67ELc78ELc76ELb0ELb0EffPKPKfPKPfEviT_T9_T10_S7_lS9_S7_lS8_T11_S7_li.uses_flat_scratch, 0
	.set _ZL29rocblas_internal_gemmt_kernelIiLi16ELi32ELi8ELc67ELc78ELc76ELb0ELb0EffPKPKfPKPfEviT_T9_T10_S7_lS9_S7_lS8_T11_S7_li.has_dyn_sized_stack, 0
	.set _ZL29rocblas_internal_gemmt_kernelIiLi16ELi32ELi8ELc67ELc78ELc76ELb0ELb0EffPKPKfPKPfEviT_T9_T10_S7_lS9_S7_lS8_T11_S7_li.has_recursion, 0
	.set _ZL29rocblas_internal_gemmt_kernelIiLi16ELi32ELi8ELc67ELc78ELc76ELb0ELb0EffPKPKfPKPfEviT_T9_T10_S7_lS9_S7_lS8_T11_S7_li.has_indirect_call, 0
	.section	.AMDGPU.csdata,"",@progbits
; Kernel info:
; codeLenInByte = 1400
; TotalNumSgprs: 26
; NumVgprs: 42
; ScratchSize: 0
; MemoryBound: 0
; FloatMode: 240
; IeeeMode: 1
; LDSByteSize: 2048 bytes/workgroup (compile time only)
; SGPRBlocks: 0
; VGPRBlocks: 5
; NumSGPRsForWavesPerEU: 26
; NumVGPRsForWavesPerEU: 42
; Occupancy: 16
; WaveLimiterHint : 1
; COMPUTE_PGM_RSRC2:SCRATCH_EN: 0
; COMPUTE_PGM_RSRC2:USER_SGPR: 6
; COMPUTE_PGM_RSRC2:TRAP_HANDLER: 0
; COMPUTE_PGM_RSRC2:TGID_X_EN: 1
; COMPUTE_PGM_RSRC2:TGID_Y_EN: 1
; COMPUTE_PGM_RSRC2:TGID_Z_EN: 1
; COMPUTE_PGM_RSRC2:TIDIG_COMP_CNT: 1
	.section	.text._ZL29rocblas_internal_gemmt_kernelIiLi16ELi32ELi8ELc67ELc84ELc76ELb0ELb0EffPKPKfPKPfEviT_T9_T10_S7_lS9_S7_lS8_T11_S7_li,"axG",@progbits,_ZL29rocblas_internal_gemmt_kernelIiLi16ELi32ELi8ELc67ELc84ELc76ELb0ELb0EffPKPKfPKPfEviT_T9_T10_S7_lS9_S7_lS8_T11_S7_li,comdat
	.globl	_ZL29rocblas_internal_gemmt_kernelIiLi16ELi32ELi8ELc67ELc84ELc76ELb0ELb0EffPKPKfPKPfEviT_T9_T10_S7_lS9_S7_lS8_T11_S7_li ; -- Begin function _ZL29rocblas_internal_gemmt_kernelIiLi16ELi32ELi8ELc67ELc84ELc76ELb0ELb0EffPKPKfPKPfEviT_T9_T10_S7_lS9_S7_lS8_T11_S7_li
	.p2align	8
	.type	_ZL29rocblas_internal_gemmt_kernelIiLi16ELi32ELi8ELc67ELc84ELc76ELb0ELb0EffPKPKfPKPfEviT_T9_T10_S7_lS9_S7_lS8_T11_S7_li,@function
_ZL29rocblas_internal_gemmt_kernelIiLi16ELi32ELi8ELc67ELc84ELc76ELb0ELb0EffPKPKfPKPfEviT_T9_T10_S7_lS9_S7_lS8_T11_S7_li: ; @_ZL29rocblas_internal_gemmt_kernelIiLi16ELi32ELi8ELc67ELc84ELc76ELb0ELb0EffPKPKfPKPfEviT_T9_T10_S7_lS9_S7_lS8_T11_S7_li
; %bb.0:
	s_clause 0x1
	s_load_dword s10, s[4:5], 0x40
	s_load_dwordx4 s[12:15], s[4:5], 0x0
	s_waitcnt lgkmcnt(0)
	v_cmp_neq_f32_e64 s0, s10, 1.0
	s_and_b32 vcc_lo, exec_lo, s0
	s_cbranch_vccnz .LBB322_2
; %bb.1:
	v_cmp_neq_f32_e64 s0, s14, 0
	s_cmp_lg_u32 s13, 0
	s_cselect_b32 s1, -1, 0
	s_and_b32 s0, s1, s0
.LBB322_2:
	s_andn2_b32 vcc_lo, exec_lo, s0
	s_cbranch_vccnz .LBB322_26
; %bb.3:
	s_load_dwordx2 s[2:3], s[4:5], 0x48
	s_mov_b32 s9, 0
	v_mov_b32_e32 v11, 0
	s_lshl_b64 s[0:1], s[8:9], 3
	v_mov_b32_e32 v8, 0
	v_mov_b32_e32 v7, 0
	;; [unrolled: 1-line block ×3, first 2 shown]
	s_waitcnt lgkmcnt(0)
	s_add_u32 s2, s2, s0
	s_addc_u32 s3, s3, s1
	s_lshl_b32 s8, s6, 5
	s_load_dwordx2 s[2:3], s[2:3], 0x0
	s_lshl_b32 s11, s7, 5
	v_cmp_eq_f32_e64 s6, s14, 0
	s_cmp_lt_i32 s13, 1
	s_cselect_b32 s7, -1, 0
	s_or_b32 s6, s6, s7
	s_and_b32 vcc_lo, exec_lo, s6
	s_cbranch_vccnz .LBB322_10
; %bb.4:
	s_clause 0x4
	s_load_dword s6, s[4:5], 0x30
	s_load_dwordx4 s[16:19], s[4:5], 0x20
	s_load_dword s15, s[4:5], 0x18
	s_load_dwordx2 s[20:21], s[4:5], 0x10
	s_load_dwordx2 s[22:23], s[4:5], 0x38
	v_lshl_add_u32 v2, v1, 4, v0
	v_and_b32_e32 v9, 7, v0
	v_lshlrev_b32_e32 v14, 2, v0
	v_lshl_add_u32 v15, v1, 5, 0x400
	v_and_b32_e32 v3, 31, v2
	v_lshrrev_b32_e32 v4, 3, v2
	v_lshlrev_b32_e32 v5, 2, v9
	v_lshrrev_b32_e32 v10, 5, v2
	v_or_b32_e32 v6, s8, v3
	v_lshlrev_b32_e32 v7, 2, v3
	v_add_nc_u32_e32 v3, s8, v3
	v_add_nc_u32_e32 v2, s11, v4
	v_lshl_or_b32 v8, v4, 5, v5
	s_waitcnt lgkmcnt(0)
	s_ashr_i32 s7, s6, 31
	s_add_u32 s18, s18, s0
	v_mad_i64_i32 v[4:5], null, s15, v3, 0
	s_addc_u32 s19, s19, s1
	v_cmp_gt_i32_e32 vcc_lo, s12, v6
	v_lshl_or_b32 v12, v10, 7, v7
	s_add_u32 s0, s20, s0
	v_mad_i64_i32 v[6:7], null, s6, v9, 0
	s_addc_u32 s1, s21, s1
	s_load_dwordx2 s[18:19], s[18:19], 0x0
	s_load_dwordx2 s[20:21], s[0:1], 0x0
	v_lshlrev_b64 v[4:5], 2, v[4:5]
	v_add_nc_u32_e32 v13, 0x400, v8
	v_ashrrev_i32_e32 v3, 31, v2
	s_lshl_b64 s[16:17], s[16:17], 2
	v_lshlrev_b64 v[7:8], 2, v[6:7]
	v_lshlrev_b32_e32 v11, 2, v10
	v_add_co_u32 v4, s1, v4, s16
	v_add_co_ci_u32_e64 v5, null, s17, v5, s1
	s_lshl_b64 s[16:17], s[22:23], 2
	v_cmp_gt_i32_e64 s0, s12, v2
	v_lshlrev_b64 v[2:3], 2, v[2:3]
	v_add_co_u32 v7, s1, v7, s16
	v_add_co_ci_u32_e64 v8, null, s17, v8, s1
	v_add_co_u32 v4, s1, v4, v11
	v_add_co_ci_u32_e64 v5, null, 0, v5, s1
	;; [unrolled: 2-line block ×3, first 2 shown]
	s_waitcnt lgkmcnt(0)
	v_add_co_u32 v2, s1, s20, v4
	v_add_co_ci_u32_e64 v3, null, s21, v5, s1
	v_add_co_u32 v4, s1, s18, v7
	v_mov_b32_e32 v6, 0
	v_add_co_ci_u32_e64 v5, null, s19, v8, s1
	v_mov_b32_e32 v7, 0
	v_mov_b32_e32 v8, 0
	;; [unrolled: 1-line block ×3, first 2 shown]
	s_lshl_b64 s[6:7], s[6:7], 5
	s_branch .LBB322_6
.LBB322_5:                              ;   in Loop: Header=BB322_6 Depth=1
	s_or_b32 exec_lo, exec_lo, s1
	s_waitcnt vmcnt(0) lgkmcnt(0)
	ds_write_b32 v13, v17
	s_waitcnt lgkmcnt(0)
	s_barrier
	buffer_gl0_inv
	ds_read_b128 v[16:19], v15
	ds_read2_b32 v[32:33], v14 offset1:16
	ds_read_b128 v[20:23], v15 offset:512
	ds_read2_b32 v[34:35], v14 offset0:32 offset1:48
	ds_read2_b32 v[36:37], v14 offset0:64 offset1:80
	;; [unrolled: 1-line block ×3, first 2 shown]
	ds_read_b128 v[24:27], v15 offset:16
	ds_read2_b32 v[40:41], v14 offset0:128 offset1:144
	ds_read_b128 v[28:31], v15 offset:528
	v_add_co_u32 v2, s1, v2, 32
	v_add_co_ci_u32_e64 v3, null, 0, v3, s1
	v_add_co_u32 v4, s1, v4, s6
	v_add_co_ci_u32_e64 v5, null, s7, v5, s1
	s_add_i32 s9, s9, 8
	s_cmp_lt_i32 s9, s13
	s_waitcnt lgkmcnt(7)
	v_fmac_f32_e32 v11, v32, v16
	v_fmac_f32_e32 v8, v33, v16
	s_waitcnt lgkmcnt(6)
	v_fmac_f32_e32 v7, v32, v20
	v_fmac_f32_e32 v6, v33, v20
	ds_read2_b32 v[32:33], v14 offset0:160 offset1:176
	s_waitcnt lgkmcnt(6)
	v_fmac_f32_e32 v11, v34, v17
	v_fmac_f32_e32 v8, v35, v17
	v_fmac_f32_e32 v7, v34, v21
	v_fmac_f32_e32 v6, v35, v21
	ds_read2_b32 v[16:17], v14 offset0:192 offset1:208
	s_waitcnt lgkmcnt(6)
	v_fmac_f32_e32 v11, v36, v18
	v_fmac_f32_e32 v8, v37, v18
	;; [unrolled: 6-line block ×3, first 2 shown]
	v_fmac_f32_e32 v7, v38, v23
	v_fmac_f32_e32 v6, v39, v23
	s_waitcnt lgkmcnt(0)
	v_fmac_f32_e32 v11, v40, v24
	v_fmac_f32_e32 v8, v41, v24
	;; [unrolled: 1-line block ×4, first 2 shown]
	s_barrier
	v_fmac_f32_e32 v11, v32, v25
	v_fmac_f32_e32 v8, v33, v25
	;; [unrolled: 1-line block ×4, first 2 shown]
	buffer_gl0_inv
	v_fmac_f32_e32 v11, v16, v26
	v_fmac_f32_e32 v8, v17, v26
	;; [unrolled: 1-line block ×8, first 2 shown]
	s_cbranch_scc0 .LBB322_10
.LBB322_6:                              ; =>This Inner Loop Header: Depth=1
	v_add_nc_u32_e32 v16, s9, v10
	v_cmp_gt_i32_e64 s1, s13, v16
	v_mov_b32_e32 v16, 0
	s_and_b32 s15, vcc_lo, s1
	s_and_saveexec_b32 s1, s15
	s_cbranch_execz .LBB322_8
; %bb.7:                                ;   in Loop: Header=BB322_6 Depth=1
	flat_load_dword v16, v[2:3]
.LBB322_8:                              ;   in Loop: Header=BB322_6 Depth=1
	s_or_b32 exec_lo, exec_lo, s1
	v_add_nc_u32_e32 v17, s9, v9
	s_waitcnt vmcnt(0) lgkmcnt(0)
	ds_write_b32 v12, v16
	v_cmp_gt_i32_e64 s1, s13, v17
	v_mov_b32_e32 v17, 0
	s_and_b32 s15, s1, s0
	s_and_saveexec_b32 s1, s15
	s_cbranch_execz .LBB322_5
; %bb.9:                                ;   in Loop: Header=BB322_6 Depth=1
	flat_load_dword v17, v[4:5]
	s_branch .LBB322_5
.LBB322_10:
	s_clause 0x1
	s_load_dword s6, s[4:5], 0x50
	s_load_dwordx2 s[4:5], s[4:5], 0x58
	v_add_nc_u32_e32 v10, s11, v1
	v_add_nc_u32_e32 v0, s8, v0
	v_cmp_le_i32_e32 vcc_lo, v10, v0
	v_cmp_gt_i32_e64 s0, s12, v0
	s_waitcnt lgkmcnt(0)
	v_mad_i64_i32 v[1:2], null, v10, s6, 0
	s_lshl_b64 s[4:5], s[4:5], 2
	s_add_u32 s4, s2, s4
	v_cmp_neq_f32_e64 s2, s10, 0
	s_addc_u32 s3, s3, s5
	s_and_b32 s5, vcc_lo, s0
	v_lshlrev_b64 v[2:3], 2, v[1:2]
	v_ashrrev_i32_e32 v1, 31, v0
	v_cndmask_b32_e64 v9, 0, 1, s2
	v_add_co_u32 v4, s1, s4, v2
	v_add_co_ci_u32_e64 v5, null, s3, v3, s1
	s_and_saveexec_b32 s1, s5
	s_cbranch_execz .LBB322_14
; %bb.11:
	v_lshlrev_b64 v[2:3], 2, v[0:1]
	v_mul_f32_e32 v11, s14, v11
	v_add_co_u32 v2, vcc_lo, v4, v2
	v_add_co_ci_u32_e64 v3, null, v5, v3, vcc_lo
	s_andn2_b32 vcc_lo, exec_lo, s2
	s_cbranch_vccnz .LBB322_13
; %bb.12:
	flat_load_dword v12, v[2:3]
	s_waitcnt vmcnt(0) lgkmcnt(0)
	v_fmac_f32_e32 v11, s10, v12
.LBB322_13:
	flat_store_dword v[2:3], v11
.LBB322_14:
	s_or_b32 exec_lo, exec_lo, s1
	v_add_nc_u32_e32 v2, 16, v0
	v_cmp_le_i32_e32 vcc_lo, v10, v2
	v_cmp_gt_i32_e64 s1, s12, v2
	v_ashrrev_i32_e32 v3, 31, v2
	s_and_b32 s2, vcc_lo, s1
	s_and_saveexec_b32 s5, s2
	s_cbranch_execz .LBB322_18
; %bb.15:
	v_lshlrev_b64 v[11:12], 2, v[2:3]
	v_cmp_ne_u32_e32 vcc_lo, 1, v9
	v_mul_f32_e32 v8, s14, v8
	v_add_co_u32 v4, s2, v4, v11
	v_add_co_ci_u32_e64 v5, null, v5, v12, s2
	s_cbranch_vccnz .LBB322_17
; %bb.16:
	flat_load_dword v11, v[4:5]
	s_waitcnt vmcnt(0) lgkmcnt(0)
	v_fmac_f32_e32 v8, s10, v11
.LBB322_17:
	flat_store_dword v[4:5], v8
.LBB322_18:
	s_or_b32 exec_lo, exec_lo, s5
	v_add_nc_u32_e32 v8, 16, v10
	v_mad_i64_i32 v[4:5], null, v8, s6, 0
	v_cmp_le_i32_e32 vcc_lo, v8, v0
	s_and_b32 s0, vcc_lo, s0
	v_lshlrev_b64 v[4:5], 2, v[4:5]
	v_add_co_u32 v4, s2, s4, v4
	v_add_co_ci_u32_e64 v5, null, s3, v5, s2
	s_and_saveexec_b32 s2, s0
	s_cbranch_execz .LBB322_22
; %bb.19:
	v_lshlrev_b64 v[0:1], 2, v[0:1]
	v_cmp_ne_u32_e32 vcc_lo, 1, v9
	v_mul_f32_e32 v7, s14, v7
	v_add_co_u32 v0, s0, v4, v0
	v_add_co_ci_u32_e64 v1, null, v5, v1, s0
	s_cbranch_vccnz .LBB322_21
; %bb.20:
	flat_load_dword v10, v[0:1]
	s_waitcnt vmcnt(0) lgkmcnt(0)
	v_fmac_f32_e32 v7, s10, v10
.LBB322_21:
	flat_store_dword v[0:1], v7
.LBB322_22:
	s_or_b32 exec_lo, exec_lo, s2
	v_cmp_le_i32_e32 vcc_lo, v8, v2
	s_and_b32 s0, vcc_lo, s1
	s_and_saveexec_b32 s1, s0
	s_cbranch_execz .LBB322_26
; %bb.23:
	v_lshlrev_b64 v[0:1], 2, v[2:3]
	v_cmp_ne_u32_e32 vcc_lo, 1, v9
	v_mul_f32_e32 v2, s14, v6
	v_add_co_u32 v0, s0, v4, v0
	v_add_co_ci_u32_e64 v1, null, v5, v1, s0
	s_cbranch_vccnz .LBB322_25
; %bb.24:
	flat_load_dword v3, v[0:1]
	s_waitcnt vmcnt(0) lgkmcnt(0)
	v_fmac_f32_e32 v2, s10, v3
.LBB322_25:
	flat_store_dword v[0:1], v2
.LBB322_26:
	s_endpgm
	.section	.rodata,"a",@progbits
	.p2align	6, 0x0
	.amdhsa_kernel _ZL29rocblas_internal_gemmt_kernelIiLi16ELi32ELi8ELc67ELc84ELc76ELb0ELb0EffPKPKfPKPfEviT_T9_T10_S7_lS9_S7_lS8_T11_S7_li
		.amdhsa_group_segment_fixed_size 2048
		.amdhsa_private_segment_fixed_size 0
		.amdhsa_kernarg_size 100
		.amdhsa_user_sgpr_count 6
		.amdhsa_user_sgpr_private_segment_buffer 1
		.amdhsa_user_sgpr_dispatch_ptr 0
		.amdhsa_user_sgpr_queue_ptr 0
		.amdhsa_user_sgpr_kernarg_segment_ptr 1
		.amdhsa_user_sgpr_dispatch_id 0
		.amdhsa_user_sgpr_flat_scratch_init 0
		.amdhsa_user_sgpr_private_segment_size 0
		.amdhsa_wavefront_size32 1
		.amdhsa_uses_dynamic_stack 0
		.amdhsa_system_sgpr_private_segment_wavefront_offset 0
		.amdhsa_system_sgpr_workgroup_id_x 1
		.amdhsa_system_sgpr_workgroup_id_y 1
		.amdhsa_system_sgpr_workgroup_id_z 1
		.amdhsa_system_sgpr_workgroup_info 0
		.amdhsa_system_vgpr_workitem_id 1
		.amdhsa_next_free_vgpr 42
		.amdhsa_next_free_sgpr 24
		.amdhsa_reserve_vcc 1
		.amdhsa_reserve_flat_scratch 0
		.amdhsa_float_round_mode_32 0
		.amdhsa_float_round_mode_16_64 0
		.amdhsa_float_denorm_mode_32 3
		.amdhsa_float_denorm_mode_16_64 3
		.amdhsa_dx10_clamp 1
		.amdhsa_ieee_mode 1
		.amdhsa_fp16_overflow 0
		.amdhsa_workgroup_processor_mode 1
		.amdhsa_memory_ordered 1
		.amdhsa_forward_progress 1
		.amdhsa_shared_vgpr_count 0
		.amdhsa_exception_fp_ieee_invalid_op 0
		.amdhsa_exception_fp_denorm_src 0
		.amdhsa_exception_fp_ieee_div_zero 0
		.amdhsa_exception_fp_ieee_overflow 0
		.amdhsa_exception_fp_ieee_underflow 0
		.amdhsa_exception_fp_ieee_inexact 0
		.amdhsa_exception_int_div_zero 0
	.end_amdhsa_kernel
	.section	.text._ZL29rocblas_internal_gemmt_kernelIiLi16ELi32ELi8ELc67ELc84ELc76ELb0ELb0EffPKPKfPKPfEviT_T9_T10_S7_lS9_S7_lS8_T11_S7_li,"axG",@progbits,_ZL29rocblas_internal_gemmt_kernelIiLi16ELi32ELi8ELc67ELc84ELc76ELb0ELb0EffPKPKfPKPfEviT_T9_T10_S7_lS9_S7_lS8_T11_S7_li,comdat
.Lfunc_end322:
	.size	_ZL29rocblas_internal_gemmt_kernelIiLi16ELi32ELi8ELc67ELc84ELc76ELb0ELb0EffPKPKfPKPfEviT_T9_T10_S7_lS9_S7_lS8_T11_S7_li, .Lfunc_end322-_ZL29rocblas_internal_gemmt_kernelIiLi16ELi32ELi8ELc67ELc84ELc76ELb0ELb0EffPKPKfPKPfEviT_T9_T10_S7_lS9_S7_lS8_T11_S7_li
                                        ; -- End function
	.set _ZL29rocblas_internal_gemmt_kernelIiLi16ELi32ELi8ELc67ELc84ELc76ELb0ELb0EffPKPKfPKPfEviT_T9_T10_S7_lS9_S7_lS8_T11_S7_li.num_vgpr, 42
	.set _ZL29rocblas_internal_gemmt_kernelIiLi16ELi32ELi8ELc67ELc84ELc76ELb0ELb0EffPKPKfPKPfEviT_T9_T10_S7_lS9_S7_lS8_T11_S7_li.num_agpr, 0
	.set _ZL29rocblas_internal_gemmt_kernelIiLi16ELi32ELi8ELc67ELc84ELc76ELb0ELb0EffPKPKfPKPfEviT_T9_T10_S7_lS9_S7_lS8_T11_S7_li.numbered_sgpr, 24
	.set _ZL29rocblas_internal_gemmt_kernelIiLi16ELi32ELi8ELc67ELc84ELc76ELb0ELb0EffPKPKfPKPfEviT_T9_T10_S7_lS9_S7_lS8_T11_S7_li.num_named_barrier, 0
	.set _ZL29rocblas_internal_gemmt_kernelIiLi16ELi32ELi8ELc67ELc84ELc76ELb0ELb0EffPKPKfPKPfEviT_T9_T10_S7_lS9_S7_lS8_T11_S7_li.private_seg_size, 0
	.set _ZL29rocblas_internal_gemmt_kernelIiLi16ELi32ELi8ELc67ELc84ELc76ELb0ELb0EffPKPKfPKPfEviT_T9_T10_S7_lS9_S7_lS8_T11_S7_li.uses_vcc, 1
	.set _ZL29rocblas_internal_gemmt_kernelIiLi16ELi32ELi8ELc67ELc84ELc76ELb0ELb0EffPKPKfPKPfEviT_T9_T10_S7_lS9_S7_lS8_T11_S7_li.uses_flat_scratch, 0
	.set _ZL29rocblas_internal_gemmt_kernelIiLi16ELi32ELi8ELc67ELc84ELc76ELb0ELb0EffPKPKfPKPfEviT_T9_T10_S7_lS9_S7_lS8_T11_S7_li.has_dyn_sized_stack, 0
	.set _ZL29rocblas_internal_gemmt_kernelIiLi16ELi32ELi8ELc67ELc84ELc76ELb0ELb0EffPKPKfPKPfEviT_T9_T10_S7_lS9_S7_lS8_T11_S7_li.has_recursion, 0
	.set _ZL29rocblas_internal_gemmt_kernelIiLi16ELi32ELi8ELc67ELc84ELc76ELb0ELb0EffPKPKfPKPfEviT_T9_T10_S7_lS9_S7_lS8_T11_S7_li.has_indirect_call, 0
	.section	.AMDGPU.csdata,"",@progbits
; Kernel info:
; codeLenInByte = 1420
; TotalNumSgprs: 26
; NumVgprs: 42
; ScratchSize: 0
; MemoryBound: 0
; FloatMode: 240
; IeeeMode: 1
; LDSByteSize: 2048 bytes/workgroup (compile time only)
; SGPRBlocks: 0
; VGPRBlocks: 5
; NumSGPRsForWavesPerEU: 26
; NumVGPRsForWavesPerEU: 42
; Occupancy: 16
; WaveLimiterHint : 1
; COMPUTE_PGM_RSRC2:SCRATCH_EN: 0
; COMPUTE_PGM_RSRC2:USER_SGPR: 6
; COMPUTE_PGM_RSRC2:TRAP_HANDLER: 0
; COMPUTE_PGM_RSRC2:TGID_X_EN: 1
; COMPUTE_PGM_RSRC2:TGID_Y_EN: 1
; COMPUTE_PGM_RSRC2:TGID_Z_EN: 1
; COMPUTE_PGM_RSRC2:TIDIG_COMP_CNT: 1
	.section	.text._ZL29rocblas_internal_gemmt_kernelIiLi16ELi32ELi8ELc67ELc67ELc76ELb0ELb0EffPKPKfPKPfEviT_T9_T10_S7_lS9_S7_lS8_T11_S7_li,"axG",@progbits,_ZL29rocblas_internal_gemmt_kernelIiLi16ELi32ELi8ELc67ELc67ELc76ELb0ELb0EffPKPKfPKPfEviT_T9_T10_S7_lS9_S7_lS8_T11_S7_li,comdat
	.globl	_ZL29rocblas_internal_gemmt_kernelIiLi16ELi32ELi8ELc67ELc67ELc76ELb0ELb0EffPKPKfPKPfEviT_T9_T10_S7_lS9_S7_lS8_T11_S7_li ; -- Begin function _ZL29rocblas_internal_gemmt_kernelIiLi16ELi32ELi8ELc67ELc67ELc76ELb0ELb0EffPKPKfPKPfEviT_T9_T10_S7_lS9_S7_lS8_T11_S7_li
	.p2align	8
	.type	_ZL29rocblas_internal_gemmt_kernelIiLi16ELi32ELi8ELc67ELc67ELc76ELb0ELb0EffPKPKfPKPfEviT_T9_T10_S7_lS9_S7_lS8_T11_S7_li,@function
_ZL29rocblas_internal_gemmt_kernelIiLi16ELi32ELi8ELc67ELc67ELc76ELb0ELb0EffPKPKfPKPfEviT_T9_T10_S7_lS9_S7_lS8_T11_S7_li: ; @_ZL29rocblas_internal_gemmt_kernelIiLi16ELi32ELi8ELc67ELc67ELc76ELb0ELb0EffPKPKfPKPfEviT_T9_T10_S7_lS9_S7_lS8_T11_S7_li
; %bb.0:
	s_clause 0x1
	s_load_dword s10, s[4:5], 0x40
	s_load_dwordx4 s[12:15], s[4:5], 0x0
	s_waitcnt lgkmcnt(0)
	v_cmp_neq_f32_e64 s0, s10, 1.0
	s_and_b32 vcc_lo, exec_lo, s0
	s_cbranch_vccnz .LBB323_2
; %bb.1:
	v_cmp_neq_f32_e64 s0, s14, 0
	s_cmp_lg_u32 s13, 0
	s_cselect_b32 s1, -1, 0
	s_and_b32 s0, s1, s0
.LBB323_2:
	s_andn2_b32 vcc_lo, exec_lo, s0
	s_cbranch_vccnz .LBB323_26
; %bb.3:
	s_load_dwordx2 s[2:3], s[4:5], 0x48
	s_mov_b32 s9, 0
	v_mov_b32_e32 v11, 0
	s_lshl_b64 s[0:1], s[8:9], 3
	v_mov_b32_e32 v8, 0
	v_mov_b32_e32 v7, 0
	;; [unrolled: 1-line block ×3, first 2 shown]
	s_waitcnt lgkmcnt(0)
	s_add_u32 s2, s2, s0
	s_addc_u32 s3, s3, s1
	s_lshl_b32 s8, s6, 5
	s_load_dwordx2 s[2:3], s[2:3], 0x0
	s_lshl_b32 s11, s7, 5
	v_cmp_eq_f32_e64 s6, s14, 0
	s_cmp_lt_i32 s13, 1
	s_cselect_b32 s7, -1, 0
	s_or_b32 s6, s6, s7
	s_and_b32 vcc_lo, exec_lo, s6
	s_cbranch_vccnz .LBB323_10
; %bb.4:
	s_clause 0x4
	s_load_dword s6, s[4:5], 0x30
	s_load_dwordx4 s[16:19], s[4:5], 0x20
	s_load_dword s15, s[4:5], 0x18
	s_load_dwordx2 s[20:21], s[4:5], 0x10
	s_load_dwordx2 s[22:23], s[4:5], 0x38
	v_lshl_add_u32 v2, v1, 4, v0
	v_and_b32_e32 v9, 7, v0
	v_lshlrev_b32_e32 v14, 2, v0
	v_lshl_add_u32 v15, v1, 5, 0x400
	v_and_b32_e32 v3, 31, v2
	v_lshrrev_b32_e32 v4, 3, v2
	v_lshlrev_b32_e32 v5, 2, v9
	v_lshrrev_b32_e32 v10, 5, v2
	v_or_b32_e32 v6, s8, v3
	v_lshlrev_b32_e32 v7, 2, v3
	v_add_nc_u32_e32 v3, s8, v3
	v_add_nc_u32_e32 v2, s11, v4
	v_lshl_or_b32 v8, v4, 5, v5
	s_waitcnt lgkmcnt(0)
	s_ashr_i32 s7, s6, 31
	s_add_u32 s18, s18, s0
	v_mad_i64_i32 v[4:5], null, s15, v3, 0
	s_addc_u32 s19, s19, s1
	v_cmp_gt_i32_e32 vcc_lo, s12, v6
	v_lshl_or_b32 v12, v10, 7, v7
	s_add_u32 s0, s20, s0
	v_mad_i64_i32 v[6:7], null, s6, v9, 0
	s_addc_u32 s1, s21, s1
	s_load_dwordx2 s[18:19], s[18:19], 0x0
	s_load_dwordx2 s[20:21], s[0:1], 0x0
	v_lshlrev_b64 v[4:5], 2, v[4:5]
	v_add_nc_u32_e32 v13, 0x400, v8
	v_ashrrev_i32_e32 v3, 31, v2
	s_lshl_b64 s[16:17], s[16:17], 2
	v_lshlrev_b64 v[7:8], 2, v[6:7]
	v_lshlrev_b32_e32 v11, 2, v10
	v_add_co_u32 v4, s1, v4, s16
	v_add_co_ci_u32_e64 v5, null, s17, v5, s1
	s_lshl_b64 s[16:17], s[22:23], 2
	v_cmp_gt_i32_e64 s0, s12, v2
	v_lshlrev_b64 v[2:3], 2, v[2:3]
	v_add_co_u32 v7, s1, v7, s16
	v_add_co_ci_u32_e64 v8, null, s17, v8, s1
	v_add_co_u32 v4, s1, v4, v11
	v_add_co_ci_u32_e64 v5, null, 0, v5, s1
	;; [unrolled: 2-line block ×3, first 2 shown]
	s_waitcnt lgkmcnt(0)
	v_add_co_u32 v2, s1, s20, v4
	v_add_co_ci_u32_e64 v3, null, s21, v5, s1
	v_add_co_u32 v4, s1, s18, v7
	v_mov_b32_e32 v6, 0
	v_add_co_ci_u32_e64 v5, null, s19, v8, s1
	v_mov_b32_e32 v7, 0
	v_mov_b32_e32 v8, 0
	;; [unrolled: 1-line block ×3, first 2 shown]
	s_lshl_b64 s[6:7], s[6:7], 5
	s_branch .LBB323_6
.LBB323_5:                              ;   in Loop: Header=BB323_6 Depth=1
	s_or_b32 exec_lo, exec_lo, s1
	s_waitcnt vmcnt(0) lgkmcnt(0)
	ds_write_b32 v13, v17
	s_waitcnt lgkmcnt(0)
	s_barrier
	buffer_gl0_inv
	ds_read_b128 v[16:19], v15
	ds_read2_b32 v[32:33], v14 offset1:16
	ds_read_b128 v[20:23], v15 offset:512
	ds_read2_b32 v[34:35], v14 offset0:32 offset1:48
	ds_read2_b32 v[36:37], v14 offset0:64 offset1:80
	;; [unrolled: 1-line block ×3, first 2 shown]
	ds_read_b128 v[24:27], v15 offset:16
	ds_read2_b32 v[40:41], v14 offset0:128 offset1:144
	ds_read_b128 v[28:31], v15 offset:528
	v_add_co_u32 v2, s1, v2, 32
	v_add_co_ci_u32_e64 v3, null, 0, v3, s1
	v_add_co_u32 v4, s1, v4, s6
	v_add_co_ci_u32_e64 v5, null, s7, v5, s1
	s_add_i32 s9, s9, 8
	s_cmp_lt_i32 s9, s13
	s_waitcnt lgkmcnt(7)
	v_fmac_f32_e32 v11, v32, v16
	v_fmac_f32_e32 v8, v33, v16
	s_waitcnt lgkmcnt(6)
	v_fmac_f32_e32 v7, v32, v20
	v_fmac_f32_e32 v6, v33, v20
	ds_read2_b32 v[32:33], v14 offset0:160 offset1:176
	s_waitcnt lgkmcnt(6)
	v_fmac_f32_e32 v11, v34, v17
	v_fmac_f32_e32 v8, v35, v17
	v_fmac_f32_e32 v7, v34, v21
	v_fmac_f32_e32 v6, v35, v21
	ds_read2_b32 v[16:17], v14 offset0:192 offset1:208
	s_waitcnt lgkmcnt(6)
	v_fmac_f32_e32 v11, v36, v18
	v_fmac_f32_e32 v8, v37, v18
	;; [unrolled: 6-line block ×3, first 2 shown]
	v_fmac_f32_e32 v7, v38, v23
	v_fmac_f32_e32 v6, v39, v23
	s_waitcnt lgkmcnt(0)
	v_fmac_f32_e32 v11, v40, v24
	v_fmac_f32_e32 v8, v41, v24
	;; [unrolled: 1-line block ×4, first 2 shown]
	s_barrier
	v_fmac_f32_e32 v11, v32, v25
	v_fmac_f32_e32 v8, v33, v25
	;; [unrolled: 1-line block ×4, first 2 shown]
	buffer_gl0_inv
	v_fmac_f32_e32 v11, v16, v26
	v_fmac_f32_e32 v8, v17, v26
	;; [unrolled: 1-line block ×8, first 2 shown]
	s_cbranch_scc0 .LBB323_10
.LBB323_6:                              ; =>This Inner Loop Header: Depth=1
	v_add_nc_u32_e32 v16, s9, v10
	v_cmp_gt_i32_e64 s1, s13, v16
	v_mov_b32_e32 v16, 0
	s_and_b32 s15, vcc_lo, s1
	s_and_saveexec_b32 s1, s15
	s_cbranch_execz .LBB323_8
; %bb.7:                                ;   in Loop: Header=BB323_6 Depth=1
	flat_load_dword v16, v[2:3]
.LBB323_8:                              ;   in Loop: Header=BB323_6 Depth=1
	s_or_b32 exec_lo, exec_lo, s1
	v_add_nc_u32_e32 v17, s9, v9
	s_waitcnt vmcnt(0) lgkmcnt(0)
	ds_write_b32 v12, v16
	v_cmp_gt_i32_e64 s1, s13, v17
	v_mov_b32_e32 v17, 0
	s_and_b32 s15, s1, s0
	s_and_saveexec_b32 s1, s15
	s_cbranch_execz .LBB323_5
; %bb.9:                                ;   in Loop: Header=BB323_6 Depth=1
	flat_load_dword v17, v[4:5]
	s_branch .LBB323_5
.LBB323_10:
	s_clause 0x1
	s_load_dword s6, s[4:5], 0x50
	s_load_dwordx2 s[4:5], s[4:5], 0x58
	v_add_nc_u32_e32 v10, s11, v1
	v_add_nc_u32_e32 v0, s8, v0
	v_cmp_le_i32_e32 vcc_lo, v10, v0
	v_cmp_gt_i32_e64 s0, s12, v0
	s_waitcnt lgkmcnt(0)
	v_mad_i64_i32 v[1:2], null, v10, s6, 0
	s_lshl_b64 s[4:5], s[4:5], 2
	s_add_u32 s4, s2, s4
	v_cmp_neq_f32_e64 s2, s10, 0
	s_addc_u32 s3, s3, s5
	s_and_b32 s5, vcc_lo, s0
	v_lshlrev_b64 v[2:3], 2, v[1:2]
	v_ashrrev_i32_e32 v1, 31, v0
	v_cndmask_b32_e64 v9, 0, 1, s2
	v_add_co_u32 v4, s1, s4, v2
	v_add_co_ci_u32_e64 v5, null, s3, v3, s1
	s_and_saveexec_b32 s1, s5
	s_cbranch_execz .LBB323_14
; %bb.11:
	v_lshlrev_b64 v[2:3], 2, v[0:1]
	v_mul_f32_e32 v11, s14, v11
	v_add_co_u32 v2, vcc_lo, v4, v2
	v_add_co_ci_u32_e64 v3, null, v5, v3, vcc_lo
	s_andn2_b32 vcc_lo, exec_lo, s2
	s_cbranch_vccnz .LBB323_13
; %bb.12:
	flat_load_dword v12, v[2:3]
	s_waitcnt vmcnt(0) lgkmcnt(0)
	v_fmac_f32_e32 v11, s10, v12
.LBB323_13:
	flat_store_dword v[2:3], v11
.LBB323_14:
	s_or_b32 exec_lo, exec_lo, s1
	v_add_nc_u32_e32 v2, 16, v0
	v_cmp_le_i32_e32 vcc_lo, v10, v2
	v_cmp_gt_i32_e64 s1, s12, v2
	v_ashrrev_i32_e32 v3, 31, v2
	s_and_b32 s2, vcc_lo, s1
	s_and_saveexec_b32 s5, s2
	s_cbranch_execz .LBB323_18
; %bb.15:
	v_lshlrev_b64 v[11:12], 2, v[2:3]
	v_cmp_ne_u32_e32 vcc_lo, 1, v9
	v_mul_f32_e32 v8, s14, v8
	v_add_co_u32 v4, s2, v4, v11
	v_add_co_ci_u32_e64 v5, null, v5, v12, s2
	s_cbranch_vccnz .LBB323_17
; %bb.16:
	flat_load_dword v11, v[4:5]
	s_waitcnt vmcnt(0) lgkmcnt(0)
	v_fmac_f32_e32 v8, s10, v11
.LBB323_17:
	flat_store_dword v[4:5], v8
.LBB323_18:
	s_or_b32 exec_lo, exec_lo, s5
	v_add_nc_u32_e32 v8, 16, v10
	v_mad_i64_i32 v[4:5], null, v8, s6, 0
	v_cmp_le_i32_e32 vcc_lo, v8, v0
	s_and_b32 s0, vcc_lo, s0
	v_lshlrev_b64 v[4:5], 2, v[4:5]
	v_add_co_u32 v4, s2, s4, v4
	v_add_co_ci_u32_e64 v5, null, s3, v5, s2
	s_and_saveexec_b32 s2, s0
	s_cbranch_execz .LBB323_22
; %bb.19:
	v_lshlrev_b64 v[0:1], 2, v[0:1]
	v_cmp_ne_u32_e32 vcc_lo, 1, v9
	v_mul_f32_e32 v7, s14, v7
	v_add_co_u32 v0, s0, v4, v0
	v_add_co_ci_u32_e64 v1, null, v5, v1, s0
	s_cbranch_vccnz .LBB323_21
; %bb.20:
	flat_load_dword v10, v[0:1]
	s_waitcnt vmcnt(0) lgkmcnt(0)
	v_fmac_f32_e32 v7, s10, v10
.LBB323_21:
	flat_store_dword v[0:1], v7
.LBB323_22:
	s_or_b32 exec_lo, exec_lo, s2
	v_cmp_le_i32_e32 vcc_lo, v8, v2
	s_and_b32 s0, vcc_lo, s1
	s_and_saveexec_b32 s1, s0
	s_cbranch_execz .LBB323_26
; %bb.23:
	v_lshlrev_b64 v[0:1], 2, v[2:3]
	v_cmp_ne_u32_e32 vcc_lo, 1, v9
	v_mul_f32_e32 v2, s14, v6
	v_add_co_u32 v0, s0, v4, v0
	v_add_co_ci_u32_e64 v1, null, v5, v1, s0
	s_cbranch_vccnz .LBB323_25
; %bb.24:
	flat_load_dword v3, v[0:1]
	s_waitcnt vmcnt(0) lgkmcnt(0)
	v_fmac_f32_e32 v2, s10, v3
.LBB323_25:
	flat_store_dword v[0:1], v2
.LBB323_26:
	s_endpgm
	.section	.rodata,"a",@progbits
	.p2align	6, 0x0
	.amdhsa_kernel _ZL29rocblas_internal_gemmt_kernelIiLi16ELi32ELi8ELc67ELc67ELc76ELb0ELb0EffPKPKfPKPfEviT_T9_T10_S7_lS9_S7_lS8_T11_S7_li
		.amdhsa_group_segment_fixed_size 2048
		.amdhsa_private_segment_fixed_size 0
		.amdhsa_kernarg_size 100
		.amdhsa_user_sgpr_count 6
		.amdhsa_user_sgpr_private_segment_buffer 1
		.amdhsa_user_sgpr_dispatch_ptr 0
		.amdhsa_user_sgpr_queue_ptr 0
		.amdhsa_user_sgpr_kernarg_segment_ptr 1
		.amdhsa_user_sgpr_dispatch_id 0
		.amdhsa_user_sgpr_flat_scratch_init 0
		.amdhsa_user_sgpr_private_segment_size 0
		.amdhsa_wavefront_size32 1
		.amdhsa_uses_dynamic_stack 0
		.amdhsa_system_sgpr_private_segment_wavefront_offset 0
		.amdhsa_system_sgpr_workgroup_id_x 1
		.amdhsa_system_sgpr_workgroup_id_y 1
		.amdhsa_system_sgpr_workgroup_id_z 1
		.amdhsa_system_sgpr_workgroup_info 0
		.amdhsa_system_vgpr_workitem_id 1
		.amdhsa_next_free_vgpr 42
		.amdhsa_next_free_sgpr 24
		.amdhsa_reserve_vcc 1
		.amdhsa_reserve_flat_scratch 0
		.amdhsa_float_round_mode_32 0
		.amdhsa_float_round_mode_16_64 0
		.amdhsa_float_denorm_mode_32 3
		.amdhsa_float_denorm_mode_16_64 3
		.amdhsa_dx10_clamp 1
		.amdhsa_ieee_mode 1
		.amdhsa_fp16_overflow 0
		.amdhsa_workgroup_processor_mode 1
		.amdhsa_memory_ordered 1
		.amdhsa_forward_progress 1
		.amdhsa_shared_vgpr_count 0
		.amdhsa_exception_fp_ieee_invalid_op 0
		.amdhsa_exception_fp_denorm_src 0
		.amdhsa_exception_fp_ieee_div_zero 0
		.amdhsa_exception_fp_ieee_overflow 0
		.amdhsa_exception_fp_ieee_underflow 0
		.amdhsa_exception_fp_ieee_inexact 0
		.amdhsa_exception_int_div_zero 0
	.end_amdhsa_kernel
	.section	.text._ZL29rocblas_internal_gemmt_kernelIiLi16ELi32ELi8ELc67ELc67ELc76ELb0ELb0EffPKPKfPKPfEviT_T9_T10_S7_lS9_S7_lS8_T11_S7_li,"axG",@progbits,_ZL29rocblas_internal_gemmt_kernelIiLi16ELi32ELi8ELc67ELc67ELc76ELb0ELb0EffPKPKfPKPfEviT_T9_T10_S7_lS9_S7_lS8_T11_S7_li,comdat
.Lfunc_end323:
	.size	_ZL29rocblas_internal_gemmt_kernelIiLi16ELi32ELi8ELc67ELc67ELc76ELb0ELb0EffPKPKfPKPfEviT_T9_T10_S7_lS9_S7_lS8_T11_S7_li, .Lfunc_end323-_ZL29rocblas_internal_gemmt_kernelIiLi16ELi32ELi8ELc67ELc67ELc76ELb0ELb0EffPKPKfPKPfEviT_T9_T10_S7_lS9_S7_lS8_T11_S7_li
                                        ; -- End function
	.set _ZL29rocblas_internal_gemmt_kernelIiLi16ELi32ELi8ELc67ELc67ELc76ELb0ELb0EffPKPKfPKPfEviT_T9_T10_S7_lS9_S7_lS8_T11_S7_li.num_vgpr, 42
	.set _ZL29rocblas_internal_gemmt_kernelIiLi16ELi32ELi8ELc67ELc67ELc76ELb0ELb0EffPKPKfPKPfEviT_T9_T10_S7_lS9_S7_lS8_T11_S7_li.num_agpr, 0
	.set _ZL29rocblas_internal_gemmt_kernelIiLi16ELi32ELi8ELc67ELc67ELc76ELb0ELb0EffPKPKfPKPfEviT_T9_T10_S7_lS9_S7_lS8_T11_S7_li.numbered_sgpr, 24
	.set _ZL29rocblas_internal_gemmt_kernelIiLi16ELi32ELi8ELc67ELc67ELc76ELb0ELb0EffPKPKfPKPfEviT_T9_T10_S7_lS9_S7_lS8_T11_S7_li.num_named_barrier, 0
	.set _ZL29rocblas_internal_gemmt_kernelIiLi16ELi32ELi8ELc67ELc67ELc76ELb0ELb0EffPKPKfPKPfEviT_T9_T10_S7_lS9_S7_lS8_T11_S7_li.private_seg_size, 0
	.set _ZL29rocblas_internal_gemmt_kernelIiLi16ELi32ELi8ELc67ELc67ELc76ELb0ELb0EffPKPKfPKPfEviT_T9_T10_S7_lS9_S7_lS8_T11_S7_li.uses_vcc, 1
	.set _ZL29rocblas_internal_gemmt_kernelIiLi16ELi32ELi8ELc67ELc67ELc76ELb0ELb0EffPKPKfPKPfEviT_T9_T10_S7_lS9_S7_lS8_T11_S7_li.uses_flat_scratch, 0
	.set _ZL29rocblas_internal_gemmt_kernelIiLi16ELi32ELi8ELc67ELc67ELc76ELb0ELb0EffPKPKfPKPfEviT_T9_T10_S7_lS9_S7_lS8_T11_S7_li.has_dyn_sized_stack, 0
	.set _ZL29rocblas_internal_gemmt_kernelIiLi16ELi32ELi8ELc67ELc67ELc76ELb0ELb0EffPKPKfPKPfEviT_T9_T10_S7_lS9_S7_lS8_T11_S7_li.has_recursion, 0
	.set _ZL29rocblas_internal_gemmt_kernelIiLi16ELi32ELi8ELc67ELc67ELc76ELb0ELb0EffPKPKfPKPfEviT_T9_T10_S7_lS9_S7_lS8_T11_S7_li.has_indirect_call, 0
	.section	.AMDGPU.csdata,"",@progbits
; Kernel info:
; codeLenInByte = 1420
; TotalNumSgprs: 26
; NumVgprs: 42
; ScratchSize: 0
; MemoryBound: 0
; FloatMode: 240
; IeeeMode: 1
; LDSByteSize: 2048 bytes/workgroup (compile time only)
; SGPRBlocks: 0
; VGPRBlocks: 5
; NumSGPRsForWavesPerEU: 26
; NumVGPRsForWavesPerEU: 42
; Occupancy: 16
; WaveLimiterHint : 1
; COMPUTE_PGM_RSRC2:SCRATCH_EN: 0
; COMPUTE_PGM_RSRC2:USER_SGPR: 6
; COMPUTE_PGM_RSRC2:TRAP_HANDLER: 0
; COMPUTE_PGM_RSRC2:TGID_X_EN: 1
; COMPUTE_PGM_RSRC2:TGID_Y_EN: 1
; COMPUTE_PGM_RSRC2:TGID_Z_EN: 1
; COMPUTE_PGM_RSRC2:TIDIG_COMP_CNT: 1
	.section	.text._ZL29rocblas_internal_gemmt_kernelIiLi16ELi32ELi8ELc78ELc78ELc85ELb0ELb0EdPKdPKS1_PKPdEviT_T9_T10_S7_lS9_S7_lS8_T11_S7_li,"axG",@progbits,_ZL29rocblas_internal_gemmt_kernelIiLi16ELi32ELi8ELc78ELc78ELc85ELb0ELb0EdPKdPKS1_PKPdEviT_T9_T10_S7_lS9_S7_lS8_T11_S7_li,comdat
	.globl	_ZL29rocblas_internal_gemmt_kernelIiLi16ELi32ELi8ELc78ELc78ELc85ELb0ELb0EdPKdPKS1_PKPdEviT_T9_T10_S7_lS9_S7_lS8_T11_S7_li ; -- Begin function _ZL29rocblas_internal_gemmt_kernelIiLi16ELi32ELi8ELc78ELc78ELc85ELb0ELb0EdPKdPKS1_PKPdEviT_T9_T10_S7_lS9_S7_lS8_T11_S7_li
	.p2align	8
	.type	_ZL29rocblas_internal_gemmt_kernelIiLi16ELi32ELi8ELc78ELc78ELc85ELb0ELb0EdPKdPKS1_PKPdEviT_T9_T10_S7_lS9_S7_lS8_T11_S7_li,@function
_ZL29rocblas_internal_gemmt_kernelIiLi16ELi32ELi8ELc78ELc78ELc85ELb0ELb0EdPKdPKS1_PKPdEviT_T9_T10_S7_lS9_S7_lS8_T11_S7_li: ; @_ZL29rocblas_internal_gemmt_kernelIiLi16ELi32ELi8ELc78ELc78ELc85ELb0ELb0EdPKdPKS1_PKPdEviT_T9_T10_S7_lS9_S7_lS8_T11_S7_li
; %bb.0:
	s_load_dwordx4 s[12:15], s[4:5], 0x38
	s_waitcnt lgkmcnt(0)
	s_load_dwordx2 s[10:11], s[14:15], 0x0
	s_clause 0x1
	s_load_dwordx4 s[0:3], s[4:5], 0x8
	s_load_dwordx2 s[20:21], s[4:5], 0x0
	s_waitcnt lgkmcnt(0)
	s_load_dwordx2 s[14:15], s[0:1], 0x0
	v_cmp_neq_f64_e64 s9, s[10:11], 1.0
	s_and_b32 vcc_lo, exec_lo, s9
	s_cbranch_vccnz .LBB324_2
; %bb.1:
	s_waitcnt lgkmcnt(0)
	v_cmp_neq_f64_e64 s0, s[14:15], 0
	s_cmp_lg_u32 s21, 0
	s_cselect_b32 s1, -1, 0
	s_and_b32 s9, s1, s0
.LBB324_2:
	s_andn2_b32 vcc_lo, exec_lo, s9
	s_cbranch_vccnz .LBB324_26
; %bb.3:
	s_load_dwordx2 s[0:1], s[4:5], 0x48
	s_mov_b32 s9, 0
	s_waitcnt lgkmcnt(0)
	v_cmp_eq_f64_e64 s16, s[14:15], 0
	s_lshl_b64 s[24:25], s[8:9], 3
	v_mov_b32_e32 v12, 0
	v_mov_b32_e32 v6, 0
	;; [unrolled: 1-line block ×8, first 2 shown]
	s_add_u32 s0, s0, s24
	s_addc_u32 s1, s1, s25
	s_lshl_b32 s8, s6, 5
	s_load_dwordx2 s[22:23], s[0:1], 0x0
	s_lshl_b32 s26, s7, 5
	s_cmp_lt_i32 s21, 1
	s_cselect_b32 s0, -1, 0
	s_or_b32 s0, s16, s0
	s_and_b32 vcc_lo, exec_lo, s0
	s_cbranch_vccnz .LBB324_10
; %bb.4:
	s_clause 0x1
	s_load_dword s6, s[4:5], 0x18
	s_load_dwordx4 s[16:19], s[4:5], 0x20
	v_lshl_add_u32 v2, v1, 4, v0
	v_and_b32_e32 v18, 7, v0
	s_load_dword s1, s[4:5], 0x30
	v_mov_b32_e32 v12, 0
	v_lshlrev_b32_e32 v19, 3, v0
	v_lshrrev_b32_e32 v4, 3, v2
	v_lshlrev_b32_e32 v10, 3, v18
	v_and_b32_e32 v3, 31, v2
	v_lshrrev_b32_e32 v20, 5, v2
	v_lshl_add_u32 v23, v1, 6, 0x800
	v_add_nc_u32_e32 v7, s26, v4
	v_lshl_or_b32 v4, v4, 6, v10
	v_or_b32_e32 v5, s8, v3
	v_lshlrev_b32_e32 v6, 3, v3
	v_add_nc_u32_e32 v2, s8, v3
	v_cmp_gt_i32_e64 s0, s20, v7
	v_add_nc_u32_e32 v22, 0x800, v4
	v_cmp_gt_i32_e32 vcc_lo, s20, v5
	s_waitcnt lgkmcnt(0)
	v_mad_i64_i32 v[3:4], null, v20, s6, 0
	s_ashr_i32 s7, s6, 31
	s_add_u32 s18, s18, s24
	s_addc_u32 s19, s19, s25
	s_add_u32 s2, s2, s24
	s_addc_u32 s3, s3, s25
	s_load_dwordx2 s[18:19], s[18:19], 0x0
	s_load_dwordx2 s[2:3], s[2:3], 0x0
	v_lshl_or_b32 v21, v20, 8, v6
	v_lshlrev_b64 v[4:5], 3, v[3:4]
	v_mad_i64_i32 v[6:7], null, s1, v7, 0
	v_ashrrev_i32_e32 v3, 31, v2
	s_lshl_b64 s[16:17], s[16:17], 3
	s_lshl_b64 s[12:13], s[12:13], 3
	v_add_co_u32 v8, s1, v4, s16
	v_lshlrev_b64 v[2:3], 3, v[2:3]
	v_add_co_ci_u32_e64 v9, null, s17, v5, s1
	v_lshlrev_b64 v[4:5], 3, v[6:7]
	v_mov_b32_e32 v6, 0
	v_mov_b32_e32 v7, 0
	v_add_co_u32 v2, s1, v8, v2
	v_add_co_ci_u32_e64 v3, null, v9, v3, s1
	v_add_co_u32 v4, s1, v4, s12
	v_add_co_ci_u32_e64 v5, null, s13, v5, s1
	s_waitcnt lgkmcnt(0)
	v_add_co_u32 v8, s1, s2, v2
	v_add_co_ci_u32_e64 v9, null, s3, v3, s1
	v_add_co_u32 v10, s1, v4, v10
	v_add_co_ci_u32_e64 v11, null, 0, v5, s1
	v_mov_b32_e32 v2, 0
	v_add_co_u32 v10, s1, s18, v10
	v_mov_b32_e32 v4, 0
	v_mov_b32_e32 v3, 0
	;; [unrolled: 1-line block ×4, first 2 shown]
	v_add_co_ci_u32_e64 v11, null, s19, v11, s1
	s_lshl_b64 s[2:3], s[6:7], 6
	s_branch .LBB324_6
.LBB324_5:                              ;   in Loop: Header=BB324_6 Depth=1
	s_or_b32 exec_lo, exec_lo, s1
	s_waitcnt vmcnt(0) lgkmcnt(0)
	ds_write_b64 v22, v[16:17]
	s_waitcnt lgkmcnt(0)
	s_barrier
	buffer_gl0_inv
	ds_read_b128 v[14:17], v23
	ds_read2_b64 v[24:27], v19 offset1:16
	ds_read_b128 v[28:31], v23 offset:1024
	ds_read_b128 v[32:35], v23 offset:16
	ds_read2_b64 v[36:39], v19 offset0:32 offset1:48
	ds_read_b128 v[40:43], v23 offset:1040
	v_add_co_u32 v8, s1, v8, s2
	v_add_co_ci_u32_e64 v9, null, s3, v9, s1
	v_add_co_u32 v10, s1, v10, 64
	v_add_co_ci_u32_e64 v11, null, 0, v11, s1
	s_add_i32 s9, s9, 8
	s_cmp_lt_i32 s9, s21
	s_waitcnt lgkmcnt(4)
	v_fma_f64 v[12:13], v[24:25], v[14:15], v[12:13]
	v_fma_f64 v[6:7], v[26:27], v[14:15], v[6:7]
	s_waitcnt lgkmcnt(3)
	v_fma_f64 v[14:15], v[24:25], v[28:29], v[4:5]
	v_fma_f64 v[24:25], v[26:27], v[28:29], v[2:3]
	ds_read2_b64 v[2:5], v19 offset0:64 offset1:80
	s_waitcnt lgkmcnt(2)
	v_fma_f64 v[26:27], v[36:37], v[16:17], v[12:13]
	v_fma_f64 v[6:7], v[38:39], v[16:17], v[6:7]
	;; [unrolled: 1-line block ×4, first 2 shown]
	ds_read2_b64 v[12:15], v19 offset0:96 offset1:112
	s_waitcnt lgkmcnt(1)
	v_fma_f64 v[28:29], v[2:3], v[32:33], v[26:27]
	v_fma_f64 v[6:7], v[4:5], v[32:33], v[6:7]
	;; [unrolled: 1-line block ×4, first 2 shown]
	ds_read_b128 v[2:5], v23 offset:32
	ds_read2_b64 v[24:27], v19 offset0:128 offset1:144
	s_waitcnt lgkmcnt(2)
	v_fma_f64 v[40:41], v[12:13], v[34:35], v[28:29]
	v_fma_f64 v[6:7], v[14:15], v[34:35], v[6:7]
	;; [unrolled: 1-line block ×4, first 2 shown]
	ds_read_b128 v[12:15], v23 offset:1056
	ds_read_b128 v[28:31], v23 offset:48
	ds_read2_b64 v[32:35], v19 offset0:160 offset1:176
	ds_read_b128 v[36:39], v23 offset:1072
	s_waitcnt lgkmcnt(4)
	v_fma_f64 v[40:41], v[24:25], v[2:3], v[40:41]
	v_fma_f64 v[2:3], v[26:27], v[2:3], v[6:7]
	s_waitcnt lgkmcnt(3)
	v_fma_f64 v[6:7], v[24:25], v[12:13], v[16:17]
	v_fma_f64 v[12:13], v[26:27], v[12:13], v[42:43]
	ds_read2_b64 v[24:27], v19 offset0:192 offset1:208
	s_waitcnt lgkmcnt(2)
	v_fma_f64 v[40:41], v[32:33], v[4:5], v[40:41]
	v_fma_f64 v[2:3], v[34:35], v[4:5], v[2:3]
	;; [unrolled: 1-line block ×4, first 2 shown]
	ds_read2_b64 v[14:17], v19 offset0:224 offset1:240
	s_waitcnt lgkmcnt(0)
	s_barrier
	buffer_gl0_inv
	v_fma_f64 v[12:13], v[24:25], v[28:29], v[40:41]
	v_fma_f64 v[2:3], v[26:27], v[28:29], v[2:3]
	v_fma_f64 v[4:5], v[24:25], v[36:37], v[4:5]
	v_fma_f64 v[24:25], v[26:27], v[36:37], v[6:7]
	v_fma_f64 v[12:13], v[14:15], v[30:31], v[12:13]
	v_fma_f64 v[6:7], v[16:17], v[30:31], v[2:3]
	v_fma_f64 v[4:5], v[14:15], v[38:39], v[4:5]
	v_fma_f64 v[2:3], v[16:17], v[38:39], v[24:25]
	s_cbranch_scc0 .LBB324_10
.LBB324_6:                              ; =>This Inner Loop Header: Depth=1
	v_add_nc_u32_e32 v14, s9, v20
	v_cmp_gt_i32_e64 s1, s21, v14
	v_mov_b32_e32 v14, 0
	v_mov_b32_e32 v15, 0
	s_and_b32 s6, vcc_lo, s1
	s_and_saveexec_b32 s1, s6
	s_cbranch_execz .LBB324_8
; %bb.7:                                ;   in Loop: Header=BB324_6 Depth=1
	flat_load_dwordx2 v[14:15], v[8:9]
.LBB324_8:                              ;   in Loop: Header=BB324_6 Depth=1
	s_or_b32 exec_lo, exec_lo, s1
	v_add_nc_u32_e32 v16, s9, v18
	s_waitcnt vmcnt(0) lgkmcnt(0)
	ds_write_b64 v21, v[14:15]
	v_cmp_gt_i32_e64 s1, s21, v16
	v_mov_b32_e32 v16, 0
	v_mov_b32_e32 v17, 0
	s_and_b32 s6, s1, s0
	s_and_saveexec_b32 s1, s6
	s_cbranch_execz .LBB324_5
; %bb.9:                                ;   in Loop: Header=BB324_6 Depth=1
	flat_load_dwordx2 v[16:17], v[10:11]
	s_branch .LBB324_5
.LBB324_10:
	s_clause 0x1
	s_load_dword s2, s[4:5], 0x50
	s_load_dwordx2 s[4:5], s[4:5], 0x58
	v_add_nc_u32_e32 v15, s26, v1
	v_add_nc_u32_e32 v0, s8, v0
	v_cmp_gt_i32_e64 s0, s20, v15
	v_cmp_le_i32_e32 vcc_lo, v0, v15
	v_ashrrev_i32_e32 v1, 31, v0
	s_waitcnt lgkmcnt(0)
	v_mad_i64_i32 v[8:9], null, v15, s2, 0
	s_lshl_b64 s[4:5], s[4:5], 3
	s_add_u32 s3, s22, s4
	s_addc_u32 s4, s23, s5
	v_cmp_neq_f64_e64 s5, s[10:11], 0
	s_and_b32 s6, s0, vcc_lo
	v_lshlrev_b64 v[8:9], 3, v[8:9]
	v_add_co_u32 v16, s1, s3, v8
	v_add_co_ci_u32_e64 v17, null, s4, v9, s1
	v_cndmask_b32_e64 v14, 0, 1, s5
	s_and_saveexec_b32 s1, s6
	s_cbranch_execz .LBB324_14
; %bb.11:
	v_mul_f64 v[8:9], s[14:15], v[12:13]
	v_lshlrev_b64 v[10:11], 3, v[0:1]
	v_add_co_u32 v10, vcc_lo, v16, v10
	v_add_co_ci_u32_e64 v11, null, v17, v11, vcc_lo
	s_andn2_b32 vcc_lo, exec_lo, s5
	s_cbranch_vccnz .LBB324_13
; %bb.12:
	flat_load_dwordx2 v[12:13], v[10:11]
	s_waitcnt vmcnt(0) lgkmcnt(0)
	v_fma_f64 v[8:9], s[10:11], v[12:13], v[8:9]
.LBB324_13:
	flat_store_dwordx2 v[10:11], v[8:9]
.LBB324_14:
	s_or_b32 exec_lo, exec_lo, s1
	v_add_nc_u32_e32 v8, 16, v0
	v_cmp_le_i32_e32 vcc_lo, v8, v15
	v_ashrrev_i32_e32 v9, 31, v8
	s_and_b32 s0, s0, vcc_lo
	s_and_saveexec_b32 s1, s0
	s_cbranch_execz .LBB324_18
; %bb.15:
	v_mul_f64 v[6:7], s[14:15], v[6:7]
	v_lshlrev_b64 v[10:11], 3, v[8:9]
	v_cmp_ne_u32_e32 vcc_lo, 1, v14
	v_add_co_u32 v10, s0, v16, v10
	v_add_co_ci_u32_e64 v11, null, v17, v11, s0
	s_cbranch_vccnz .LBB324_17
; %bb.16:
	flat_load_dwordx2 v[12:13], v[10:11]
	s_waitcnt vmcnt(0) lgkmcnt(0)
	v_fma_f64 v[6:7], s[10:11], v[12:13], v[6:7]
.LBB324_17:
	flat_store_dwordx2 v[10:11], v[6:7]
.LBB324_18:
	s_or_b32 exec_lo, exec_lo, s1
	v_add_nc_u32_e32 v10, 16, v15
	v_mad_i64_i32 v[6:7], null, v10, s2, 0
	v_cmp_gt_i32_e64 s0, s20, v10
	v_cmp_le_i32_e32 vcc_lo, v0, v10
	v_lshlrev_b64 v[6:7], 3, v[6:7]
	v_add_co_u32 v6, s1, s3, v6
	v_add_co_ci_u32_e64 v7, null, s4, v7, s1
	s_and_b32 s1, s0, vcc_lo
	s_and_saveexec_b32 s2, s1
	s_cbranch_execz .LBB324_22
; %bb.19:
	v_mul_f64 v[4:5], s[14:15], v[4:5]
	v_lshlrev_b64 v[0:1], 3, v[0:1]
	v_cmp_ne_u32_e32 vcc_lo, 1, v14
	v_add_co_u32 v0, s1, v6, v0
	v_add_co_ci_u32_e64 v1, null, v7, v1, s1
	s_cbranch_vccnz .LBB324_21
; %bb.20:
	flat_load_dwordx2 v[11:12], v[0:1]
	s_waitcnt vmcnt(0) lgkmcnt(0)
	v_fma_f64 v[4:5], s[10:11], v[11:12], v[4:5]
.LBB324_21:
	flat_store_dwordx2 v[0:1], v[4:5]
.LBB324_22:
	s_or_b32 exec_lo, exec_lo, s2
	v_cmp_le_i32_e32 vcc_lo, v8, v10
	s_and_b32 s0, s0, vcc_lo
	s_and_saveexec_b32 s1, s0
	s_cbranch_execz .LBB324_26
; %bb.23:
	v_mul_f64 v[0:1], s[14:15], v[2:3]
	v_lshlrev_b64 v[2:3], 3, v[8:9]
	v_cmp_ne_u32_e32 vcc_lo, 1, v14
	v_add_co_u32 v2, s0, v6, v2
	v_add_co_ci_u32_e64 v3, null, v7, v3, s0
	s_cbranch_vccnz .LBB324_25
; %bb.24:
	flat_load_dwordx2 v[4:5], v[2:3]
	s_waitcnt vmcnt(0) lgkmcnt(0)
	v_fma_f64 v[0:1], s[10:11], v[4:5], v[0:1]
.LBB324_25:
	flat_store_dwordx2 v[2:3], v[0:1]
.LBB324_26:
	s_endpgm
	.section	.rodata,"a",@progbits
	.p2align	6, 0x0
	.amdhsa_kernel _ZL29rocblas_internal_gemmt_kernelIiLi16ELi32ELi8ELc78ELc78ELc85ELb0ELb0EdPKdPKS1_PKPdEviT_T9_T10_S7_lS9_S7_lS8_T11_S7_li
		.amdhsa_group_segment_fixed_size 4096
		.amdhsa_private_segment_fixed_size 0
		.amdhsa_kernarg_size 100
		.amdhsa_user_sgpr_count 6
		.amdhsa_user_sgpr_private_segment_buffer 1
		.amdhsa_user_sgpr_dispatch_ptr 0
		.amdhsa_user_sgpr_queue_ptr 0
		.amdhsa_user_sgpr_kernarg_segment_ptr 1
		.amdhsa_user_sgpr_dispatch_id 0
		.amdhsa_user_sgpr_flat_scratch_init 0
		.amdhsa_user_sgpr_private_segment_size 0
		.amdhsa_wavefront_size32 1
		.amdhsa_uses_dynamic_stack 0
		.amdhsa_system_sgpr_private_segment_wavefront_offset 0
		.amdhsa_system_sgpr_workgroup_id_x 1
		.amdhsa_system_sgpr_workgroup_id_y 1
		.amdhsa_system_sgpr_workgroup_id_z 1
		.amdhsa_system_sgpr_workgroup_info 0
		.amdhsa_system_vgpr_workitem_id 1
		.amdhsa_next_free_vgpr 44
		.amdhsa_next_free_sgpr 27
		.amdhsa_reserve_vcc 1
		.amdhsa_reserve_flat_scratch 0
		.amdhsa_float_round_mode_32 0
		.amdhsa_float_round_mode_16_64 0
		.amdhsa_float_denorm_mode_32 3
		.amdhsa_float_denorm_mode_16_64 3
		.amdhsa_dx10_clamp 1
		.amdhsa_ieee_mode 1
		.amdhsa_fp16_overflow 0
		.amdhsa_workgroup_processor_mode 1
		.amdhsa_memory_ordered 1
		.amdhsa_forward_progress 1
		.amdhsa_shared_vgpr_count 0
		.amdhsa_exception_fp_ieee_invalid_op 0
		.amdhsa_exception_fp_denorm_src 0
		.amdhsa_exception_fp_ieee_div_zero 0
		.amdhsa_exception_fp_ieee_overflow 0
		.amdhsa_exception_fp_ieee_underflow 0
		.amdhsa_exception_fp_ieee_inexact 0
		.amdhsa_exception_int_div_zero 0
	.end_amdhsa_kernel
	.section	.text._ZL29rocblas_internal_gemmt_kernelIiLi16ELi32ELi8ELc78ELc78ELc85ELb0ELb0EdPKdPKS1_PKPdEviT_T9_T10_S7_lS9_S7_lS8_T11_S7_li,"axG",@progbits,_ZL29rocblas_internal_gemmt_kernelIiLi16ELi32ELi8ELc78ELc78ELc85ELb0ELb0EdPKdPKS1_PKPdEviT_T9_T10_S7_lS9_S7_lS8_T11_S7_li,comdat
.Lfunc_end324:
	.size	_ZL29rocblas_internal_gemmt_kernelIiLi16ELi32ELi8ELc78ELc78ELc85ELb0ELb0EdPKdPKS1_PKPdEviT_T9_T10_S7_lS9_S7_lS8_T11_S7_li, .Lfunc_end324-_ZL29rocblas_internal_gemmt_kernelIiLi16ELi32ELi8ELc78ELc78ELc85ELb0ELb0EdPKdPKS1_PKPdEviT_T9_T10_S7_lS9_S7_lS8_T11_S7_li
                                        ; -- End function
	.set _ZL29rocblas_internal_gemmt_kernelIiLi16ELi32ELi8ELc78ELc78ELc85ELb0ELb0EdPKdPKS1_PKPdEviT_T9_T10_S7_lS9_S7_lS8_T11_S7_li.num_vgpr, 44
	.set _ZL29rocblas_internal_gemmt_kernelIiLi16ELi32ELi8ELc78ELc78ELc85ELb0ELb0EdPKdPKS1_PKPdEviT_T9_T10_S7_lS9_S7_lS8_T11_S7_li.num_agpr, 0
	.set _ZL29rocblas_internal_gemmt_kernelIiLi16ELi32ELi8ELc78ELc78ELc85ELb0ELb0EdPKdPKS1_PKPdEviT_T9_T10_S7_lS9_S7_lS8_T11_S7_li.numbered_sgpr, 27
	.set _ZL29rocblas_internal_gemmt_kernelIiLi16ELi32ELi8ELc78ELc78ELc85ELb0ELb0EdPKdPKS1_PKPdEviT_T9_T10_S7_lS9_S7_lS8_T11_S7_li.num_named_barrier, 0
	.set _ZL29rocblas_internal_gemmt_kernelIiLi16ELi32ELi8ELc78ELc78ELc85ELb0ELb0EdPKdPKS1_PKPdEviT_T9_T10_S7_lS9_S7_lS8_T11_S7_li.private_seg_size, 0
	.set _ZL29rocblas_internal_gemmt_kernelIiLi16ELi32ELi8ELc78ELc78ELc85ELb0ELb0EdPKdPKS1_PKPdEviT_T9_T10_S7_lS9_S7_lS8_T11_S7_li.uses_vcc, 1
	.set _ZL29rocblas_internal_gemmt_kernelIiLi16ELi32ELi8ELc78ELc78ELc85ELb0ELb0EdPKdPKS1_PKPdEviT_T9_T10_S7_lS9_S7_lS8_T11_S7_li.uses_flat_scratch, 0
	.set _ZL29rocblas_internal_gemmt_kernelIiLi16ELi32ELi8ELc78ELc78ELc85ELb0ELb0EdPKdPKS1_PKPdEviT_T9_T10_S7_lS9_S7_lS8_T11_S7_li.has_dyn_sized_stack, 0
	.set _ZL29rocblas_internal_gemmt_kernelIiLi16ELi32ELi8ELc78ELc78ELc85ELb0ELb0EdPKdPKS1_PKPdEviT_T9_T10_S7_lS9_S7_lS8_T11_S7_li.has_recursion, 0
	.set _ZL29rocblas_internal_gemmt_kernelIiLi16ELi32ELi8ELc78ELc78ELc85ELb0ELb0EdPKdPKS1_PKPdEviT_T9_T10_S7_lS9_S7_lS8_T11_S7_li.has_indirect_call, 0
	.section	.AMDGPU.csdata,"",@progbits
; Kernel info:
; codeLenInByte = 1676
; TotalNumSgprs: 29
; NumVgprs: 44
; ScratchSize: 0
; MemoryBound: 0
; FloatMode: 240
; IeeeMode: 1
; LDSByteSize: 4096 bytes/workgroup (compile time only)
; SGPRBlocks: 0
; VGPRBlocks: 5
; NumSGPRsForWavesPerEU: 29
; NumVGPRsForWavesPerEU: 44
; Occupancy: 16
; WaveLimiterHint : 1
; COMPUTE_PGM_RSRC2:SCRATCH_EN: 0
; COMPUTE_PGM_RSRC2:USER_SGPR: 6
; COMPUTE_PGM_RSRC2:TRAP_HANDLER: 0
; COMPUTE_PGM_RSRC2:TGID_X_EN: 1
; COMPUTE_PGM_RSRC2:TGID_Y_EN: 1
; COMPUTE_PGM_RSRC2:TGID_Z_EN: 1
; COMPUTE_PGM_RSRC2:TIDIG_COMP_CNT: 1
	.section	.text._ZL29rocblas_internal_gemmt_kernelIiLi16ELi32ELi8ELc78ELc84ELc85ELb0ELb0EdPKdPKS1_PKPdEviT_T9_T10_S7_lS9_S7_lS8_T11_S7_li,"axG",@progbits,_ZL29rocblas_internal_gemmt_kernelIiLi16ELi32ELi8ELc78ELc84ELc85ELb0ELb0EdPKdPKS1_PKPdEviT_T9_T10_S7_lS9_S7_lS8_T11_S7_li,comdat
	.globl	_ZL29rocblas_internal_gemmt_kernelIiLi16ELi32ELi8ELc78ELc84ELc85ELb0ELb0EdPKdPKS1_PKPdEviT_T9_T10_S7_lS9_S7_lS8_T11_S7_li ; -- Begin function _ZL29rocblas_internal_gemmt_kernelIiLi16ELi32ELi8ELc78ELc84ELc85ELb0ELb0EdPKdPKS1_PKPdEviT_T9_T10_S7_lS9_S7_lS8_T11_S7_li
	.p2align	8
	.type	_ZL29rocblas_internal_gemmt_kernelIiLi16ELi32ELi8ELc78ELc84ELc85ELb0ELb0EdPKdPKS1_PKPdEviT_T9_T10_S7_lS9_S7_lS8_T11_S7_li,@function
_ZL29rocblas_internal_gemmt_kernelIiLi16ELi32ELi8ELc78ELc84ELc85ELb0ELb0EdPKdPKS1_PKPdEviT_T9_T10_S7_lS9_S7_lS8_T11_S7_li: ; @_ZL29rocblas_internal_gemmt_kernelIiLi16ELi32ELi8ELc78ELc84ELc85ELb0ELb0EdPKdPKS1_PKPdEviT_T9_T10_S7_lS9_S7_lS8_T11_S7_li
; %bb.0:
	s_load_dwordx4 s[12:15], s[4:5], 0x38
	s_waitcnt lgkmcnt(0)
	s_load_dwordx2 s[10:11], s[14:15], 0x0
	s_clause 0x1
	s_load_dwordx4 s[0:3], s[4:5], 0x8
	s_load_dwordx2 s[20:21], s[4:5], 0x0
	s_waitcnt lgkmcnt(0)
	s_load_dwordx2 s[14:15], s[0:1], 0x0
	v_cmp_neq_f64_e64 s9, s[10:11], 1.0
	s_and_b32 vcc_lo, exec_lo, s9
	s_cbranch_vccnz .LBB325_2
; %bb.1:
	s_waitcnt lgkmcnt(0)
	v_cmp_neq_f64_e64 s0, s[14:15], 0
	s_cmp_lg_u32 s21, 0
	s_cselect_b32 s1, -1, 0
	s_and_b32 s9, s1, s0
.LBB325_2:
	s_andn2_b32 vcc_lo, exec_lo, s9
	s_cbranch_vccnz .LBB325_26
; %bb.3:
	s_load_dwordx2 s[0:1], s[4:5], 0x48
	s_mov_b32 s9, 0
	s_waitcnt lgkmcnt(0)
	v_cmp_eq_f64_e64 s16, s[14:15], 0
	s_lshl_b64 s[26:27], s[8:9], 3
	v_mov_b32_e32 v12, 0
	v_mov_b32_e32 v6, 0
	;; [unrolled: 1-line block ×8, first 2 shown]
	s_add_u32 s0, s0, s26
	s_addc_u32 s1, s1, s27
	s_lshl_b32 s8, s6, 5
	s_load_dwordx2 s[22:23], s[0:1], 0x0
	s_lshl_b32 s28, s7, 5
	s_cmp_lt_i32 s21, 1
	s_cselect_b32 s0, -1, 0
	s_or_b32 s0, s16, s0
	s_and_b32 vcc_lo, exec_lo, s0
	s_cbranch_vccnz .LBB325_10
; %bb.4:
	s_clause 0x2
	s_load_dword s6, s[4:5], 0x18
	s_load_dword s24, s[4:5], 0x30
	s_load_dwordx4 s[16:19], s[4:5], 0x20
	v_lshl_add_u32 v2, v1, 4, v0
	v_and_b32_e32 v18, 7, v0
	v_mov_b32_e32 v12, 0
	v_lshlrev_b32_e32 v22, 3, v0
	v_lshl_add_u32 v23, v1, 6, 0x800
	v_and_b32_e32 v3, 31, v2
	v_lshrrev_b32_e32 v4, 3, v2
	v_lshlrev_b32_e32 v5, 3, v18
	v_lshrrev_b32_e32 v19, 5, v2
	v_mov_b32_e32 v13, 0
	v_or_b32_e32 v6, s8, v3
	v_lshlrev_b32_e32 v7, 3, v3
	v_lshl_or_b32 v8, v4, 6, v5
	v_add_nc_u32_e32 v2, s28, v4
	v_add_nc_u32_e32 v4, s8, v3
	v_cmp_gt_i32_e32 vcc_lo, s20, v6
	v_lshl_or_b32 v20, v19, 8, v7
	s_waitcnt lgkmcnt(0)
	s_ashr_i32 s7, s6, 31
	s_ashr_i32 s25, s24, 31
	v_mad_i64_i32 v[5:6], null, v19, s6, 0
	s_add_u32 s18, s18, s26
	s_addc_u32 s19, s19, s27
	s_add_u32 s2, s2, s26
	s_addc_u32 s3, s3, s27
	s_load_dwordx2 s[18:19], s[18:19], 0x0
	s_load_dwordx2 s[2:3], s[2:3], 0x0
	v_add_nc_u32_e32 v21, 0x800, v8
	v_lshlrev_b64 v[6:7], 3, v[5:6]
	v_mad_i64_i32 v[8:9], null, s24, v18, 0
	v_ashrrev_i32_e32 v5, 31, v4
	s_lshl_b64 s[16:17], s[16:17], 3
	v_ashrrev_i32_e32 v3, 31, v2
	v_add_co_u32 v10, s1, v6, s16
	v_lshlrev_b64 v[4:5], 3, v[4:5]
	v_add_co_ci_u32_e64 v11, null, s17, v7, s1
	v_lshlrev_b64 v[6:7], 3, v[8:9]
	s_lshl_b64 s[12:13], s[12:13], 3
	v_cmp_gt_i32_e64 s0, s20, v2
	v_add_co_u32 v4, s1, v10, v4
	v_lshlrev_b64 v[2:3], 3, v[2:3]
	v_add_co_ci_u32_e64 v5, null, v11, v5, s1
	v_add_co_u32 v6, s1, v6, s12
	v_add_co_ci_u32_e64 v7, null, s13, v7, s1
	s_waitcnt lgkmcnt(0)
	v_add_co_u32 v8, s1, s2, v4
	v_add_co_ci_u32_e64 v9, null, s3, v5, s1
	v_add_co_u32 v10, s1, v6, v2
	v_add_co_ci_u32_e64 v11, null, v7, v3, s1
	v_mov_b32_e32 v2, 0
	v_add_co_u32 v10, s1, s18, v10
	v_mov_b32_e32 v4, 0
	v_mov_b32_e32 v6, 0
	;; [unrolled: 1-line block ×5, first 2 shown]
	v_add_co_ci_u32_e64 v11, null, s19, v11, s1
	s_lshl_b64 s[2:3], s[6:7], 6
	s_lshl_b64 s[6:7], s[24:25], 6
	s_branch .LBB325_6
.LBB325_5:                              ;   in Loop: Header=BB325_6 Depth=1
	s_or_b32 exec_lo, exec_lo, s1
	s_waitcnt vmcnt(0) lgkmcnt(0)
	ds_write_b64 v21, v[16:17]
	s_waitcnt lgkmcnt(0)
	s_barrier
	buffer_gl0_inv
	ds_read_b128 v[14:17], v23
	ds_read2_b64 v[24:27], v22 offset1:16
	ds_read_b128 v[28:31], v23 offset:1024
	ds_read_b128 v[32:35], v23 offset:16
	ds_read2_b64 v[36:39], v22 offset0:32 offset1:48
	ds_read_b128 v[40:43], v23 offset:1040
	v_add_co_u32 v8, s1, v8, s2
	v_add_co_ci_u32_e64 v9, null, s3, v9, s1
	v_add_co_u32 v10, s1, v10, s6
	v_add_co_ci_u32_e64 v11, null, s7, v11, s1
	s_add_i32 s9, s9, 8
	s_cmp_lt_i32 s9, s21
	s_waitcnt lgkmcnt(4)
	v_fma_f64 v[12:13], v[24:25], v[14:15], v[12:13]
	v_fma_f64 v[6:7], v[26:27], v[14:15], v[6:7]
	s_waitcnt lgkmcnt(3)
	v_fma_f64 v[14:15], v[24:25], v[28:29], v[4:5]
	v_fma_f64 v[24:25], v[26:27], v[28:29], v[2:3]
	ds_read2_b64 v[2:5], v22 offset0:64 offset1:80
	s_waitcnt lgkmcnt(2)
	v_fma_f64 v[26:27], v[36:37], v[16:17], v[12:13]
	v_fma_f64 v[6:7], v[38:39], v[16:17], v[6:7]
	;; [unrolled: 1-line block ×4, first 2 shown]
	ds_read2_b64 v[12:15], v22 offset0:96 offset1:112
	s_waitcnt lgkmcnt(1)
	v_fma_f64 v[28:29], v[2:3], v[32:33], v[26:27]
	v_fma_f64 v[6:7], v[4:5], v[32:33], v[6:7]
	v_fma_f64 v[16:17], v[2:3], v[40:41], v[16:17]
	v_fma_f64 v[30:31], v[4:5], v[40:41], v[24:25]
	ds_read_b128 v[2:5], v23 offset:32
	ds_read2_b64 v[24:27], v22 offset0:128 offset1:144
	s_waitcnt lgkmcnt(2)
	v_fma_f64 v[40:41], v[12:13], v[34:35], v[28:29]
	v_fma_f64 v[6:7], v[14:15], v[34:35], v[6:7]
	;; [unrolled: 1-line block ×4, first 2 shown]
	ds_read_b128 v[12:15], v23 offset:1056
	ds_read_b128 v[28:31], v23 offset:48
	ds_read2_b64 v[32:35], v22 offset0:160 offset1:176
	ds_read_b128 v[36:39], v23 offset:1072
	s_waitcnt lgkmcnt(4)
	v_fma_f64 v[40:41], v[24:25], v[2:3], v[40:41]
	v_fma_f64 v[2:3], v[26:27], v[2:3], v[6:7]
	s_waitcnt lgkmcnt(3)
	v_fma_f64 v[6:7], v[24:25], v[12:13], v[16:17]
	v_fma_f64 v[12:13], v[26:27], v[12:13], v[42:43]
	ds_read2_b64 v[24:27], v22 offset0:192 offset1:208
	s_waitcnt lgkmcnt(2)
	v_fma_f64 v[40:41], v[32:33], v[4:5], v[40:41]
	v_fma_f64 v[2:3], v[34:35], v[4:5], v[2:3]
	;; [unrolled: 1-line block ×4, first 2 shown]
	ds_read2_b64 v[14:17], v22 offset0:224 offset1:240
	s_waitcnt lgkmcnt(0)
	s_barrier
	buffer_gl0_inv
	v_fma_f64 v[12:13], v[24:25], v[28:29], v[40:41]
	v_fma_f64 v[2:3], v[26:27], v[28:29], v[2:3]
	;; [unrolled: 1-line block ×8, first 2 shown]
	s_cbranch_scc0 .LBB325_10
.LBB325_6:                              ; =>This Inner Loop Header: Depth=1
	v_add_nc_u32_e32 v14, s9, v19
	v_cmp_gt_i32_e64 s1, s21, v14
	v_mov_b32_e32 v14, 0
	v_mov_b32_e32 v15, 0
	s_and_b32 s12, vcc_lo, s1
	s_and_saveexec_b32 s1, s12
	s_cbranch_execz .LBB325_8
; %bb.7:                                ;   in Loop: Header=BB325_6 Depth=1
	flat_load_dwordx2 v[14:15], v[8:9]
.LBB325_8:                              ;   in Loop: Header=BB325_6 Depth=1
	s_or_b32 exec_lo, exec_lo, s1
	v_add_nc_u32_e32 v16, s9, v18
	s_waitcnt vmcnt(0) lgkmcnt(0)
	ds_write_b64 v20, v[14:15]
	v_cmp_gt_i32_e64 s1, s21, v16
	v_mov_b32_e32 v16, 0
	v_mov_b32_e32 v17, 0
	s_and_b32 s12, s1, s0
	s_and_saveexec_b32 s1, s12
	s_cbranch_execz .LBB325_5
; %bb.9:                                ;   in Loop: Header=BB325_6 Depth=1
	flat_load_dwordx2 v[16:17], v[10:11]
	s_branch .LBB325_5
.LBB325_10:
	s_clause 0x1
	s_load_dword s2, s[4:5], 0x50
	s_load_dwordx2 s[4:5], s[4:5], 0x58
	v_add_nc_u32_e32 v15, s28, v1
	v_add_nc_u32_e32 v0, s8, v0
	v_cmp_gt_i32_e64 s0, s20, v15
	v_cmp_le_i32_e32 vcc_lo, v0, v15
	v_ashrrev_i32_e32 v1, 31, v0
	s_waitcnt lgkmcnt(0)
	v_mad_i64_i32 v[8:9], null, v15, s2, 0
	s_lshl_b64 s[4:5], s[4:5], 3
	s_add_u32 s3, s22, s4
	s_addc_u32 s4, s23, s5
	v_cmp_neq_f64_e64 s5, s[10:11], 0
	s_and_b32 s6, s0, vcc_lo
	v_lshlrev_b64 v[8:9], 3, v[8:9]
	v_add_co_u32 v16, s1, s3, v8
	v_add_co_ci_u32_e64 v17, null, s4, v9, s1
	v_cndmask_b32_e64 v14, 0, 1, s5
	s_and_saveexec_b32 s1, s6
	s_cbranch_execz .LBB325_14
; %bb.11:
	v_mul_f64 v[8:9], s[14:15], v[12:13]
	v_lshlrev_b64 v[10:11], 3, v[0:1]
	v_add_co_u32 v10, vcc_lo, v16, v10
	v_add_co_ci_u32_e64 v11, null, v17, v11, vcc_lo
	s_andn2_b32 vcc_lo, exec_lo, s5
	s_cbranch_vccnz .LBB325_13
; %bb.12:
	flat_load_dwordx2 v[12:13], v[10:11]
	s_waitcnt vmcnt(0) lgkmcnt(0)
	v_fma_f64 v[8:9], s[10:11], v[12:13], v[8:9]
.LBB325_13:
	flat_store_dwordx2 v[10:11], v[8:9]
.LBB325_14:
	s_or_b32 exec_lo, exec_lo, s1
	v_add_nc_u32_e32 v8, 16, v0
	v_cmp_le_i32_e32 vcc_lo, v8, v15
	v_ashrrev_i32_e32 v9, 31, v8
	s_and_b32 s0, s0, vcc_lo
	s_and_saveexec_b32 s1, s0
	s_cbranch_execz .LBB325_18
; %bb.15:
	v_mul_f64 v[6:7], s[14:15], v[6:7]
	v_lshlrev_b64 v[10:11], 3, v[8:9]
	v_cmp_ne_u32_e32 vcc_lo, 1, v14
	v_add_co_u32 v10, s0, v16, v10
	v_add_co_ci_u32_e64 v11, null, v17, v11, s0
	s_cbranch_vccnz .LBB325_17
; %bb.16:
	flat_load_dwordx2 v[12:13], v[10:11]
	s_waitcnt vmcnt(0) lgkmcnt(0)
	v_fma_f64 v[6:7], s[10:11], v[12:13], v[6:7]
.LBB325_17:
	flat_store_dwordx2 v[10:11], v[6:7]
.LBB325_18:
	s_or_b32 exec_lo, exec_lo, s1
	v_add_nc_u32_e32 v10, 16, v15
	v_mad_i64_i32 v[6:7], null, v10, s2, 0
	v_cmp_gt_i32_e64 s0, s20, v10
	v_cmp_le_i32_e32 vcc_lo, v0, v10
	v_lshlrev_b64 v[6:7], 3, v[6:7]
	v_add_co_u32 v6, s1, s3, v6
	v_add_co_ci_u32_e64 v7, null, s4, v7, s1
	s_and_b32 s1, s0, vcc_lo
	s_and_saveexec_b32 s2, s1
	s_cbranch_execz .LBB325_22
; %bb.19:
	v_mul_f64 v[4:5], s[14:15], v[4:5]
	v_lshlrev_b64 v[0:1], 3, v[0:1]
	v_cmp_ne_u32_e32 vcc_lo, 1, v14
	v_add_co_u32 v0, s1, v6, v0
	v_add_co_ci_u32_e64 v1, null, v7, v1, s1
	s_cbranch_vccnz .LBB325_21
; %bb.20:
	flat_load_dwordx2 v[11:12], v[0:1]
	s_waitcnt vmcnt(0) lgkmcnt(0)
	v_fma_f64 v[4:5], s[10:11], v[11:12], v[4:5]
.LBB325_21:
	flat_store_dwordx2 v[0:1], v[4:5]
.LBB325_22:
	s_or_b32 exec_lo, exec_lo, s2
	v_cmp_le_i32_e32 vcc_lo, v8, v10
	s_and_b32 s0, s0, vcc_lo
	s_and_saveexec_b32 s1, s0
	s_cbranch_execz .LBB325_26
; %bb.23:
	v_mul_f64 v[0:1], s[14:15], v[2:3]
	v_lshlrev_b64 v[2:3], 3, v[8:9]
	v_cmp_ne_u32_e32 vcc_lo, 1, v14
	v_add_co_u32 v2, s0, v6, v2
	v_add_co_ci_u32_e64 v3, null, v7, v3, s0
	s_cbranch_vccnz .LBB325_25
; %bb.24:
	flat_load_dwordx2 v[4:5], v[2:3]
	s_waitcnt vmcnt(0) lgkmcnt(0)
	v_fma_f64 v[0:1], s[10:11], v[4:5], v[0:1]
.LBB325_25:
	flat_store_dwordx2 v[2:3], v[0:1]
.LBB325_26:
	s_endpgm
	.section	.rodata,"a",@progbits
	.p2align	6, 0x0
	.amdhsa_kernel _ZL29rocblas_internal_gemmt_kernelIiLi16ELi32ELi8ELc78ELc84ELc85ELb0ELb0EdPKdPKS1_PKPdEviT_T9_T10_S7_lS9_S7_lS8_T11_S7_li
		.amdhsa_group_segment_fixed_size 4096
		.amdhsa_private_segment_fixed_size 0
		.amdhsa_kernarg_size 100
		.amdhsa_user_sgpr_count 6
		.amdhsa_user_sgpr_private_segment_buffer 1
		.amdhsa_user_sgpr_dispatch_ptr 0
		.amdhsa_user_sgpr_queue_ptr 0
		.amdhsa_user_sgpr_kernarg_segment_ptr 1
		.amdhsa_user_sgpr_dispatch_id 0
		.amdhsa_user_sgpr_flat_scratch_init 0
		.amdhsa_user_sgpr_private_segment_size 0
		.amdhsa_wavefront_size32 1
		.amdhsa_uses_dynamic_stack 0
		.amdhsa_system_sgpr_private_segment_wavefront_offset 0
		.amdhsa_system_sgpr_workgroup_id_x 1
		.amdhsa_system_sgpr_workgroup_id_y 1
		.amdhsa_system_sgpr_workgroup_id_z 1
		.amdhsa_system_sgpr_workgroup_info 0
		.amdhsa_system_vgpr_workitem_id 1
		.amdhsa_next_free_vgpr 44
		.amdhsa_next_free_sgpr 29
		.amdhsa_reserve_vcc 1
		.amdhsa_reserve_flat_scratch 0
		.amdhsa_float_round_mode_32 0
		.amdhsa_float_round_mode_16_64 0
		.amdhsa_float_denorm_mode_32 3
		.amdhsa_float_denorm_mode_16_64 3
		.amdhsa_dx10_clamp 1
		.amdhsa_ieee_mode 1
		.amdhsa_fp16_overflow 0
		.amdhsa_workgroup_processor_mode 1
		.amdhsa_memory_ordered 1
		.amdhsa_forward_progress 1
		.amdhsa_shared_vgpr_count 0
		.amdhsa_exception_fp_ieee_invalid_op 0
		.amdhsa_exception_fp_denorm_src 0
		.amdhsa_exception_fp_ieee_div_zero 0
		.amdhsa_exception_fp_ieee_overflow 0
		.amdhsa_exception_fp_ieee_underflow 0
		.amdhsa_exception_fp_ieee_inexact 0
		.amdhsa_exception_int_div_zero 0
	.end_amdhsa_kernel
	.section	.text._ZL29rocblas_internal_gemmt_kernelIiLi16ELi32ELi8ELc78ELc84ELc85ELb0ELb0EdPKdPKS1_PKPdEviT_T9_T10_S7_lS9_S7_lS8_T11_S7_li,"axG",@progbits,_ZL29rocblas_internal_gemmt_kernelIiLi16ELi32ELi8ELc78ELc84ELc85ELb0ELb0EdPKdPKS1_PKPdEviT_T9_T10_S7_lS9_S7_lS8_T11_S7_li,comdat
.Lfunc_end325:
	.size	_ZL29rocblas_internal_gemmt_kernelIiLi16ELi32ELi8ELc78ELc84ELc85ELb0ELb0EdPKdPKS1_PKPdEviT_T9_T10_S7_lS9_S7_lS8_T11_S7_li, .Lfunc_end325-_ZL29rocblas_internal_gemmt_kernelIiLi16ELi32ELi8ELc78ELc84ELc85ELb0ELb0EdPKdPKS1_PKPdEviT_T9_T10_S7_lS9_S7_lS8_T11_S7_li
                                        ; -- End function
	.set _ZL29rocblas_internal_gemmt_kernelIiLi16ELi32ELi8ELc78ELc84ELc85ELb0ELb0EdPKdPKS1_PKPdEviT_T9_T10_S7_lS9_S7_lS8_T11_S7_li.num_vgpr, 44
	.set _ZL29rocblas_internal_gemmt_kernelIiLi16ELi32ELi8ELc78ELc84ELc85ELb0ELb0EdPKdPKS1_PKPdEviT_T9_T10_S7_lS9_S7_lS8_T11_S7_li.num_agpr, 0
	.set _ZL29rocblas_internal_gemmt_kernelIiLi16ELi32ELi8ELc78ELc84ELc85ELb0ELb0EdPKdPKS1_PKPdEviT_T9_T10_S7_lS9_S7_lS8_T11_S7_li.numbered_sgpr, 29
	.set _ZL29rocblas_internal_gemmt_kernelIiLi16ELi32ELi8ELc78ELc84ELc85ELb0ELb0EdPKdPKS1_PKPdEviT_T9_T10_S7_lS9_S7_lS8_T11_S7_li.num_named_barrier, 0
	.set _ZL29rocblas_internal_gemmt_kernelIiLi16ELi32ELi8ELc78ELc84ELc85ELb0ELb0EdPKdPKS1_PKPdEviT_T9_T10_S7_lS9_S7_lS8_T11_S7_li.private_seg_size, 0
	.set _ZL29rocblas_internal_gemmt_kernelIiLi16ELi32ELi8ELc78ELc84ELc85ELb0ELb0EdPKdPKS1_PKPdEviT_T9_T10_S7_lS9_S7_lS8_T11_S7_li.uses_vcc, 1
	.set _ZL29rocblas_internal_gemmt_kernelIiLi16ELi32ELi8ELc78ELc84ELc85ELb0ELb0EdPKdPKS1_PKPdEviT_T9_T10_S7_lS9_S7_lS8_T11_S7_li.uses_flat_scratch, 0
	.set _ZL29rocblas_internal_gemmt_kernelIiLi16ELi32ELi8ELc78ELc84ELc85ELb0ELb0EdPKdPKS1_PKPdEviT_T9_T10_S7_lS9_S7_lS8_T11_S7_li.has_dyn_sized_stack, 0
	.set _ZL29rocblas_internal_gemmt_kernelIiLi16ELi32ELi8ELc78ELc84ELc85ELb0ELb0EdPKdPKS1_PKPdEviT_T9_T10_S7_lS9_S7_lS8_T11_S7_li.has_recursion, 0
	.set _ZL29rocblas_internal_gemmt_kernelIiLi16ELi32ELi8ELc78ELc84ELc85ELb0ELb0EdPKdPKS1_PKPdEviT_T9_T10_S7_lS9_S7_lS8_T11_S7_li.has_indirect_call, 0
	.section	.AMDGPU.csdata,"",@progbits
; Kernel info:
; codeLenInByte = 1696
; TotalNumSgprs: 31
; NumVgprs: 44
; ScratchSize: 0
; MemoryBound: 0
; FloatMode: 240
; IeeeMode: 1
; LDSByteSize: 4096 bytes/workgroup (compile time only)
; SGPRBlocks: 0
; VGPRBlocks: 5
; NumSGPRsForWavesPerEU: 31
; NumVGPRsForWavesPerEU: 44
; Occupancy: 16
; WaveLimiterHint : 1
; COMPUTE_PGM_RSRC2:SCRATCH_EN: 0
; COMPUTE_PGM_RSRC2:USER_SGPR: 6
; COMPUTE_PGM_RSRC2:TRAP_HANDLER: 0
; COMPUTE_PGM_RSRC2:TGID_X_EN: 1
; COMPUTE_PGM_RSRC2:TGID_Y_EN: 1
; COMPUTE_PGM_RSRC2:TGID_Z_EN: 1
; COMPUTE_PGM_RSRC2:TIDIG_COMP_CNT: 1
	.section	.text._ZL29rocblas_internal_gemmt_kernelIiLi16ELi32ELi8ELc78ELc67ELc85ELb0ELb0EdPKdPKS1_PKPdEviT_T9_T10_S7_lS9_S7_lS8_T11_S7_li,"axG",@progbits,_ZL29rocblas_internal_gemmt_kernelIiLi16ELi32ELi8ELc78ELc67ELc85ELb0ELb0EdPKdPKS1_PKPdEviT_T9_T10_S7_lS9_S7_lS8_T11_S7_li,comdat
	.globl	_ZL29rocblas_internal_gemmt_kernelIiLi16ELi32ELi8ELc78ELc67ELc85ELb0ELb0EdPKdPKS1_PKPdEviT_T9_T10_S7_lS9_S7_lS8_T11_S7_li ; -- Begin function _ZL29rocblas_internal_gemmt_kernelIiLi16ELi32ELi8ELc78ELc67ELc85ELb0ELb0EdPKdPKS1_PKPdEviT_T9_T10_S7_lS9_S7_lS8_T11_S7_li
	.p2align	8
	.type	_ZL29rocblas_internal_gemmt_kernelIiLi16ELi32ELi8ELc78ELc67ELc85ELb0ELb0EdPKdPKS1_PKPdEviT_T9_T10_S7_lS9_S7_lS8_T11_S7_li,@function
_ZL29rocblas_internal_gemmt_kernelIiLi16ELi32ELi8ELc78ELc67ELc85ELb0ELb0EdPKdPKS1_PKPdEviT_T9_T10_S7_lS9_S7_lS8_T11_S7_li: ; @_ZL29rocblas_internal_gemmt_kernelIiLi16ELi32ELi8ELc78ELc67ELc85ELb0ELb0EdPKdPKS1_PKPdEviT_T9_T10_S7_lS9_S7_lS8_T11_S7_li
; %bb.0:
	s_load_dwordx4 s[12:15], s[4:5], 0x38
	s_waitcnt lgkmcnt(0)
	s_load_dwordx2 s[10:11], s[14:15], 0x0
	s_clause 0x1
	s_load_dwordx4 s[0:3], s[4:5], 0x8
	s_load_dwordx2 s[20:21], s[4:5], 0x0
	s_waitcnt lgkmcnt(0)
	s_load_dwordx2 s[14:15], s[0:1], 0x0
	v_cmp_neq_f64_e64 s9, s[10:11], 1.0
	s_and_b32 vcc_lo, exec_lo, s9
	s_cbranch_vccnz .LBB326_2
; %bb.1:
	s_waitcnt lgkmcnt(0)
	v_cmp_neq_f64_e64 s0, s[14:15], 0
	s_cmp_lg_u32 s21, 0
	s_cselect_b32 s1, -1, 0
	s_and_b32 s9, s1, s0
.LBB326_2:
	s_andn2_b32 vcc_lo, exec_lo, s9
	s_cbranch_vccnz .LBB326_26
; %bb.3:
	s_load_dwordx2 s[0:1], s[4:5], 0x48
	s_mov_b32 s9, 0
	s_waitcnt lgkmcnt(0)
	v_cmp_eq_f64_e64 s16, s[14:15], 0
	s_lshl_b64 s[26:27], s[8:9], 3
	v_mov_b32_e32 v12, 0
	v_mov_b32_e32 v6, 0
	;; [unrolled: 1-line block ×8, first 2 shown]
	s_add_u32 s0, s0, s26
	s_addc_u32 s1, s1, s27
	s_lshl_b32 s8, s6, 5
	s_load_dwordx2 s[22:23], s[0:1], 0x0
	s_lshl_b32 s28, s7, 5
	s_cmp_lt_i32 s21, 1
	s_cselect_b32 s0, -1, 0
	s_or_b32 s0, s16, s0
	s_and_b32 vcc_lo, exec_lo, s0
	s_cbranch_vccnz .LBB326_10
; %bb.4:
	s_clause 0x2
	s_load_dword s6, s[4:5], 0x18
	s_load_dword s24, s[4:5], 0x30
	s_load_dwordx4 s[16:19], s[4:5], 0x20
	v_lshl_add_u32 v2, v1, 4, v0
	v_and_b32_e32 v18, 7, v0
	v_mov_b32_e32 v12, 0
	v_lshlrev_b32_e32 v22, 3, v0
	v_lshl_add_u32 v23, v1, 6, 0x800
	v_and_b32_e32 v3, 31, v2
	v_lshrrev_b32_e32 v4, 3, v2
	v_lshlrev_b32_e32 v5, 3, v18
	v_lshrrev_b32_e32 v19, 5, v2
	v_mov_b32_e32 v13, 0
	v_or_b32_e32 v6, s8, v3
	v_lshlrev_b32_e32 v7, 3, v3
	v_lshl_or_b32 v8, v4, 6, v5
	v_add_nc_u32_e32 v2, s28, v4
	v_add_nc_u32_e32 v4, s8, v3
	v_cmp_gt_i32_e32 vcc_lo, s20, v6
	v_lshl_or_b32 v20, v19, 8, v7
	s_waitcnt lgkmcnt(0)
	s_ashr_i32 s7, s6, 31
	s_ashr_i32 s25, s24, 31
	v_mad_i64_i32 v[5:6], null, v19, s6, 0
	s_add_u32 s18, s18, s26
	s_addc_u32 s19, s19, s27
	s_add_u32 s2, s2, s26
	s_addc_u32 s3, s3, s27
	s_load_dwordx2 s[18:19], s[18:19], 0x0
	s_load_dwordx2 s[2:3], s[2:3], 0x0
	v_add_nc_u32_e32 v21, 0x800, v8
	v_lshlrev_b64 v[6:7], 3, v[5:6]
	v_mad_i64_i32 v[8:9], null, s24, v18, 0
	v_ashrrev_i32_e32 v5, 31, v4
	s_lshl_b64 s[16:17], s[16:17], 3
	v_ashrrev_i32_e32 v3, 31, v2
	v_add_co_u32 v10, s1, v6, s16
	v_lshlrev_b64 v[4:5], 3, v[4:5]
	v_add_co_ci_u32_e64 v11, null, s17, v7, s1
	v_lshlrev_b64 v[6:7], 3, v[8:9]
	s_lshl_b64 s[12:13], s[12:13], 3
	v_cmp_gt_i32_e64 s0, s20, v2
	v_add_co_u32 v4, s1, v10, v4
	v_lshlrev_b64 v[2:3], 3, v[2:3]
	v_add_co_ci_u32_e64 v5, null, v11, v5, s1
	v_add_co_u32 v6, s1, v6, s12
	v_add_co_ci_u32_e64 v7, null, s13, v7, s1
	s_waitcnt lgkmcnt(0)
	v_add_co_u32 v8, s1, s2, v4
	v_add_co_ci_u32_e64 v9, null, s3, v5, s1
	v_add_co_u32 v10, s1, v6, v2
	v_add_co_ci_u32_e64 v11, null, v7, v3, s1
	v_mov_b32_e32 v2, 0
	v_add_co_u32 v10, s1, s18, v10
	v_mov_b32_e32 v4, 0
	v_mov_b32_e32 v6, 0
	;; [unrolled: 1-line block ×5, first 2 shown]
	v_add_co_ci_u32_e64 v11, null, s19, v11, s1
	s_lshl_b64 s[2:3], s[6:7], 6
	s_lshl_b64 s[6:7], s[24:25], 6
	s_branch .LBB326_6
.LBB326_5:                              ;   in Loop: Header=BB326_6 Depth=1
	s_or_b32 exec_lo, exec_lo, s1
	s_waitcnt vmcnt(0) lgkmcnt(0)
	ds_write_b64 v21, v[16:17]
	s_waitcnt lgkmcnt(0)
	s_barrier
	buffer_gl0_inv
	ds_read_b128 v[14:17], v23
	ds_read2_b64 v[24:27], v22 offset1:16
	ds_read_b128 v[28:31], v23 offset:1024
	ds_read_b128 v[32:35], v23 offset:16
	ds_read2_b64 v[36:39], v22 offset0:32 offset1:48
	ds_read_b128 v[40:43], v23 offset:1040
	v_add_co_u32 v8, s1, v8, s2
	v_add_co_ci_u32_e64 v9, null, s3, v9, s1
	v_add_co_u32 v10, s1, v10, s6
	v_add_co_ci_u32_e64 v11, null, s7, v11, s1
	s_add_i32 s9, s9, 8
	s_cmp_lt_i32 s9, s21
	s_waitcnt lgkmcnt(4)
	v_fma_f64 v[12:13], v[24:25], v[14:15], v[12:13]
	v_fma_f64 v[6:7], v[26:27], v[14:15], v[6:7]
	s_waitcnt lgkmcnt(3)
	v_fma_f64 v[14:15], v[24:25], v[28:29], v[4:5]
	v_fma_f64 v[24:25], v[26:27], v[28:29], v[2:3]
	ds_read2_b64 v[2:5], v22 offset0:64 offset1:80
	s_waitcnt lgkmcnt(2)
	v_fma_f64 v[26:27], v[36:37], v[16:17], v[12:13]
	v_fma_f64 v[6:7], v[38:39], v[16:17], v[6:7]
	;; [unrolled: 1-line block ×4, first 2 shown]
	ds_read2_b64 v[12:15], v22 offset0:96 offset1:112
	s_waitcnt lgkmcnt(1)
	v_fma_f64 v[28:29], v[2:3], v[32:33], v[26:27]
	v_fma_f64 v[6:7], v[4:5], v[32:33], v[6:7]
	;; [unrolled: 1-line block ×4, first 2 shown]
	ds_read_b128 v[2:5], v23 offset:32
	ds_read2_b64 v[24:27], v22 offset0:128 offset1:144
	s_waitcnt lgkmcnt(2)
	v_fma_f64 v[40:41], v[12:13], v[34:35], v[28:29]
	v_fma_f64 v[6:7], v[14:15], v[34:35], v[6:7]
	;; [unrolled: 1-line block ×4, first 2 shown]
	ds_read_b128 v[12:15], v23 offset:1056
	ds_read_b128 v[28:31], v23 offset:48
	ds_read2_b64 v[32:35], v22 offset0:160 offset1:176
	ds_read_b128 v[36:39], v23 offset:1072
	s_waitcnt lgkmcnt(4)
	v_fma_f64 v[40:41], v[24:25], v[2:3], v[40:41]
	v_fma_f64 v[2:3], v[26:27], v[2:3], v[6:7]
	s_waitcnt lgkmcnt(3)
	v_fma_f64 v[6:7], v[24:25], v[12:13], v[16:17]
	v_fma_f64 v[12:13], v[26:27], v[12:13], v[42:43]
	ds_read2_b64 v[24:27], v22 offset0:192 offset1:208
	s_waitcnt lgkmcnt(2)
	v_fma_f64 v[40:41], v[32:33], v[4:5], v[40:41]
	v_fma_f64 v[2:3], v[34:35], v[4:5], v[2:3]
	;; [unrolled: 1-line block ×4, first 2 shown]
	ds_read2_b64 v[14:17], v22 offset0:224 offset1:240
	s_waitcnt lgkmcnt(0)
	s_barrier
	buffer_gl0_inv
	v_fma_f64 v[12:13], v[24:25], v[28:29], v[40:41]
	v_fma_f64 v[2:3], v[26:27], v[28:29], v[2:3]
	;; [unrolled: 1-line block ×8, first 2 shown]
	s_cbranch_scc0 .LBB326_10
.LBB326_6:                              ; =>This Inner Loop Header: Depth=1
	v_add_nc_u32_e32 v14, s9, v19
	v_cmp_gt_i32_e64 s1, s21, v14
	v_mov_b32_e32 v14, 0
	v_mov_b32_e32 v15, 0
	s_and_b32 s12, vcc_lo, s1
	s_and_saveexec_b32 s1, s12
	s_cbranch_execz .LBB326_8
; %bb.7:                                ;   in Loop: Header=BB326_6 Depth=1
	flat_load_dwordx2 v[14:15], v[8:9]
.LBB326_8:                              ;   in Loop: Header=BB326_6 Depth=1
	s_or_b32 exec_lo, exec_lo, s1
	v_add_nc_u32_e32 v16, s9, v18
	s_waitcnt vmcnt(0) lgkmcnt(0)
	ds_write_b64 v20, v[14:15]
	v_cmp_gt_i32_e64 s1, s21, v16
	v_mov_b32_e32 v16, 0
	v_mov_b32_e32 v17, 0
	s_and_b32 s12, s1, s0
	s_and_saveexec_b32 s1, s12
	s_cbranch_execz .LBB326_5
; %bb.9:                                ;   in Loop: Header=BB326_6 Depth=1
	flat_load_dwordx2 v[16:17], v[10:11]
	s_branch .LBB326_5
.LBB326_10:
	s_clause 0x1
	s_load_dword s2, s[4:5], 0x50
	s_load_dwordx2 s[4:5], s[4:5], 0x58
	v_add_nc_u32_e32 v15, s28, v1
	v_add_nc_u32_e32 v0, s8, v0
	v_cmp_gt_i32_e64 s0, s20, v15
	v_cmp_le_i32_e32 vcc_lo, v0, v15
	v_ashrrev_i32_e32 v1, 31, v0
	s_waitcnt lgkmcnt(0)
	v_mad_i64_i32 v[8:9], null, v15, s2, 0
	s_lshl_b64 s[4:5], s[4:5], 3
	s_add_u32 s3, s22, s4
	s_addc_u32 s4, s23, s5
	v_cmp_neq_f64_e64 s5, s[10:11], 0
	s_and_b32 s6, s0, vcc_lo
	v_lshlrev_b64 v[8:9], 3, v[8:9]
	v_add_co_u32 v16, s1, s3, v8
	v_add_co_ci_u32_e64 v17, null, s4, v9, s1
	v_cndmask_b32_e64 v14, 0, 1, s5
	s_and_saveexec_b32 s1, s6
	s_cbranch_execz .LBB326_14
; %bb.11:
	v_mul_f64 v[8:9], s[14:15], v[12:13]
	v_lshlrev_b64 v[10:11], 3, v[0:1]
	v_add_co_u32 v10, vcc_lo, v16, v10
	v_add_co_ci_u32_e64 v11, null, v17, v11, vcc_lo
	s_andn2_b32 vcc_lo, exec_lo, s5
	s_cbranch_vccnz .LBB326_13
; %bb.12:
	flat_load_dwordx2 v[12:13], v[10:11]
	s_waitcnt vmcnt(0) lgkmcnt(0)
	v_fma_f64 v[8:9], s[10:11], v[12:13], v[8:9]
.LBB326_13:
	flat_store_dwordx2 v[10:11], v[8:9]
.LBB326_14:
	s_or_b32 exec_lo, exec_lo, s1
	v_add_nc_u32_e32 v8, 16, v0
	v_cmp_le_i32_e32 vcc_lo, v8, v15
	v_ashrrev_i32_e32 v9, 31, v8
	s_and_b32 s0, s0, vcc_lo
	s_and_saveexec_b32 s1, s0
	s_cbranch_execz .LBB326_18
; %bb.15:
	v_mul_f64 v[6:7], s[14:15], v[6:7]
	v_lshlrev_b64 v[10:11], 3, v[8:9]
	v_cmp_ne_u32_e32 vcc_lo, 1, v14
	v_add_co_u32 v10, s0, v16, v10
	v_add_co_ci_u32_e64 v11, null, v17, v11, s0
	s_cbranch_vccnz .LBB326_17
; %bb.16:
	flat_load_dwordx2 v[12:13], v[10:11]
	s_waitcnt vmcnt(0) lgkmcnt(0)
	v_fma_f64 v[6:7], s[10:11], v[12:13], v[6:7]
.LBB326_17:
	flat_store_dwordx2 v[10:11], v[6:7]
.LBB326_18:
	s_or_b32 exec_lo, exec_lo, s1
	v_add_nc_u32_e32 v10, 16, v15
	v_mad_i64_i32 v[6:7], null, v10, s2, 0
	v_cmp_gt_i32_e64 s0, s20, v10
	v_cmp_le_i32_e32 vcc_lo, v0, v10
	v_lshlrev_b64 v[6:7], 3, v[6:7]
	v_add_co_u32 v6, s1, s3, v6
	v_add_co_ci_u32_e64 v7, null, s4, v7, s1
	s_and_b32 s1, s0, vcc_lo
	s_and_saveexec_b32 s2, s1
	s_cbranch_execz .LBB326_22
; %bb.19:
	v_mul_f64 v[4:5], s[14:15], v[4:5]
	v_lshlrev_b64 v[0:1], 3, v[0:1]
	v_cmp_ne_u32_e32 vcc_lo, 1, v14
	v_add_co_u32 v0, s1, v6, v0
	v_add_co_ci_u32_e64 v1, null, v7, v1, s1
	s_cbranch_vccnz .LBB326_21
; %bb.20:
	flat_load_dwordx2 v[11:12], v[0:1]
	s_waitcnt vmcnt(0) lgkmcnt(0)
	v_fma_f64 v[4:5], s[10:11], v[11:12], v[4:5]
.LBB326_21:
	flat_store_dwordx2 v[0:1], v[4:5]
.LBB326_22:
	s_or_b32 exec_lo, exec_lo, s2
	v_cmp_le_i32_e32 vcc_lo, v8, v10
	s_and_b32 s0, s0, vcc_lo
	s_and_saveexec_b32 s1, s0
	s_cbranch_execz .LBB326_26
; %bb.23:
	v_mul_f64 v[0:1], s[14:15], v[2:3]
	v_lshlrev_b64 v[2:3], 3, v[8:9]
	v_cmp_ne_u32_e32 vcc_lo, 1, v14
	v_add_co_u32 v2, s0, v6, v2
	v_add_co_ci_u32_e64 v3, null, v7, v3, s0
	s_cbranch_vccnz .LBB326_25
; %bb.24:
	flat_load_dwordx2 v[4:5], v[2:3]
	s_waitcnt vmcnt(0) lgkmcnt(0)
	v_fma_f64 v[0:1], s[10:11], v[4:5], v[0:1]
.LBB326_25:
	flat_store_dwordx2 v[2:3], v[0:1]
.LBB326_26:
	s_endpgm
	.section	.rodata,"a",@progbits
	.p2align	6, 0x0
	.amdhsa_kernel _ZL29rocblas_internal_gemmt_kernelIiLi16ELi32ELi8ELc78ELc67ELc85ELb0ELb0EdPKdPKS1_PKPdEviT_T9_T10_S7_lS9_S7_lS8_T11_S7_li
		.amdhsa_group_segment_fixed_size 4096
		.amdhsa_private_segment_fixed_size 0
		.amdhsa_kernarg_size 100
		.amdhsa_user_sgpr_count 6
		.amdhsa_user_sgpr_private_segment_buffer 1
		.amdhsa_user_sgpr_dispatch_ptr 0
		.amdhsa_user_sgpr_queue_ptr 0
		.amdhsa_user_sgpr_kernarg_segment_ptr 1
		.amdhsa_user_sgpr_dispatch_id 0
		.amdhsa_user_sgpr_flat_scratch_init 0
		.amdhsa_user_sgpr_private_segment_size 0
		.amdhsa_wavefront_size32 1
		.amdhsa_uses_dynamic_stack 0
		.amdhsa_system_sgpr_private_segment_wavefront_offset 0
		.amdhsa_system_sgpr_workgroup_id_x 1
		.amdhsa_system_sgpr_workgroup_id_y 1
		.amdhsa_system_sgpr_workgroup_id_z 1
		.amdhsa_system_sgpr_workgroup_info 0
		.amdhsa_system_vgpr_workitem_id 1
		.amdhsa_next_free_vgpr 44
		.amdhsa_next_free_sgpr 29
		.amdhsa_reserve_vcc 1
		.amdhsa_reserve_flat_scratch 0
		.amdhsa_float_round_mode_32 0
		.amdhsa_float_round_mode_16_64 0
		.amdhsa_float_denorm_mode_32 3
		.amdhsa_float_denorm_mode_16_64 3
		.amdhsa_dx10_clamp 1
		.amdhsa_ieee_mode 1
		.amdhsa_fp16_overflow 0
		.amdhsa_workgroup_processor_mode 1
		.amdhsa_memory_ordered 1
		.amdhsa_forward_progress 1
		.amdhsa_shared_vgpr_count 0
		.amdhsa_exception_fp_ieee_invalid_op 0
		.amdhsa_exception_fp_denorm_src 0
		.amdhsa_exception_fp_ieee_div_zero 0
		.amdhsa_exception_fp_ieee_overflow 0
		.amdhsa_exception_fp_ieee_underflow 0
		.amdhsa_exception_fp_ieee_inexact 0
		.amdhsa_exception_int_div_zero 0
	.end_amdhsa_kernel
	.section	.text._ZL29rocblas_internal_gemmt_kernelIiLi16ELi32ELi8ELc78ELc67ELc85ELb0ELb0EdPKdPKS1_PKPdEviT_T9_T10_S7_lS9_S7_lS8_T11_S7_li,"axG",@progbits,_ZL29rocblas_internal_gemmt_kernelIiLi16ELi32ELi8ELc78ELc67ELc85ELb0ELb0EdPKdPKS1_PKPdEviT_T9_T10_S7_lS9_S7_lS8_T11_S7_li,comdat
.Lfunc_end326:
	.size	_ZL29rocblas_internal_gemmt_kernelIiLi16ELi32ELi8ELc78ELc67ELc85ELb0ELb0EdPKdPKS1_PKPdEviT_T9_T10_S7_lS9_S7_lS8_T11_S7_li, .Lfunc_end326-_ZL29rocblas_internal_gemmt_kernelIiLi16ELi32ELi8ELc78ELc67ELc85ELb0ELb0EdPKdPKS1_PKPdEviT_T9_T10_S7_lS9_S7_lS8_T11_S7_li
                                        ; -- End function
	.set _ZL29rocblas_internal_gemmt_kernelIiLi16ELi32ELi8ELc78ELc67ELc85ELb0ELb0EdPKdPKS1_PKPdEviT_T9_T10_S7_lS9_S7_lS8_T11_S7_li.num_vgpr, 44
	.set _ZL29rocblas_internal_gemmt_kernelIiLi16ELi32ELi8ELc78ELc67ELc85ELb0ELb0EdPKdPKS1_PKPdEviT_T9_T10_S7_lS9_S7_lS8_T11_S7_li.num_agpr, 0
	.set _ZL29rocblas_internal_gemmt_kernelIiLi16ELi32ELi8ELc78ELc67ELc85ELb0ELb0EdPKdPKS1_PKPdEviT_T9_T10_S7_lS9_S7_lS8_T11_S7_li.numbered_sgpr, 29
	.set _ZL29rocblas_internal_gemmt_kernelIiLi16ELi32ELi8ELc78ELc67ELc85ELb0ELb0EdPKdPKS1_PKPdEviT_T9_T10_S7_lS9_S7_lS8_T11_S7_li.num_named_barrier, 0
	.set _ZL29rocblas_internal_gemmt_kernelIiLi16ELi32ELi8ELc78ELc67ELc85ELb0ELb0EdPKdPKS1_PKPdEviT_T9_T10_S7_lS9_S7_lS8_T11_S7_li.private_seg_size, 0
	.set _ZL29rocblas_internal_gemmt_kernelIiLi16ELi32ELi8ELc78ELc67ELc85ELb0ELb0EdPKdPKS1_PKPdEviT_T9_T10_S7_lS9_S7_lS8_T11_S7_li.uses_vcc, 1
	.set _ZL29rocblas_internal_gemmt_kernelIiLi16ELi32ELi8ELc78ELc67ELc85ELb0ELb0EdPKdPKS1_PKPdEviT_T9_T10_S7_lS9_S7_lS8_T11_S7_li.uses_flat_scratch, 0
	.set _ZL29rocblas_internal_gemmt_kernelIiLi16ELi32ELi8ELc78ELc67ELc85ELb0ELb0EdPKdPKS1_PKPdEviT_T9_T10_S7_lS9_S7_lS8_T11_S7_li.has_dyn_sized_stack, 0
	.set _ZL29rocblas_internal_gemmt_kernelIiLi16ELi32ELi8ELc78ELc67ELc85ELb0ELb0EdPKdPKS1_PKPdEviT_T9_T10_S7_lS9_S7_lS8_T11_S7_li.has_recursion, 0
	.set _ZL29rocblas_internal_gemmt_kernelIiLi16ELi32ELi8ELc78ELc67ELc85ELb0ELb0EdPKdPKS1_PKPdEviT_T9_T10_S7_lS9_S7_lS8_T11_S7_li.has_indirect_call, 0
	.section	.AMDGPU.csdata,"",@progbits
; Kernel info:
; codeLenInByte = 1696
; TotalNumSgprs: 31
; NumVgprs: 44
; ScratchSize: 0
; MemoryBound: 0
; FloatMode: 240
; IeeeMode: 1
; LDSByteSize: 4096 bytes/workgroup (compile time only)
; SGPRBlocks: 0
; VGPRBlocks: 5
; NumSGPRsForWavesPerEU: 31
; NumVGPRsForWavesPerEU: 44
; Occupancy: 16
; WaveLimiterHint : 1
; COMPUTE_PGM_RSRC2:SCRATCH_EN: 0
; COMPUTE_PGM_RSRC2:USER_SGPR: 6
; COMPUTE_PGM_RSRC2:TRAP_HANDLER: 0
; COMPUTE_PGM_RSRC2:TGID_X_EN: 1
; COMPUTE_PGM_RSRC2:TGID_Y_EN: 1
; COMPUTE_PGM_RSRC2:TGID_Z_EN: 1
; COMPUTE_PGM_RSRC2:TIDIG_COMP_CNT: 1
	.section	.text._ZL29rocblas_internal_gemmt_kernelIiLi16ELi32ELi8ELc84ELc78ELc85ELb0ELb0EdPKdPKS1_PKPdEviT_T9_T10_S7_lS9_S7_lS8_T11_S7_li,"axG",@progbits,_ZL29rocblas_internal_gemmt_kernelIiLi16ELi32ELi8ELc84ELc78ELc85ELb0ELb0EdPKdPKS1_PKPdEviT_T9_T10_S7_lS9_S7_lS8_T11_S7_li,comdat
	.globl	_ZL29rocblas_internal_gemmt_kernelIiLi16ELi32ELi8ELc84ELc78ELc85ELb0ELb0EdPKdPKS1_PKPdEviT_T9_T10_S7_lS9_S7_lS8_T11_S7_li ; -- Begin function _ZL29rocblas_internal_gemmt_kernelIiLi16ELi32ELi8ELc84ELc78ELc85ELb0ELb0EdPKdPKS1_PKPdEviT_T9_T10_S7_lS9_S7_lS8_T11_S7_li
	.p2align	8
	.type	_ZL29rocblas_internal_gemmt_kernelIiLi16ELi32ELi8ELc84ELc78ELc85ELb0ELb0EdPKdPKS1_PKPdEviT_T9_T10_S7_lS9_S7_lS8_T11_S7_li,@function
_ZL29rocblas_internal_gemmt_kernelIiLi16ELi32ELi8ELc84ELc78ELc85ELb0ELb0EdPKdPKS1_PKPdEviT_T9_T10_S7_lS9_S7_lS8_T11_S7_li: ; @_ZL29rocblas_internal_gemmt_kernelIiLi16ELi32ELi8ELc84ELc78ELc85ELb0ELb0EdPKdPKS1_PKPdEviT_T9_T10_S7_lS9_S7_lS8_T11_S7_li
; %bb.0:
	s_load_dwordx4 s[12:15], s[4:5], 0x38
	s_waitcnt lgkmcnt(0)
	s_load_dwordx2 s[10:11], s[14:15], 0x0
	s_clause 0x1
	s_load_dwordx4 s[0:3], s[4:5], 0x8
	s_load_dwordx2 s[20:21], s[4:5], 0x0
	s_waitcnt lgkmcnt(0)
	s_load_dwordx2 s[14:15], s[0:1], 0x0
	v_cmp_neq_f64_e64 s9, s[10:11], 1.0
	s_and_b32 vcc_lo, exec_lo, s9
	s_cbranch_vccnz .LBB327_2
; %bb.1:
	s_waitcnt lgkmcnt(0)
	v_cmp_neq_f64_e64 s0, s[14:15], 0
	s_cmp_lg_u32 s21, 0
	s_cselect_b32 s1, -1, 0
	s_and_b32 s9, s1, s0
.LBB327_2:
	s_andn2_b32 vcc_lo, exec_lo, s9
	s_cbranch_vccnz .LBB327_26
; %bb.3:
	s_load_dwordx2 s[16:17], s[4:5], 0x48
	s_mov_b32 s9, 0
	s_waitcnt lgkmcnt(0)
	v_cmp_eq_f64_e64 s18, s[14:15], 0
	s_lshl_b64 s[0:1], s[8:9], 3
	v_mov_b32_e32 v12, 0
	v_mov_b32_e32 v6, 0
	;; [unrolled: 1-line block ×8, first 2 shown]
	s_add_u32 s16, s16, s0
	s_addc_u32 s17, s17, s1
	s_lshl_b32 s6, s6, 5
	s_load_dwordx2 s[22:23], s[16:17], 0x0
	s_lshl_b32 s7, s7, 5
	s_cmp_lt_i32 s21, 1
	s_cselect_b32 s8, -1, 0
	s_or_b32 s8, s18, s8
	s_and_b32 vcc_lo, exec_lo, s8
	s_cbranch_vccnz .LBB327_10
; %bb.4:
	s_clause 0x2
	s_load_dword s8, s[4:5], 0x18
	s_load_dwordx4 s[16:19], s[4:5], 0x20
	s_load_dword s24, s[4:5], 0x30
	v_lshl_add_u32 v2, v1, 4, v0
	v_and_b32_e32 v18, 7, v0
	v_mov_b32_e32 v12, 0
	v_lshlrev_b32_e32 v19, 3, v0
	v_lshl_add_u32 v20, v1, 6, 0x800
	v_and_b32_e32 v4, 31, v2
	v_lshrrev_b32_e32 v3, 3, v2
	v_lshrrev_b32_e32 v21, 5, v2
	v_lshlrev_b32_e32 v6, 3, v18
	v_mov_b32_e32 v13, 0
	v_or_b32_e32 v2, s6, v4
	v_lshlrev_b32_e32 v7, 3, v4
	v_add_nc_u32_e32 v4, s6, v4
	v_add_nc_u32_e32 v5, s7, v3
	v_lshl_or_b32 v8, v3, 6, v6
	v_cmp_gt_i32_e32 vcc_lo, s20, v2
	v_lshl_or_b32 v22, v21, 8, v7
	s_waitcnt lgkmcnt(0)
	v_mad_i64_i32 v[2:3], null, s8, v4, 0
	s_add_u32 s18, s18, s0
	s_addc_u32 s19, s19, s1
	s_add_u32 s2, s2, s0
	s_addc_u32 s3, s3, s1
	v_cmp_gt_i32_e64 s0, s20, v5
	s_load_dwordx2 s[2:3], s[2:3], 0x0
	v_lshlrev_b64 v[2:3], 3, v[2:3]
	v_mad_i64_i32 v[4:5], null, s24, v5, 0
	s_load_dwordx2 s[18:19], s[18:19], 0x0
	s_lshl_b64 s[16:17], s[16:17], 3
	v_lshlrev_b32_e32 v9, 3, v21
	v_add_co_u32 v7, s1, v2, s16
	v_add_nc_u32_e32 v23, 0x800, v8
	v_add_co_ci_u32_e64 v8, null, s17, v3, s1
	v_lshlrev_b64 v[2:3], 3, v[4:5]
	v_add_co_u32 v4, s1, v7, v9
	s_lshl_b64 s[12:13], s[12:13], 3
	v_add_co_ci_u32_e64 v5, null, 0, v8, s1
	v_add_co_u32 v2, s1, v2, s12
	v_add_co_ci_u32_e64 v3, null, s13, v3, s1
	s_waitcnt lgkmcnt(0)
	v_add_co_u32 v8, s1, s2, v4
	v_add_co_ci_u32_e64 v9, null, s3, v5, s1
	v_add_co_u32 v10, s1, v2, v6
	v_add_co_ci_u32_e64 v11, null, 0, v3, s1
	v_mov_b32_e32 v2, 0
	v_add_co_u32 v10, s1, s18, v10
	v_mov_b32_e32 v4, 0
	v_mov_b32_e32 v6, 0
	;; [unrolled: 1-line block ×5, first 2 shown]
	v_add_co_ci_u32_e64 v11, null, s19, v11, s1
	s_branch .LBB327_6
.LBB327_5:                              ;   in Loop: Header=BB327_6 Depth=1
	s_or_b32 exec_lo, exec_lo, s1
	s_waitcnt vmcnt(0) lgkmcnt(0)
	ds_write_b64 v23, v[16:17]
	s_waitcnt lgkmcnt(0)
	s_barrier
	buffer_gl0_inv
	ds_read_b128 v[14:17], v20
	ds_read2_b64 v[24:27], v19 offset1:16
	ds_read_b128 v[28:31], v20 offset:1024
	ds_read_b128 v[32:35], v20 offset:16
	ds_read2_b64 v[36:39], v19 offset0:32 offset1:48
	ds_read_b128 v[40:43], v20 offset:1040
	v_add_co_u32 v8, s1, v8, 64
	v_add_co_ci_u32_e64 v9, null, 0, v9, s1
	v_add_co_u32 v10, s1, v10, 64
	v_add_co_ci_u32_e64 v11, null, 0, v11, s1
	s_add_i32 s9, s9, 8
	s_cmp_lt_i32 s9, s21
	s_waitcnt lgkmcnt(4)
	v_fma_f64 v[12:13], v[24:25], v[14:15], v[12:13]
	v_fma_f64 v[6:7], v[26:27], v[14:15], v[6:7]
	s_waitcnt lgkmcnt(3)
	v_fma_f64 v[14:15], v[24:25], v[28:29], v[4:5]
	v_fma_f64 v[24:25], v[26:27], v[28:29], v[2:3]
	ds_read2_b64 v[2:5], v19 offset0:64 offset1:80
	s_waitcnt lgkmcnt(2)
	v_fma_f64 v[26:27], v[36:37], v[16:17], v[12:13]
	v_fma_f64 v[6:7], v[38:39], v[16:17], v[6:7]
	;; [unrolled: 1-line block ×4, first 2 shown]
	ds_read2_b64 v[12:15], v19 offset0:96 offset1:112
	s_waitcnt lgkmcnt(1)
	v_fma_f64 v[28:29], v[2:3], v[32:33], v[26:27]
	v_fma_f64 v[6:7], v[4:5], v[32:33], v[6:7]
	;; [unrolled: 1-line block ×4, first 2 shown]
	ds_read_b128 v[2:5], v20 offset:32
	ds_read2_b64 v[24:27], v19 offset0:128 offset1:144
	s_waitcnt lgkmcnt(2)
	v_fma_f64 v[40:41], v[12:13], v[34:35], v[28:29]
	v_fma_f64 v[6:7], v[14:15], v[34:35], v[6:7]
	;; [unrolled: 1-line block ×4, first 2 shown]
	ds_read_b128 v[12:15], v20 offset:1056
	ds_read_b128 v[28:31], v20 offset:48
	ds_read2_b64 v[32:35], v19 offset0:160 offset1:176
	ds_read_b128 v[36:39], v20 offset:1072
	s_waitcnt lgkmcnt(4)
	v_fma_f64 v[40:41], v[24:25], v[2:3], v[40:41]
	v_fma_f64 v[2:3], v[26:27], v[2:3], v[6:7]
	s_waitcnt lgkmcnt(3)
	v_fma_f64 v[6:7], v[24:25], v[12:13], v[16:17]
	v_fma_f64 v[12:13], v[26:27], v[12:13], v[42:43]
	ds_read2_b64 v[24:27], v19 offset0:192 offset1:208
	s_waitcnt lgkmcnt(2)
	v_fma_f64 v[40:41], v[32:33], v[4:5], v[40:41]
	v_fma_f64 v[2:3], v[34:35], v[4:5], v[2:3]
	;; [unrolled: 1-line block ×4, first 2 shown]
	ds_read2_b64 v[14:17], v19 offset0:224 offset1:240
	s_waitcnt lgkmcnt(0)
	s_barrier
	buffer_gl0_inv
	v_fma_f64 v[12:13], v[24:25], v[28:29], v[40:41]
	v_fma_f64 v[2:3], v[26:27], v[28:29], v[2:3]
	;; [unrolled: 1-line block ×8, first 2 shown]
	s_cbranch_scc0 .LBB327_10
.LBB327_6:                              ; =>This Inner Loop Header: Depth=1
	v_add_nc_u32_e32 v14, s9, v21
	v_cmp_gt_i32_e64 s1, s21, v14
	v_mov_b32_e32 v14, 0
	v_mov_b32_e32 v15, 0
	s_and_b32 s2, vcc_lo, s1
	s_and_saveexec_b32 s1, s2
	s_cbranch_execz .LBB327_8
; %bb.7:                                ;   in Loop: Header=BB327_6 Depth=1
	flat_load_dwordx2 v[14:15], v[8:9]
.LBB327_8:                              ;   in Loop: Header=BB327_6 Depth=1
	s_or_b32 exec_lo, exec_lo, s1
	v_add_nc_u32_e32 v16, s9, v18
	s_waitcnt vmcnt(0) lgkmcnt(0)
	ds_write_b64 v22, v[14:15]
	v_cmp_gt_i32_e64 s1, s21, v16
	v_mov_b32_e32 v16, 0
	v_mov_b32_e32 v17, 0
	s_and_b32 s2, s1, s0
	s_and_saveexec_b32 s1, s2
	s_cbranch_execz .LBB327_5
; %bb.9:                                ;   in Loop: Header=BB327_6 Depth=1
	flat_load_dwordx2 v[16:17], v[10:11]
	s_branch .LBB327_5
.LBB327_10:
	s_clause 0x1
	s_load_dword s2, s[4:5], 0x50
	s_load_dwordx2 s[4:5], s[4:5], 0x58
	v_add_nc_u32_e32 v15, s7, v1
	v_add_nc_u32_e32 v0, s6, v0
	v_cmp_gt_i32_e64 s0, s20, v15
	v_cmp_le_i32_e32 vcc_lo, v0, v15
	v_ashrrev_i32_e32 v1, 31, v0
	s_waitcnt lgkmcnt(0)
	v_mad_i64_i32 v[8:9], null, v15, s2, 0
	s_lshl_b64 s[4:5], s[4:5], 3
	s_add_u32 s3, s22, s4
	s_addc_u32 s4, s23, s5
	v_cmp_neq_f64_e64 s5, s[10:11], 0
	s_and_b32 s6, s0, vcc_lo
	v_lshlrev_b64 v[8:9], 3, v[8:9]
	v_add_co_u32 v16, s1, s3, v8
	v_add_co_ci_u32_e64 v17, null, s4, v9, s1
	v_cndmask_b32_e64 v14, 0, 1, s5
	s_and_saveexec_b32 s1, s6
	s_cbranch_execz .LBB327_14
; %bb.11:
	v_mul_f64 v[8:9], s[14:15], v[12:13]
	v_lshlrev_b64 v[10:11], 3, v[0:1]
	v_add_co_u32 v10, vcc_lo, v16, v10
	v_add_co_ci_u32_e64 v11, null, v17, v11, vcc_lo
	s_andn2_b32 vcc_lo, exec_lo, s5
	s_cbranch_vccnz .LBB327_13
; %bb.12:
	flat_load_dwordx2 v[12:13], v[10:11]
	s_waitcnt vmcnt(0) lgkmcnt(0)
	v_fma_f64 v[8:9], s[10:11], v[12:13], v[8:9]
.LBB327_13:
	flat_store_dwordx2 v[10:11], v[8:9]
.LBB327_14:
	s_or_b32 exec_lo, exec_lo, s1
	v_add_nc_u32_e32 v8, 16, v0
	v_cmp_le_i32_e32 vcc_lo, v8, v15
	v_ashrrev_i32_e32 v9, 31, v8
	s_and_b32 s0, s0, vcc_lo
	s_and_saveexec_b32 s1, s0
	s_cbranch_execz .LBB327_18
; %bb.15:
	v_mul_f64 v[6:7], s[14:15], v[6:7]
	v_lshlrev_b64 v[10:11], 3, v[8:9]
	v_cmp_ne_u32_e32 vcc_lo, 1, v14
	v_add_co_u32 v10, s0, v16, v10
	v_add_co_ci_u32_e64 v11, null, v17, v11, s0
	s_cbranch_vccnz .LBB327_17
; %bb.16:
	flat_load_dwordx2 v[12:13], v[10:11]
	s_waitcnt vmcnt(0) lgkmcnt(0)
	v_fma_f64 v[6:7], s[10:11], v[12:13], v[6:7]
.LBB327_17:
	flat_store_dwordx2 v[10:11], v[6:7]
.LBB327_18:
	s_or_b32 exec_lo, exec_lo, s1
	v_add_nc_u32_e32 v10, 16, v15
	v_mad_i64_i32 v[6:7], null, v10, s2, 0
	v_cmp_gt_i32_e64 s0, s20, v10
	v_cmp_le_i32_e32 vcc_lo, v0, v10
	v_lshlrev_b64 v[6:7], 3, v[6:7]
	v_add_co_u32 v6, s1, s3, v6
	v_add_co_ci_u32_e64 v7, null, s4, v7, s1
	s_and_b32 s1, s0, vcc_lo
	s_and_saveexec_b32 s2, s1
	s_cbranch_execz .LBB327_22
; %bb.19:
	v_mul_f64 v[4:5], s[14:15], v[4:5]
	v_lshlrev_b64 v[0:1], 3, v[0:1]
	v_cmp_ne_u32_e32 vcc_lo, 1, v14
	v_add_co_u32 v0, s1, v6, v0
	v_add_co_ci_u32_e64 v1, null, v7, v1, s1
	s_cbranch_vccnz .LBB327_21
; %bb.20:
	flat_load_dwordx2 v[11:12], v[0:1]
	s_waitcnt vmcnt(0) lgkmcnt(0)
	v_fma_f64 v[4:5], s[10:11], v[11:12], v[4:5]
.LBB327_21:
	flat_store_dwordx2 v[0:1], v[4:5]
.LBB327_22:
	s_or_b32 exec_lo, exec_lo, s2
	v_cmp_le_i32_e32 vcc_lo, v8, v10
	s_and_b32 s0, s0, vcc_lo
	s_and_saveexec_b32 s1, s0
	s_cbranch_execz .LBB327_26
; %bb.23:
	v_mul_f64 v[0:1], s[14:15], v[2:3]
	v_lshlrev_b64 v[2:3], 3, v[8:9]
	v_cmp_ne_u32_e32 vcc_lo, 1, v14
	v_add_co_u32 v2, s0, v6, v2
	v_add_co_ci_u32_e64 v3, null, v7, v3, s0
	s_cbranch_vccnz .LBB327_25
; %bb.24:
	flat_load_dwordx2 v[4:5], v[2:3]
	s_waitcnt vmcnt(0) lgkmcnt(0)
	v_fma_f64 v[0:1], s[10:11], v[4:5], v[0:1]
.LBB327_25:
	flat_store_dwordx2 v[2:3], v[0:1]
.LBB327_26:
	s_endpgm
	.section	.rodata,"a",@progbits
	.p2align	6, 0x0
	.amdhsa_kernel _ZL29rocblas_internal_gemmt_kernelIiLi16ELi32ELi8ELc84ELc78ELc85ELb0ELb0EdPKdPKS1_PKPdEviT_T9_T10_S7_lS9_S7_lS8_T11_S7_li
		.amdhsa_group_segment_fixed_size 4096
		.amdhsa_private_segment_fixed_size 0
		.amdhsa_kernarg_size 100
		.amdhsa_user_sgpr_count 6
		.amdhsa_user_sgpr_private_segment_buffer 1
		.amdhsa_user_sgpr_dispatch_ptr 0
		.amdhsa_user_sgpr_queue_ptr 0
		.amdhsa_user_sgpr_kernarg_segment_ptr 1
		.amdhsa_user_sgpr_dispatch_id 0
		.amdhsa_user_sgpr_flat_scratch_init 0
		.amdhsa_user_sgpr_private_segment_size 0
		.amdhsa_wavefront_size32 1
		.amdhsa_uses_dynamic_stack 0
		.amdhsa_system_sgpr_private_segment_wavefront_offset 0
		.amdhsa_system_sgpr_workgroup_id_x 1
		.amdhsa_system_sgpr_workgroup_id_y 1
		.amdhsa_system_sgpr_workgroup_id_z 1
		.amdhsa_system_sgpr_workgroup_info 0
		.amdhsa_system_vgpr_workitem_id 1
		.amdhsa_next_free_vgpr 44
		.amdhsa_next_free_sgpr 25
		.amdhsa_reserve_vcc 1
		.amdhsa_reserve_flat_scratch 0
		.amdhsa_float_round_mode_32 0
		.amdhsa_float_round_mode_16_64 0
		.amdhsa_float_denorm_mode_32 3
		.amdhsa_float_denorm_mode_16_64 3
		.amdhsa_dx10_clamp 1
		.amdhsa_ieee_mode 1
		.amdhsa_fp16_overflow 0
		.amdhsa_workgroup_processor_mode 1
		.amdhsa_memory_ordered 1
		.amdhsa_forward_progress 1
		.amdhsa_shared_vgpr_count 0
		.amdhsa_exception_fp_ieee_invalid_op 0
		.amdhsa_exception_fp_denorm_src 0
		.amdhsa_exception_fp_ieee_div_zero 0
		.amdhsa_exception_fp_ieee_overflow 0
		.amdhsa_exception_fp_ieee_underflow 0
		.amdhsa_exception_fp_ieee_inexact 0
		.amdhsa_exception_int_div_zero 0
	.end_amdhsa_kernel
	.section	.text._ZL29rocblas_internal_gemmt_kernelIiLi16ELi32ELi8ELc84ELc78ELc85ELb0ELb0EdPKdPKS1_PKPdEviT_T9_T10_S7_lS9_S7_lS8_T11_S7_li,"axG",@progbits,_ZL29rocblas_internal_gemmt_kernelIiLi16ELi32ELi8ELc84ELc78ELc85ELb0ELb0EdPKdPKS1_PKPdEviT_T9_T10_S7_lS9_S7_lS8_T11_S7_li,comdat
.Lfunc_end327:
	.size	_ZL29rocblas_internal_gemmt_kernelIiLi16ELi32ELi8ELc84ELc78ELc85ELb0ELb0EdPKdPKS1_PKPdEviT_T9_T10_S7_lS9_S7_lS8_T11_S7_li, .Lfunc_end327-_ZL29rocblas_internal_gemmt_kernelIiLi16ELi32ELi8ELc84ELc78ELc85ELb0ELb0EdPKdPKS1_PKPdEviT_T9_T10_S7_lS9_S7_lS8_T11_S7_li
                                        ; -- End function
	.set _ZL29rocblas_internal_gemmt_kernelIiLi16ELi32ELi8ELc84ELc78ELc85ELb0ELb0EdPKdPKS1_PKPdEviT_T9_T10_S7_lS9_S7_lS8_T11_S7_li.num_vgpr, 44
	.set _ZL29rocblas_internal_gemmt_kernelIiLi16ELi32ELi8ELc84ELc78ELc85ELb0ELb0EdPKdPKS1_PKPdEviT_T9_T10_S7_lS9_S7_lS8_T11_S7_li.num_agpr, 0
	.set _ZL29rocblas_internal_gemmt_kernelIiLi16ELi32ELi8ELc84ELc78ELc85ELb0ELb0EdPKdPKS1_PKPdEviT_T9_T10_S7_lS9_S7_lS8_T11_S7_li.numbered_sgpr, 25
	.set _ZL29rocblas_internal_gemmt_kernelIiLi16ELi32ELi8ELc84ELc78ELc85ELb0ELb0EdPKdPKS1_PKPdEviT_T9_T10_S7_lS9_S7_lS8_T11_S7_li.num_named_barrier, 0
	.set _ZL29rocblas_internal_gemmt_kernelIiLi16ELi32ELi8ELc84ELc78ELc85ELb0ELb0EdPKdPKS1_PKPdEviT_T9_T10_S7_lS9_S7_lS8_T11_S7_li.private_seg_size, 0
	.set _ZL29rocblas_internal_gemmt_kernelIiLi16ELi32ELi8ELc84ELc78ELc85ELb0ELb0EdPKdPKS1_PKPdEviT_T9_T10_S7_lS9_S7_lS8_T11_S7_li.uses_vcc, 1
	.set _ZL29rocblas_internal_gemmt_kernelIiLi16ELi32ELi8ELc84ELc78ELc85ELb0ELb0EdPKdPKS1_PKPdEviT_T9_T10_S7_lS9_S7_lS8_T11_S7_li.uses_flat_scratch, 0
	.set _ZL29rocblas_internal_gemmt_kernelIiLi16ELi32ELi8ELc84ELc78ELc85ELb0ELb0EdPKdPKS1_PKPdEviT_T9_T10_S7_lS9_S7_lS8_T11_S7_li.has_dyn_sized_stack, 0
	.set _ZL29rocblas_internal_gemmt_kernelIiLi16ELi32ELi8ELc84ELc78ELc85ELb0ELb0EdPKdPKS1_PKPdEviT_T9_T10_S7_lS9_S7_lS8_T11_S7_li.has_recursion, 0
	.set _ZL29rocblas_internal_gemmt_kernelIiLi16ELi32ELi8ELc84ELc78ELc85ELb0ELb0EdPKdPKS1_PKPdEviT_T9_T10_S7_lS9_S7_lS8_T11_S7_li.has_indirect_call, 0
	.section	.AMDGPU.csdata,"",@progbits
; Kernel info:
; codeLenInByte = 1660
; TotalNumSgprs: 27
; NumVgprs: 44
; ScratchSize: 0
; MemoryBound: 0
; FloatMode: 240
; IeeeMode: 1
; LDSByteSize: 4096 bytes/workgroup (compile time only)
; SGPRBlocks: 0
; VGPRBlocks: 5
; NumSGPRsForWavesPerEU: 27
; NumVGPRsForWavesPerEU: 44
; Occupancy: 16
; WaveLimiterHint : 1
; COMPUTE_PGM_RSRC2:SCRATCH_EN: 0
; COMPUTE_PGM_RSRC2:USER_SGPR: 6
; COMPUTE_PGM_RSRC2:TRAP_HANDLER: 0
; COMPUTE_PGM_RSRC2:TGID_X_EN: 1
; COMPUTE_PGM_RSRC2:TGID_Y_EN: 1
; COMPUTE_PGM_RSRC2:TGID_Z_EN: 1
; COMPUTE_PGM_RSRC2:TIDIG_COMP_CNT: 1
	.section	.text._ZL29rocblas_internal_gemmt_kernelIiLi16ELi32ELi8ELc84ELc84ELc85ELb0ELb0EdPKdPKS1_PKPdEviT_T9_T10_S7_lS9_S7_lS8_T11_S7_li,"axG",@progbits,_ZL29rocblas_internal_gemmt_kernelIiLi16ELi32ELi8ELc84ELc84ELc85ELb0ELb0EdPKdPKS1_PKPdEviT_T9_T10_S7_lS9_S7_lS8_T11_S7_li,comdat
	.globl	_ZL29rocblas_internal_gemmt_kernelIiLi16ELi32ELi8ELc84ELc84ELc85ELb0ELb0EdPKdPKS1_PKPdEviT_T9_T10_S7_lS9_S7_lS8_T11_S7_li ; -- Begin function _ZL29rocblas_internal_gemmt_kernelIiLi16ELi32ELi8ELc84ELc84ELc85ELb0ELb0EdPKdPKS1_PKPdEviT_T9_T10_S7_lS9_S7_lS8_T11_S7_li
	.p2align	8
	.type	_ZL29rocblas_internal_gemmt_kernelIiLi16ELi32ELi8ELc84ELc84ELc85ELb0ELb0EdPKdPKS1_PKPdEviT_T9_T10_S7_lS9_S7_lS8_T11_S7_li,@function
_ZL29rocblas_internal_gemmt_kernelIiLi16ELi32ELi8ELc84ELc84ELc85ELb0ELb0EdPKdPKS1_PKPdEviT_T9_T10_S7_lS9_S7_lS8_T11_S7_li: ; @_ZL29rocblas_internal_gemmt_kernelIiLi16ELi32ELi8ELc84ELc84ELc85ELb0ELb0EdPKdPKS1_PKPdEviT_T9_T10_S7_lS9_S7_lS8_T11_S7_li
; %bb.0:
	s_load_dwordx4 s[12:15], s[4:5], 0x38
	s_waitcnt lgkmcnt(0)
	s_load_dwordx2 s[10:11], s[14:15], 0x0
	s_clause 0x1
	s_load_dwordx4 s[0:3], s[4:5], 0x8
	s_load_dwordx2 s[20:21], s[4:5], 0x0
	s_waitcnt lgkmcnt(0)
	s_load_dwordx2 s[14:15], s[0:1], 0x0
	v_cmp_neq_f64_e64 s9, s[10:11], 1.0
	s_and_b32 vcc_lo, exec_lo, s9
	s_cbranch_vccnz .LBB328_2
; %bb.1:
	s_waitcnt lgkmcnt(0)
	v_cmp_neq_f64_e64 s0, s[14:15], 0
	s_cmp_lg_u32 s21, 0
	s_cselect_b32 s1, -1, 0
	s_and_b32 s9, s1, s0
.LBB328_2:
	s_andn2_b32 vcc_lo, exec_lo, s9
	s_cbranch_vccnz .LBB328_26
; %bb.3:
	s_load_dwordx2 s[0:1], s[4:5], 0x48
	s_mov_b32 s9, 0
	s_waitcnt lgkmcnt(0)
	v_cmp_eq_f64_e64 s16, s[14:15], 0
	s_lshl_b64 s[24:25], s[8:9], 3
	v_mov_b32_e32 v12, 0
	v_mov_b32_e32 v6, 0
	;; [unrolled: 1-line block ×8, first 2 shown]
	s_add_u32 s0, s0, s24
	s_addc_u32 s1, s1, s25
	s_lshl_b32 s8, s6, 5
	s_load_dwordx2 s[22:23], s[0:1], 0x0
	s_lshl_b32 s26, s7, 5
	s_cmp_lt_i32 s21, 1
	s_cselect_b32 s0, -1, 0
	s_or_b32 s0, s16, s0
	s_and_b32 vcc_lo, exec_lo, s0
	s_cbranch_vccnz .LBB328_10
; %bb.4:
	s_clause 0x2
	s_load_dword s6, s[4:5], 0x30
	s_load_dword s1, s[4:5], 0x18
	s_load_dwordx4 s[16:19], s[4:5], 0x20
	v_lshl_add_u32 v2, v1, 4, v0
	v_and_b32_e32 v18, 7, v0
	v_mov_b32_e32 v12, 0
	v_lshlrev_b32_e32 v22, 3, v0
	v_lshl_add_u32 v23, v1, 6, 0x800
	v_and_b32_e32 v3, 31, v2
	v_lshrrev_b32_e32 v4, 3, v2
	v_lshlrev_b32_e32 v5, 3, v18
	v_lshrrev_b32_e32 v19, 5, v2
	v_mov_b32_e32 v13, 0
	v_or_b32_e32 v6, s8, v3
	v_lshlrev_b32_e32 v7, 3, v3
	v_add_nc_u32_e32 v2, s26, v4
	v_lshl_or_b32 v4, v4, 6, v5
	v_add_nc_u32_e32 v3, s8, v3
	v_cmp_gt_i32_e32 vcc_lo, s20, v6
	v_lshl_or_b32 v20, v19, 8, v7
	v_lshlrev_b32_e32 v8, 3, v19
	v_add_nc_u32_e32 v21, 0x800, v4
	s_waitcnt lgkmcnt(0)
	s_ashr_i32 s7, s6, 31
	v_mad_i64_i32 v[4:5], null, s1, v3, 0
	s_add_u32 s18, s18, s24
	s_addc_u32 s19, s19, s25
	s_add_u32 s2, s2, s24
	s_addc_u32 s3, s3, s25
	s_load_dwordx2 s[18:19], s[18:19], 0x0
	s_load_dwordx2 s[2:3], s[2:3], 0x0
	v_mad_i64_i32 v[6:7], null, s6, v18, 0
	v_lshlrev_b64 v[4:5], 3, v[4:5]
	s_lshl_b64 s[16:17], s[16:17], 3
	v_ashrrev_i32_e32 v3, 31, v2
	s_lshl_b64 s[12:13], s[12:13], 3
	v_cmp_gt_i32_e64 s0, s20, v2
	v_add_co_u32 v9, s1, v4, s16
	v_add_co_ci_u32_e64 v10, null, s17, v5, s1
	v_lshlrev_b64 v[4:5], 3, v[6:7]
	v_add_co_u32 v6, s1, v9, v8
	v_lshlrev_b64 v[2:3], 3, v[2:3]
	v_add_co_ci_u32_e64 v7, null, 0, v10, s1
	v_add_co_u32 v4, s1, v4, s12
	v_add_co_ci_u32_e64 v5, null, s13, v5, s1
	s_waitcnt lgkmcnt(0)
	v_add_co_u32 v8, s1, s2, v6
	v_add_co_ci_u32_e64 v9, null, s3, v7, s1
	v_add_co_u32 v10, s1, v4, v2
	v_add_co_ci_u32_e64 v11, null, v5, v3, s1
	v_mov_b32_e32 v2, 0
	v_add_co_u32 v10, s1, s18, v10
	v_mov_b32_e32 v4, 0
	v_mov_b32_e32 v6, 0
	;; [unrolled: 1-line block ×5, first 2 shown]
	v_add_co_ci_u32_e64 v11, null, s19, v11, s1
	s_lshl_b64 s[2:3], s[6:7], 6
	s_branch .LBB328_6
.LBB328_5:                              ;   in Loop: Header=BB328_6 Depth=1
	s_or_b32 exec_lo, exec_lo, s1
	s_waitcnt vmcnt(0) lgkmcnt(0)
	ds_write_b64 v21, v[16:17]
	s_waitcnt lgkmcnt(0)
	s_barrier
	buffer_gl0_inv
	ds_read_b128 v[14:17], v23
	ds_read2_b64 v[24:27], v22 offset1:16
	ds_read_b128 v[28:31], v23 offset:1024
	ds_read_b128 v[32:35], v23 offset:16
	ds_read2_b64 v[36:39], v22 offset0:32 offset1:48
	ds_read_b128 v[40:43], v23 offset:1040
	v_add_co_u32 v8, s1, v8, 64
	v_add_co_ci_u32_e64 v9, null, 0, v9, s1
	v_add_co_u32 v10, s1, v10, s2
	v_add_co_ci_u32_e64 v11, null, s3, v11, s1
	s_add_i32 s9, s9, 8
	s_cmp_lt_i32 s9, s21
	s_waitcnt lgkmcnt(4)
	v_fma_f64 v[12:13], v[24:25], v[14:15], v[12:13]
	v_fma_f64 v[6:7], v[26:27], v[14:15], v[6:7]
	s_waitcnt lgkmcnt(3)
	v_fma_f64 v[14:15], v[24:25], v[28:29], v[4:5]
	v_fma_f64 v[24:25], v[26:27], v[28:29], v[2:3]
	ds_read2_b64 v[2:5], v22 offset0:64 offset1:80
	s_waitcnt lgkmcnt(2)
	v_fma_f64 v[26:27], v[36:37], v[16:17], v[12:13]
	v_fma_f64 v[6:7], v[38:39], v[16:17], v[6:7]
	;; [unrolled: 1-line block ×4, first 2 shown]
	ds_read2_b64 v[12:15], v22 offset0:96 offset1:112
	s_waitcnt lgkmcnt(1)
	v_fma_f64 v[28:29], v[2:3], v[32:33], v[26:27]
	v_fma_f64 v[6:7], v[4:5], v[32:33], v[6:7]
	;; [unrolled: 1-line block ×4, first 2 shown]
	ds_read_b128 v[2:5], v23 offset:32
	ds_read2_b64 v[24:27], v22 offset0:128 offset1:144
	s_waitcnt lgkmcnt(2)
	v_fma_f64 v[40:41], v[12:13], v[34:35], v[28:29]
	v_fma_f64 v[6:7], v[14:15], v[34:35], v[6:7]
	;; [unrolled: 1-line block ×4, first 2 shown]
	ds_read_b128 v[12:15], v23 offset:1056
	ds_read_b128 v[28:31], v23 offset:48
	ds_read2_b64 v[32:35], v22 offset0:160 offset1:176
	ds_read_b128 v[36:39], v23 offset:1072
	s_waitcnt lgkmcnt(4)
	v_fma_f64 v[40:41], v[24:25], v[2:3], v[40:41]
	v_fma_f64 v[2:3], v[26:27], v[2:3], v[6:7]
	s_waitcnt lgkmcnt(3)
	v_fma_f64 v[6:7], v[24:25], v[12:13], v[16:17]
	v_fma_f64 v[12:13], v[26:27], v[12:13], v[42:43]
	ds_read2_b64 v[24:27], v22 offset0:192 offset1:208
	s_waitcnt lgkmcnt(2)
	v_fma_f64 v[40:41], v[32:33], v[4:5], v[40:41]
	v_fma_f64 v[2:3], v[34:35], v[4:5], v[2:3]
	v_fma_f64 v[4:5], v[32:33], v[14:15], v[6:7]
	v_fma_f64 v[6:7], v[34:35], v[14:15], v[12:13]
	ds_read2_b64 v[14:17], v22 offset0:224 offset1:240
	s_waitcnt lgkmcnt(0)
	s_barrier
	buffer_gl0_inv
	v_fma_f64 v[12:13], v[24:25], v[28:29], v[40:41]
	v_fma_f64 v[2:3], v[26:27], v[28:29], v[2:3]
	;; [unrolled: 1-line block ×8, first 2 shown]
	s_cbranch_scc0 .LBB328_10
.LBB328_6:                              ; =>This Inner Loop Header: Depth=1
	v_add_nc_u32_e32 v14, s9, v19
	v_cmp_gt_i32_e64 s1, s21, v14
	v_mov_b32_e32 v14, 0
	v_mov_b32_e32 v15, 0
	s_and_b32 s6, vcc_lo, s1
	s_and_saveexec_b32 s1, s6
	s_cbranch_execz .LBB328_8
; %bb.7:                                ;   in Loop: Header=BB328_6 Depth=1
	flat_load_dwordx2 v[14:15], v[8:9]
.LBB328_8:                              ;   in Loop: Header=BB328_6 Depth=1
	s_or_b32 exec_lo, exec_lo, s1
	v_add_nc_u32_e32 v16, s9, v18
	s_waitcnt vmcnt(0) lgkmcnt(0)
	ds_write_b64 v20, v[14:15]
	v_cmp_gt_i32_e64 s1, s21, v16
	v_mov_b32_e32 v16, 0
	v_mov_b32_e32 v17, 0
	s_and_b32 s6, s1, s0
	s_and_saveexec_b32 s1, s6
	s_cbranch_execz .LBB328_5
; %bb.9:                                ;   in Loop: Header=BB328_6 Depth=1
	flat_load_dwordx2 v[16:17], v[10:11]
	s_branch .LBB328_5
.LBB328_10:
	s_clause 0x1
	s_load_dword s2, s[4:5], 0x50
	s_load_dwordx2 s[4:5], s[4:5], 0x58
	v_add_nc_u32_e32 v15, s26, v1
	v_add_nc_u32_e32 v0, s8, v0
	v_cmp_gt_i32_e64 s0, s20, v15
	v_cmp_le_i32_e32 vcc_lo, v0, v15
	v_ashrrev_i32_e32 v1, 31, v0
	s_waitcnt lgkmcnt(0)
	v_mad_i64_i32 v[8:9], null, v15, s2, 0
	s_lshl_b64 s[4:5], s[4:5], 3
	s_add_u32 s3, s22, s4
	s_addc_u32 s4, s23, s5
	v_cmp_neq_f64_e64 s5, s[10:11], 0
	s_and_b32 s6, s0, vcc_lo
	v_lshlrev_b64 v[8:9], 3, v[8:9]
	v_add_co_u32 v16, s1, s3, v8
	v_add_co_ci_u32_e64 v17, null, s4, v9, s1
	v_cndmask_b32_e64 v14, 0, 1, s5
	s_and_saveexec_b32 s1, s6
	s_cbranch_execz .LBB328_14
; %bb.11:
	v_mul_f64 v[8:9], s[14:15], v[12:13]
	v_lshlrev_b64 v[10:11], 3, v[0:1]
	v_add_co_u32 v10, vcc_lo, v16, v10
	v_add_co_ci_u32_e64 v11, null, v17, v11, vcc_lo
	s_andn2_b32 vcc_lo, exec_lo, s5
	s_cbranch_vccnz .LBB328_13
; %bb.12:
	flat_load_dwordx2 v[12:13], v[10:11]
	s_waitcnt vmcnt(0) lgkmcnt(0)
	v_fma_f64 v[8:9], s[10:11], v[12:13], v[8:9]
.LBB328_13:
	flat_store_dwordx2 v[10:11], v[8:9]
.LBB328_14:
	s_or_b32 exec_lo, exec_lo, s1
	v_add_nc_u32_e32 v8, 16, v0
	v_cmp_le_i32_e32 vcc_lo, v8, v15
	v_ashrrev_i32_e32 v9, 31, v8
	s_and_b32 s0, s0, vcc_lo
	s_and_saveexec_b32 s1, s0
	s_cbranch_execz .LBB328_18
; %bb.15:
	v_mul_f64 v[6:7], s[14:15], v[6:7]
	v_lshlrev_b64 v[10:11], 3, v[8:9]
	v_cmp_ne_u32_e32 vcc_lo, 1, v14
	v_add_co_u32 v10, s0, v16, v10
	v_add_co_ci_u32_e64 v11, null, v17, v11, s0
	s_cbranch_vccnz .LBB328_17
; %bb.16:
	flat_load_dwordx2 v[12:13], v[10:11]
	s_waitcnt vmcnt(0) lgkmcnt(0)
	v_fma_f64 v[6:7], s[10:11], v[12:13], v[6:7]
.LBB328_17:
	flat_store_dwordx2 v[10:11], v[6:7]
.LBB328_18:
	s_or_b32 exec_lo, exec_lo, s1
	v_add_nc_u32_e32 v10, 16, v15
	v_mad_i64_i32 v[6:7], null, v10, s2, 0
	v_cmp_gt_i32_e64 s0, s20, v10
	v_cmp_le_i32_e32 vcc_lo, v0, v10
	v_lshlrev_b64 v[6:7], 3, v[6:7]
	v_add_co_u32 v6, s1, s3, v6
	v_add_co_ci_u32_e64 v7, null, s4, v7, s1
	s_and_b32 s1, s0, vcc_lo
	s_and_saveexec_b32 s2, s1
	s_cbranch_execz .LBB328_22
; %bb.19:
	v_mul_f64 v[4:5], s[14:15], v[4:5]
	v_lshlrev_b64 v[0:1], 3, v[0:1]
	v_cmp_ne_u32_e32 vcc_lo, 1, v14
	v_add_co_u32 v0, s1, v6, v0
	v_add_co_ci_u32_e64 v1, null, v7, v1, s1
	s_cbranch_vccnz .LBB328_21
; %bb.20:
	flat_load_dwordx2 v[11:12], v[0:1]
	s_waitcnt vmcnt(0) lgkmcnt(0)
	v_fma_f64 v[4:5], s[10:11], v[11:12], v[4:5]
.LBB328_21:
	flat_store_dwordx2 v[0:1], v[4:5]
.LBB328_22:
	s_or_b32 exec_lo, exec_lo, s2
	v_cmp_le_i32_e32 vcc_lo, v8, v10
	s_and_b32 s0, s0, vcc_lo
	s_and_saveexec_b32 s1, s0
	s_cbranch_execz .LBB328_26
; %bb.23:
	v_mul_f64 v[0:1], s[14:15], v[2:3]
	v_lshlrev_b64 v[2:3], 3, v[8:9]
	v_cmp_ne_u32_e32 vcc_lo, 1, v14
	v_add_co_u32 v2, s0, v6, v2
	v_add_co_ci_u32_e64 v3, null, v7, v3, s0
	s_cbranch_vccnz .LBB328_25
; %bb.24:
	flat_load_dwordx2 v[4:5], v[2:3]
	s_waitcnt vmcnt(0) lgkmcnt(0)
	v_fma_f64 v[0:1], s[10:11], v[4:5], v[0:1]
.LBB328_25:
	flat_store_dwordx2 v[2:3], v[0:1]
.LBB328_26:
	s_endpgm
	.section	.rodata,"a",@progbits
	.p2align	6, 0x0
	.amdhsa_kernel _ZL29rocblas_internal_gemmt_kernelIiLi16ELi32ELi8ELc84ELc84ELc85ELb0ELb0EdPKdPKS1_PKPdEviT_T9_T10_S7_lS9_S7_lS8_T11_S7_li
		.amdhsa_group_segment_fixed_size 4096
		.amdhsa_private_segment_fixed_size 0
		.amdhsa_kernarg_size 100
		.amdhsa_user_sgpr_count 6
		.amdhsa_user_sgpr_private_segment_buffer 1
		.amdhsa_user_sgpr_dispatch_ptr 0
		.amdhsa_user_sgpr_queue_ptr 0
		.amdhsa_user_sgpr_kernarg_segment_ptr 1
		.amdhsa_user_sgpr_dispatch_id 0
		.amdhsa_user_sgpr_flat_scratch_init 0
		.amdhsa_user_sgpr_private_segment_size 0
		.amdhsa_wavefront_size32 1
		.amdhsa_uses_dynamic_stack 0
		.amdhsa_system_sgpr_private_segment_wavefront_offset 0
		.amdhsa_system_sgpr_workgroup_id_x 1
		.amdhsa_system_sgpr_workgroup_id_y 1
		.amdhsa_system_sgpr_workgroup_id_z 1
		.amdhsa_system_sgpr_workgroup_info 0
		.amdhsa_system_vgpr_workitem_id 1
		.amdhsa_next_free_vgpr 44
		.amdhsa_next_free_sgpr 27
		.amdhsa_reserve_vcc 1
		.amdhsa_reserve_flat_scratch 0
		.amdhsa_float_round_mode_32 0
		.amdhsa_float_round_mode_16_64 0
		.amdhsa_float_denorm_mode_32 3
		.amdhsa_float_denorm_mode_16_64 3
		.amdhsa_dx10_clamp 1
		.amdhsa_ieee_mode 1
		.amdhsa_fp16_overflow 0
		.amdhsa_workgroup_processor_mode 1
		.amdhsa_memory_ordered 1
		.amdhsa_forward_progress 1
		.amdhsa_shared_vgpr_count 0
		.amdhsa_exception_fp_ieee_invalid_op 0
		.amdhsa_exception_fp_denorm_src 0
		.amdhsa_exception_fp_ieee_div_zero 0
		.amdhsa_exception_fp_ieee_overflow 0
		.amdhsa_exception_fp_ieee_underflow 0
		.amdhsa_exception_fp_ieee_inexact 0
		.amdhsa_exception_int_div_zero 0
	.end_amdhsa_kernel
	.section	.text._ZL29rocblas_internal_gemmt_kernelIiLi16ELi32ELi8ELc84ELc84ELc85ELb0ELb0EdPKdPKS1_PKPdEviT_T9_T10_S7_lS9_S7_lS8_T11_S7_li,"axG",@progbits,_ZL29rocblas_internal_gemmt_kernelIiLi16ELi32ELi8ELc84ELc84ELc85ELb0ELb0EdPKdPKS1_PKPdEviT_T9_T10_S7_lS9_S7_lS8_T11_S7_li,comdat
.Lfunc_end328:
	.size	_ZL29rocblas_internal_gemmt_kernelIiLi16ELi32ELi8ELc84ELc84ELc85ELb0ELb0EdPKdPKS1_PKPdEviT_T9_T10_S7_lS9_S7_lS8_T11_S7_li, .Lfunc_end328-_ZL29rocblas_internal_gemmt_kernelIiLi16ELi32ELi8ELc84ELc84ELc85ELb0ELb0EdPKdPKS1_PKPdEviT_T9_T10_S7_lS9_S7_lS8_T11_S7_li
                                        ; -- End function
	.set _ZL29rocblas_internal_gemmt_kernelIiLi16ELi32ELi8ELc84ELc84ELc85ELb0ELb0EdPKdPKS1_PKPdEviT_T9_T10_S7_lS9_S7_lS8_T11_S7_li.num_vgpr, 44
	.set _ZL29rocblas_internal_gemmt_kernelIiLi16ELi32ELi8ELc84ELc84ELc85ELb0ELb0EdPKdPKS1_PKPdEviT_T9_T10_S7_lS9_S7_lS8_T11_S7_li.num_agpr, 0
	.set _ZL29rocblas_internal_gemmt_kernelIiLi16ELi32ELi8ELc84ELc84ELc85ELb0ELb0EdPKdPKS1_PKPdEviT_T9_T10_S7_lS9_S7_lS8_T11_S7_li.numbered_sgpr, 27
	.set _ZL29rocblas_internal_gemmt_kernelIiLi16ELi32ELi8ELc84ELc84ELc85ELb0ELb0EdPKdPKS1_PKPdEviT_T9_T10_S7_lS9_S7_lS8_T11_S7_li.num_named_barrier, 0
	.set _ZL29rocblas_internal_gemmt_kernelIiLi16ELi32ELi8ELc84ELc84ELc85ELb0ELb0EdPKdPKS1_PKPdEviT_T9_T10_S7_lS9_S7_lS8_T11_S7_li.private_seg_size, 0
	.set _ZL29rocblas_internal_gemmt_kernelIiLi16ELi32ELi8ELc84ELc84ELc85ELb0ELb0EdPKdPKS1_PKPdEviT_T9_T10_S7_lS9_S7_lS8_T11_S7_li.uses_vcc, 1
	.set _ZL29rocblas_internal_gemmt_kernelIiLi16ELi32ELi8ELc84ELc84ELc85ELb0ELb0EdPKdPKS1_PKPdEviT_T9_T10_S7_lS9_S7_lS8_T11_S7_li.uses_flat_scratch, 0
	.set _ZL29rocblas_internal_gemmt_kernelIiLi16ELi32ELi8ELc84ELc84ELc85ELb0ELb0EdPKdPKS1_PKPdEviT_T9_T10_S7_lS9_S7_lS8_T11_S7_li.has_dyn_sized_stack, 0
	.set _ZL29rocblas_internal_gemmt_kernelIiLi16ELi32ELi8ELc84ELc84ELc85ELb0ELb0EdPKdPKS1_PKPdEviT_T9_T10_S7_lS9_S7_lS8_T11_S7_li.has_recursion, 0
	.set _ZL29rocblas_internal_gemmt_kernelIiLi16ELi32ELi8ELc84ELc84ELc85ELb0ELb0EdPKdPKS1_PKPdEviT_T9_T10_S7_lS9_S7_lS8_T11_S7_li.has_indirect_call, 0
	.section	.AMDGPU.csdata,"",@progbits
; Kernel info:
; codeLenInByte = 1680
; TotalNumSgprs: 29
; NumVgprs: 44
; ScratchSize: 0
; MemoryBound: 0
; FloatMode: 240
; IeeeMode: 1
; LDSByteSize: 4096 bytes/workgroup (compile time only)
; SGPRBlocks: 0
; VGPRBlocks: 5
; NumSGPRsForWavesPerEU: 29
; NumVGPRsForWavesPerEU: 44
; Occupancy: 16
; WaveLimiterHint : 1
; COMPUTE_PGM_RSRC2:SCRATCH_EN: 0
; COMPUTE_PGM_RSRC2:USER_SGPR: 6
; COMPUTE_PGM_RSRC2:TRAP_HANDLER: 0
; COMPUTE_PGM_RSRC2:TGID_X_EN: 1
; COMPUTE_PGM_RSRC2:TGID_Y_EN: 1
; COMPUTE_PGM_RSRC2:TGID_Z_EN: 1
; COMPUTE_PGM_RSRC2:TIDIG_COMP_CNT: 1
	.section	.text._ZL29rocblas_internal_gemmt_kernelIiLi16ELi32ELi8ELc84ELc67ELc85ELb0ELb0EdPKdPKS1_PKPdEviT_T9_T10_S7_lS9_S7_lS8_T11_S7_li,"axG",@progbits,_ZL29rocblas_internal_gemmt_kernelIiLi16ELi32ELi8ELc84ELc67ELc85ELb0ELb0EdPKdPKS1_PKPdEviT_T9_T10_S7_lS9_S7_lS8_T11_S7_li,comdat
	.globl	_ZL29rocblas_internal_gemmt_kernelIiLi16ELi32ELi8ELc84ELc67ELc85ELb0ELb0EdPKdPKS1_PKPdEviT_T9_T10_S7_lS9_S7_lS8_T11_S7_li ; -- Begin function _ZL29rocblas_internal_gemmt_kernelIiLi16ELi32ELi8ELc84ELc67ELc85ELb0ELb0EdPKdPKS1_PKPdEviT_T9_T10_S7_lS9_S7_lS8_T11_S7_li
	.p2align	8
	.type	_ZL29rocblas_internal_gemmt_kernelIiLi16ELi32ELi8ELc84ELc67ELc85ELb0ELb0EdPKdPKS1_PKPdEviT_T9_T10_S7_lS9_S7_lS8_T11_S7_li,@function
_ZL29rocblas_internal_gemmt_kernelIiLi16ELi32ELi8ELc84ELc67ELc85ELb0ELb0EdPKdPKS1_PKPdEviT_T9_T10_S7_lS9_S7_lS8_T11_S7_li: ; @_ZL29rocblas_internal_gemmt_kernelIiLi16ELi32ELi8ELc84ELc67ELc85ELb0ELb0EdPKdPKS1_PKPdEviT_T9_T10_S7_lS9_S7_lS8_T11_S7_li
; %bb.0:
	s_load_dwordx4 s[12:15], s[4:5], 0x38
	s_waitcnt lgkmcnt(0)
	s_load_dwordx2 s[10:11], s[14:15], 0x0
	s_clause 0x1
	s_load_dwordx4 s[0:3], s[4:5], 0x8
	s_load_dwordx2 s[20:21], s[4:5], 0x0
	s_waitcnt lgkmcnt(0)
	s_load_dwordx2 s[14:15], s[0:1], 0x0
	v_cmp_neq_f64_e64 s9, s[10:11], 1.0
	s_and_b32 vcc_lo, exec_lo, s9
	s_cbranch_vccnz .LBB329_2
; %bb.1:
	s_waitcnt lgkmcnt(0)
	v_cmp_neq_f64_e64 s0, s[14:15], 0
	s_cmp_lg_u32 s21, 0
	s_cselect_b32 s1, -1, 0
	s_and_b32 s9, s1, s0
.LBB329_2:
	s_andn2_b32 vcc_lo, exec_lo, s9
	s_cbranch_vccnz .LBB329_26
; %bb.3:
	s_load_dwordx2 s[0:1], s[4:5], 0x48
	s_mov_b32 s9, 0
	s_waitcnt lgkmcnt(0)
	v_cmp_eq_f64_e64 s16, s[14:15], 0
	s_lshl_b64 s[24:25], s[8:9], 3
	v_mov_b32_e32 v12, 0
	v_mov_b32_e32 v6, 0
	v_mov_b32_e32 v4, 0
	v_mov_b32_e32 v2, 0
	v_mov_b32_e32 v13, 0
	v_mov_b32_e32 v7, 0
	v_mov_b32_e32 v5, 0
	v_mov_b32_e32 v3, 0
	s_add_u32 s0, s0, s24
	s_addc_u32 s1, s1, s25
	s_lshl_b32 s8, s6, 5
	s_load_dwordx2 s[22:23], s[0:1], 0x0
	s_lshl_b32 s26, s7, 5
	s_cmp_lt_i32 s21, 1
	s_cselect_b32 s0, -1, 0
	s_or_b32 s0, s16, s0
	s_and_b32 vcc_lo, exec_lo, s0
	s_cbranch_vccnz .LBB329_10
; %bb.4:
	s_clause 0x2
	s_load_dword s6, s[4:5], 0x30
	s_load_dword s1, s[4:5], 0x18
	s_load_dwordx4 s[16:19], s[4:5], 0x20
	v_lshl_add_u32 v2, v1, 4, v0
	v_and_b32_e32 v18, 7, v0
	v_mov_b32_e32 v12, 0
	v_lshlrev_b32_e32 v22, 3, v0
	v_lshl_add_u32 v23, v1, 6, 0x800
	v_and_b32_e32 v3, 31, v2
	v_lshrrev_b32_e32 v4, 3, v2
	v_lshlrev_b32_e32 v5, 3, v18
	v_lshrrev_b32_e32 v19, 5, v2
	v_mov_b32_e32 v13, 0
	v_or_b32_e32 v6, s8, v3
	v_lshlrev_b32_e32 v7, 3, v3
	v_add_nc_u32_e32 v2, s26, v4
	v_lshl_or_b32 v4, v4, 6, v5
	v_add_nc_u32_e32 v3, s8, v3
	v_cmp_gt_i32_e32 vcc_lo, s20, v6
	v_lshl_or_b32 v20, v19, 8, v7
	v_lshlrev_b32_e32 v8, 3, v19
	v_add_nc_u32_e32 v21, 0x800, v4
	s_waitcnt lgkmcnt(0)
	s_ashr_i32 s7, s6, 31
	v_mad_i64_i32 v[4:5], null, s1, v3, 0
	s_add_u32 s18, s18, s24
	s_addc_u32 s19, s19, s25
	s_add_u32 s2, s2, s24
	s_addc_u32 s3, s3, s25
	s_load_dwordx2 s[18:19], s[18:19], 0x0
	s_load_dwordx2 s[2:3], s[2:3], 0x0
	v_mad_i64_i32 v[6:7], null, s6, v18, 0
	v_lshlrev_b64 v[4:5], 3, v[4:5]
	s_lshl_b64 s[16:17], s[16:17], 3
	v_ashrrev_i32_e32 v3, 31, v2
	s_lshl_b64 s[12:13], s[12:13], 3
	v_cmp_gt_i32_e64 s0, s20, v2
	v_add_co_u32 v9, s1, v4, s16
	v_add_co_ci_u32_e64 v10, null, s17, v5, s1
	v_lshlrev_b64 v[4:5], 3, v[6:7]
	v_add_co_u32 v6, s1, v9, v8
	v_lshlrev_b64 v[2:3], 3, v[2:3]
	v_add_co_ci_u32_e64 v7, null, 0, v10, s1
	v_add_co_u32 v4, s1, v4, s12
	v_add_co_ci_u32_e64 v5, null, s13, v5, s1
	s_waitcnt lgkmcnt(0)
	v_add_co_u32 v8, s1, s2, v6
	v_add_co_ci_u32_e64 v9, null, s3, v7, s1
	v_add_co_u32 v10, s1, v4, v2
	v_add_co_ci_u32_e64 v11, null, v5, v3, s1
	v_mov_b32_e32 v2, 0
	v_add_co_u32 v10, s1, s18, v10
	v_mov_b32_e32 v4, 0
	v_mov_b32_e32 v6, 0
	;; [unrolled: 1-line block ×5, first 2 shown]
	v_add_co_ci_u32_e64 v11, null, s19, v11, s1
	s_lshl_b64 s[2:3], s[6:7], 6
	s_branch .LBB329_6
.LBB329_5:                              ;   in Loop: Header=BB329_6 Depth=1
	s_or_b32 exec_lo, exec_lo, s1
	s_waitcnt vmcnt(0) lgkmcnt(0)
	ds_write_b64 v21, v[16:17]
	s_waitcnt lgkmcnt(0)
	s_barrier
	buffer_gl0_inv
	ds_read_b128 v[14:17], v23
	ds_read2_b64 v[24:27], v22 offset1:16
	ds_read_b128 v[28:31], v23 offset:1024
	ds_read_b128 v[32:35], v23 offset:16
	ds_read2_b64 v[36:39], v22 offset0:32 offset1:48
	ds_read_b128 v[40:43], v23 offset:1040
	v_add_co_u32 v8, s1, v8, 64
	v_add_co_ci_u32_e64 v9, null, 0, v9, s1
	v_add_co_u32 v10, s1, v10, s2
	v_add_co_ci_u32_e64 v11, null, s3, v11, s1
	s_add_i32 s9, s9, 8
	s_cmp_lt_i32 s9, s21
	s_waitcnt lgkmcnt(4)
	v_fma_f64 v[12:13], v[24:25], v[14:15], v[12:13]
	v_fma_f64 v[6:7], v[26:27], v[14:15], v[6:7]
	s_waitcnt lgkmcnt(3)
	v_fma_f64 v[14:15], v[24:25], v[28:29], v[4:5]
	v_fma_f64 v[24:25], v[26:27], v[28:29], v[2:3]
	ds_read2_b64 v[2:5], v22 offset0:64 offset1:80
	s_waitcnt lgkmcnt(2)
	v_fma_f64 v[26:27], v[36:37], v[16:17], v[12:13]
	v_fma_f64 v[6:7], v[38:39], v[16:17], v[6:7]
	v_fma_f64 v[16:17], v[36:37], v[30:31], v[14:15]
	v_fma_f64 v[24:25], v[38:39], v[30:31], v[24:25]
	ds_read2_b64 v[12:15], v22 offset0:96 offset1:112
	s_waitcnt lgkmcnt(1)
	v_fma_f64 v[28:29], v[2:3], v[32:33], v[26:27]
	v_fma_f64 v[6:7], v[4:5], v[32:33], v[6:7]
	;; [unrolled: 1-line block ×4, first 2 shown]
	ds_read_b128 v[2:5], v23 offset:32
	ds_read2_b64 v[24:27], v22 offset0:128 offset1:144
	s_waitcnt lgkmcnt(2)
	v_fma_f64 v[40:41], v[12:13], v[34:35], v[28:29]
	v_fma_f64 v[6:7], v[14:15], v[34:35], v[6:7]
	;; [unrolled: 1-line block ×4, first 2 shown]
	ds_read_b128 v[12:15], v23 offset:1056
	ds_read_b128 v[28:31], v23 offset:48
	ds_read2_b64 v[32:35], v22 offset0:160 offset1:176
	ds_read_b128 v[36:39], v23 offset:1072
	s_waitcnt lgkmcnt(4)
	v_fma_f64 v[40:41], v[24:25], v[2:3], v[40:41]
	v_fma_f64 v[2:3], v[26:27], v[2:3], v[6:7]
	s_waitcnt lgkmcnt(3)
	v_fma_f64 v[6:7], v[24:25], v[12:13], v[16:17]
	v_fma_f64 v[12:13], v[26:27], v[12:13], v[42:43]
	ds_read2_b64 v[24:27], v22 offset0:192 offset1:208
	s_waitcnt lgkmcnt(2)
	v_fma_f64 v[40:41], v[32:33], v[4:5], v[40:41]
	v_fma_f64 v[2:3], v[34:35], v[4:5], v[2:3]
	;; [unrolled: 1-line block ×4, first 2 shown]
	ds_read2_b64 v[14:17], v22 offset0:224 offset1:240
	s_waitcnt lgkmcnt(0)
	s_barrier
	buffer_gl0_inv
	v_fma_f64 v[12:13], v[24:25], v[28:29], v[40:41]
	v_fma_f64 v[2:3], v[26:27], v[28:29], v[2:3]
	v_fma_f64 v[4:5], v[24:25], v[36:37], v[4:5]
	v_fma_f64 v[24:25], v[26:27], v[36:37], v[6:7]
	v_fma_f64 v[12:13], v[14:15], v[30:31], v[12:13]
	v_fma_f64 v[6:7], v[16:17], v[30:31], v[2:3]
	v_fma_f64 v[4:5], v[14:15], v[38:39], v[4:5]
	v_fma_f64 v[2:3], v[16:17], v[38:39], v[24:25]
	s_cbranch_scc0 .LBB329_10
.LBB329_6:                              ; =>This Inner Loop Header: Depth=1
	v_add_nc_u32_e32 v14, s9, v19
	v_cmp_gt_i32_e64 s1, s21, v14
	v_mov_b32_e32 v14, 0
	v_mov_b32_e32 v15, 0
	s_and_b32 s6, vcc_lo, s1
	s_and_saveexec_b32 s1, s6
	s_cbranch_execz .LBB329_8
; %bb.7:                                ;   in Loop: Header=BB329_6 Depth=1
	flat_load_dwordx2 v[14:15], v[8:9]
.LBB329_8:                              ;   in Loop: Header=BB329_6 Depth=1
	s_or_b32 exec_lo, exec_lo, s1
	v_add_nc_u32_e32 v16, s9, v18
	s_waitcnt vmcnt(0) lgkmcnt(0)
	ds_write_b64 v20, v[14:15]
	v_cmp_gt_i32_e64 s1, s21, v16
	v_mov_b32_e32 v16, 0
	v_mov_b32_e32 v17, 0
	s_and_b32 s6, s1, s0
	s_and_saveexec_b32 s1, s6
	s_cbranch_execz .LBB329_5
; %bb.9:                                ;   in Loop: Header=BB329_6 Depth=1
	flat_load_dwordx2 v[16:17], v[10:11]
	s_branch .LBB329_5
.LBB329_10:
	s_clause 0x1
	s_load_dword s2, s[4:5], 0x50
	s_load_dwordx2 s[4:5], s[4:5], 0x58
	v_add_nc_u32_e32 v15, s26, v1
	v_add_nc_u32_e32 v0, s8, v0
	v_cmp_gt_i32_e64 s0, s20, v15
	v_cmp_le_i32_e32 vcc_lo, v0, v15
	v_ashrrev_i32_e32 v1, 31, v0
	s_waitcnt lgkmcnt(0)
	v_mad_i64_i32 v[8:9], null, v15, s2, 0
	s_lshl_b64 s[4:5], s[4:5], 3
	s_add_u32 s3, s22, s4
	s_addc_u32 s4, s23, s5
	v_cmp_neq_f64_e64 s5, s[10:11], 0
	s_and_b32 s6, s0, vcc_lo
	v_lshlrev_b64 v[8:9], 3, v[8:9]
	v_add_co_u32 v16, s1, s3, v8
	v_add_co_ci_u32_e64 v17, null, s4, v9, s1
	v_cndmask_b32_e64 v14, 0, 1, s5
	s_and_saveexec_b32 s1, s6
	s_cbranch_execz .LBB329_14
; %bb.11:
	v_mul_f64 v[8:9], s[14:15], v[12:13]
	v_lshlrev_b64 v[10:11], 3, v[0:1]
	v_add_co_u32 v10, vcc_lo, v16, v10
	v_add_co_ci_u32_e64 v11, null, v17, v11, vcc_lo
	s_andn2_b32 vcc_lo, exec_lo, s5
	s_cbranch_vccnz .LBB329_13
; %bb.12:
	flat_load_dwordx2 v[12:13], v[10:11]
	s_waitcnt vmcnt(0) lgkmcnt(0)
	v_fma_f64 v[8:9], s[10:11], v[12:13], v[8:9]
.LBB329_13:
	flat_store_dwordx2 v[10:11], v[8:9]
.LBB329_14:
	s_or_b32 exec_lo, exec_lo, s1
	v_add_nc_u32_e32 v8, 16, v0
	v_cmp_le_i32_e32 vcc_lo, v8, v15
	v_ashrrev_i32_e32 v9, 31, v8
	s_and_b32 s0, s0, vcc_lo
	s_and_saveexec_b32 s1, s0
	s_cbranch_execz .LBB329_18
; %bb.15:
	v_mul_f64 v[6:7], s[14:15], v[6:7]
	v_lshlrev_b64 v[10:11], 3, v[8:9]
	v_cmp_ne_u32_e32 vcc_lo, 1, v14
	v_add_co_u32 v10, s0, v16, v10
	v_add_co_ci_u32_e64 v11, null, v17, v11, s0
	s_cbranch_vccnz .LBB329_17
; %bb.16:
	flat_load_dwordx2 v[12:13], v[10:11]
	s_waitcnt vmcnt(0) lgkmcnt(0)
	v_fma_f64 v[6:7], s[10:11], v[12:13], v[6:7]
.LBB329_17:
	flat_store_dwordx2 v[10:11], v[6:7]
.LBB329_18:
	s_or_b32 exec_lo, exec_lo, s1
	v_add_nc_u32_e32 v10, 16, v15
	v_mad_i64_i32 v[6:7], null, v10, s2, 0
	v_cmp_gt_i32_e64 s0, s20, v10
	v_cmp_le_i32_e32 vcc_lo, v0, v10
	v_lshlrev_b64 v[6:7], 3, v[6:7]
	v_add_co_u32 v6, s1, s3, v6
	v_add_co_ci_u32_e64 v7, null, s4, v7, s1
	s_and_b32 s1, s0, vcc_lo
	s_and_saveexec_b32 s2, s1
	s_cbranch_execz .LBB329_22
; %bb.19:
	v_mul_f64 v[4:5], s[14:15], v[4:5]
	v_lshlrev_b64 v[0:1], 3, v[0:1]
	v_cmp_ne_u32_e32 vcc_lo, 1, v14
	v_add_co_u32 v0, s1, v6, v0
	v_add_co_ci_u32_e64 v1, null, v7, v1, s1
	s_cbranch_vccnz .LBB329_21
; %bb.20:
	flat_load_dwordx2 v[11:12], v[0:1]
	s_waitcnt vmcnt(0) lgkmcnt(0)
	v_fma_f64 v[4:5], s[10:11], v[11:12], v[4:5]
.LBB329_21:
	flat_store_dwordx2 v[0:1], v[4:5]
.LBB329_22:
	s_or_b32 exec_lo, exec_lo, s2
	v_cmp_le_i32_e32 vcc_lo, v8, v10
	s_and_b32 s0, s0, vcc_lo
	s_and_saveexec_b32 s1, s0
	s_cbranch_execz .LBB329_26
; %bb.23:
	v_mul_f64 v[0:1], s[14:15], v[2:3]
	v_lshlrev_b64 v[2:3], 3, v[8:9]
	v_cmp_ne_u32_e32 vcc_lo, 1, v14
	v_add_co_u32 v2, s0, v6, v2
	v_add_co_ci_u32_e64 v3, null, v7, v3, s0
	s_cbranch_vccnz .LBB329_25
; %bb.24:
	flat_load_dwordx2 v[4:5], v[2:3]
	s_waitcnt vmcnt(0) lgkmcnt(0)
	v_fma_f64 v[0:1], s[10:11], v[4:5], v[0:1]
.LBB329_25:
	flat_store_dwordx2 v[2:3], v[0:1]
.LBB329_26:
	s_endpgm
	.section	.rodata,"a",@progbits
	.p2align	6, 0x0
	.amdhsa_kernel _ZL29rocblas_internal_gemmt_kernelIiLi16ELi32ELi8ELc84ELc67ELc85ELb0ELb0EdPKdPKS1_PKPdEviT_T9_T10_S7_lS9_S7_lS8_T11_S7_li
		.amdhsa_group_segment_fixed_size 4096
		.amdhsa_private_segment_fixed_size 0
		.amdhsa_kernarg_size 100
		.amdhsa_user_sgpr_count 6
		.amdhsa_user_sgpr_private_segment_buffer 1
		.amdhsa_user_sgpr_dispatch_ptr 0
		.amdhsa_user_sgpr_queue_ptr 0
		.amdhsa_user_sgpr_kernarg_segment_ptr 1
		.amdhsa_user_sgpr_dispatch_id 0
		.amdhsa_user_sgpr_flat_scratch_init 0
		.amdhsa_user_sgpr_private_segment_size 0
		.amdhsa_wavefront_size32 1
		.amdhsa_uses_dynamic_stack 0
		.amdhsa_system_sgpr_private_segment_wavefront_offset 0
		.amdhsa_system_sgpr_workgroup_id_x 1
		.amdhsa_system_sgpr_workgroup_id_y 1
		.amdhsa_system_sgpr_workgroup_id_z 1
		.amdhsa_system_sgpr_workgroup_info 0
		.amdhsa_system_vgpr_workitem_id 1
		.amdhsa_next_free_vgpr 44
		.amdhsa_next_free_sgpr 27
		.amdhsa_reserve_vcc 1
		.amdhsa_reserve_flat_scratch 0
		.amdhsa_float_round_mode_32 0
		.amdhsa_float_round_mode_16_64 0
		.amdhsa_float_denorm_mode_32 3
		.amdhsa_float_denorm_mode_16_64 3
		.amdhsa_dx10_clamp 1
		.amdhsa_ieee_mode 1
		.amdhsa_fp16_overflow 0
		.amdhsa_workgroup_processor_mode 1
		.amdhsa_memory_ordered 1
		.amdhsa_forward_progress 1
		.amdhsa_shared_vgpr_count 0
		.amdhsa_exception_fp_ieee_invalid_op 0
		.amdhsa_exception_fp_denorm_src 0
		.amdhsa_exception_fp_ieee_div_zero 0
		.amdhsa_exception_fp_ieee_overflow 0
		.amdhsa_exception_fp_ieee_underflow 0
		.amdhsa_exception_fp_ieee_inexact 0
		.amdhsa_exception_int_div_zero 0
	.end_amdhsa_kernel
	.section	.text._ZL29rocblas_internal_gemmt_kernelIiLi16ELi32ELi8ELc84ELc67ELc85ELb0ELb0EdPKdPKS1_PKPdEviT_T9_T10_S7_lS9_S7_lS8_T11_S7_li,"axG",@progbits,_ZL29rocblas_internal_gemmt_kernelIiLi16ELi32ELi8ELc84ELc67ELc85ELb0ELb0EdPKdPKS1_PKPdEviT_T9_T10_S7_lS9_S7_lS8_T11_S7_li,comdat
.Lfunc_end329:
	.size	_ZL29rocblas_internal_gemmt_kernelIiLi16ELi32ELi8ELc84ELc67ELc85ELb0ELb0EdPKdPKS1_PKPdEviT_T9_T10_S7_lS9_S7_lS8_T11_S7_li, .Lfunc_end329-_ZL29rocblas_internal_gemmt_kernelIiLi16ELi32ELi8ELc84ELc67ELc85ELb0ELb0EdPKdPKS1_PKPdEviT_T9_T10_S7_lS9_S7_lS8_T11_S7_li
                                        ; -- End function
	.set _ZL29rocblas_internal_gemmt_kernelIiLi16ELi32ELi8ELc84ELc67ELc85ELb0ELb0EdPKdPKS1_PKPdEviT_T9_T10_S7_lS9_S7_lS8_T11_S7_li.num_vgpr, 44
	.set _ZL29rocblas_internal_gemmt_kernelIiLi16ELi32ELi8ELc84ELc67ELc85ELb0ELb0EdPKdPKS1_PKPdEviT_T9_T10_S7_lS9_S7_lS8_T11_S7_li.num_agpr, 0
	.set _ZL29rocblas_internal_gemmt_kernelIiLi16ELi32ELi8ELc84ELc67ELc85ELb0ELb0EdPKdPKS1_PKPdEviT_T9_T10_S7_lS9_S7_lS8_T11_S7_li.numbered_sgpr, 27
	.set _ZL29rocblas_internal_gemmt_kernelIiLi16ELi32ELi8ELc84ELc67ELc85ELb0ELb0EdPKdPKS1_PKPdEviT_T9_T10_S7_lS9_S7_lS8_T11_S7_li.num_named_barrier, 0
	.set _ZL29rocblas_internal_gemmt_kernelIiLi16ELi32ELi8ELc84ELc67ELc85ELb0ELb0EdPKdPKS1_PKPdEviT_T9_T10_S7_lS9_S7_lS8_T11_S7_li.private_seg_size, 0
	.set _ZL29rocblas_internal_gemmt_kernelIiLi16ELi32ELi8ELc84ELc67ELc85ELb0ELb0EdPKdPKS1_PKPdEviT_T9_T10_S7_lS9_S7_lS8_T11_S7_li.uses_vcc, 1
	.set _ZL29rocblas_internal_gemmt_kernelIiLi16ELi32ELi8ELc84ELc67ELc85ELb0ELb0EdPKdPKS1_PKPdEviT_T9_T10_S7_lS9_S7_lS8_T11_S7_li.uses_flat_scratch, 0
	.set _ZL29rocblas_internal_gemmt_kernelIiLi16ELi32ELi8ELc84ELc67ELc85ELb0ELb0EdPKdPKS1_PKPdEviT_T9_T10_S7_lS9_S7_lS8_T11_S7_li.has_dyn_sized_stack, 0
	.set _ZL29rocblas_internal_gemmt_kernelIiLi16ELi32ELi8ELc84ELc67ELc85ELb0ELb0EdPKdPKS1_PKPdEviT_T9_T10_S7_lS9_S7_lS8_T11_S7_li.has_recursion, 0
	.set _ZL29rocblas_internal_gemmt_kernelIiLi16ELi32ELi8ELc84ELc67ELc85ELb0ELb0EdPKdPKS1_PKPdEviT_T9_T10_S7_lS9_S7_lS8_T11_S7_li.has_indirect_call, 0
	.section	.AMDGPU.csdata,"",@progbits
; Kernel info:
; codeLenInByte = 1680
; TotalNumSgprs: 29
; NumVgprs: 44
; ScratchSize: 0
; MemoryBound: 0
; FloatMode: 240
; IeeeMode: 1
; LDSByteSize: 4096 bytes/workgroup (compile time only)
; SGPRBlocks: 0
; VGPRBlocks: 5
; NumSGPRsForWavesPerEU: 29
; NumVGPRsForWavesPerEU: 44
; Occupancy: 16
; WaveLimiterHint : 1
; COMPUTE_PGM_RSRC2:SCRATCH_EN: 0
; COMPUTE_PGM_RSRC2:USER_SGPR: 6
; COMPUTE_PGM_RSRC2:TRAP_HANDLER: 0
; COMPUTE_PGM_RSRC2:TGID_X_EN: 1
; COMPUTE_PGM_RSRC2:TGID_Y_EN: 1
; COMPUTE_PGM_RSRC2:TGID_Z_EN: 1
; COMPUTE_PGM_RSRC2:TIDIG_COMP_CNT: 1
	.section	.text._ZL29rocblas_internal_gemmt_kernelIiLi16ELi32ELi8ELc67ELc78ELc85ELb0ELb0EdPKdPKS1_PKPdEviT_T9_T10_S7_lS9_S7_lS8_T11_S7_li,"axG",@progbits,_ZL29rocblas_internal_gemmt_kernelIiLi16ELi32ELi8ELc67ELc78ELc85ELb0ELb0EdPKdPKS1_PKPdEviT_T9_T10_S7_lS9_S7_lS8_T11_S7_li,comdat
	.globl	_ZL29rocblas_internal_gemmt_kernelIiLi16ELi32ELi8ELc67ELc78ELc85ELb0ELb0EdPKdPKS1_PKPdEviT_T9_T10_S7_lS9_S7_lS8_T11_S7_li ; -- Begin function _ZL29rocblas_internal_gemmt_kernelIiLi16ELi32ELi8ELc67ELc78ELc85ELb0ELb0EdPKdPKS1_PKPdEviT_T9_T10_S7_lS9_S7_lS8_T11_S7_li
	.p2align	8
	.type	_ZL29rocblas_internal_gemmt_kernelIiLi16ELi32ELi8ELc67ELc78ELc85ELb0ELb0EdPKdPKS1_PKPdEviT_T9_T10_S7_lS9_S7_lS8_T11_S7_li,@function
_ZL29rocblas_internal_gemmt_kernelIiLi16ELi32ELi8ELc67ELc78ELc85ELb0ELb0EdPKdPKS1_PKPdEviT_T9_T10_S7_lS9_S7_lS8_T11_S7_li: ; @_ZL29rocblas_internal_gemmt_kernelIiLi16ELi32ELi8ELc67ELc78ELc85ELb0ELb0EdPKdPKS1_PKPdEviT_T9_T10_S7_lS9_S7_lS8_T11_S7_li
; %bb.0:
	s_load_dwordx4 s[12:15], s[4:5], 0x38
	s_waitcnt lgkmcnt(0)
	s_load_dwordx2 s[10:11], s[14:15], 0x0
	s_clause 0x1
	s_load_dwordx4 s[0:3], s[4:5], 0x8
	s_load_dwordx2 s[20:21], s[4:5], 0x0
	s_waitcnt lgkmcnt(0)
	s_load_dwordx2 s[14:15], s[0:1], 0x0
	v_cmp_neq_f64_e64 s9, s[10:11], 1.0
	s_and_b32 vcc_lo, exec_lo, s9
	s_cbranch_vccnz .LBB330_2
; %bb.1:
	s_waitcnt lgkmcnt(0)
	v_cmp_neq_f64_e64 s0, s[14:15], 0
	s_cmp_lg_u32 s21, 0
	s_cselect_b32 s1, -1, 0
	s_and_b32 s9, s1, s0
.LBB330_2:
	s_andn2_b32 vcc_lo, exec_lo, s9
	s_cbranch_vccnz .LBB330_26
; %bb.3:
	s_load_dwordx2 s[16:17], s[4:5], 0x48
	s_mov_b32 s9, 0
	s_waitcnt lgkmcnt(0)
	v_cmp_eq_f64_e64 s18, s[14:15], 0
	s_lshl_b64 s[0:1], s[8:9], 3
	v_mov_b32_e32 v12, 0
	v_mov_b32_e32 v6, 0
	;; [unrolled: 1-line block ×8, first 2 shown]
	s_add_u32 s16, s16, s0
	s_addc_u32 s17, s17, s1
	s_lshl_b32 s6, s6, 5
	s_load_dwordx2 s[22:23], s[16:17], 0x0
	s_lshl_b32 s7, s7, 5
	s_cmp_lt_i32 s21, 1
	s_cselect_b32 s8, -1, 0
	s_or_b32 s8, s18, s8
	s_and_b32 vcc_lo, exec_lo, s8
	s_cbranch_vccnz .LBB330_10
; %bb.4:
	s_clause 0x2
	s_load_dword s8, s[4:5], 0x18
	s_load_dwordx4 s[16:19], s[4:5], 0x20
	s_load_dword s24, s[4:5], 0x30
	v_lshl_add_u32 v2, v1, 4, v0
	v_and_b32_e32 v18, 7, v0
	v_mov_b32_e32 v12, 0
	v_lshlrev_b32_e32 v19, 3, v0
	v_lshl_add_u32 v20, v1, 6, 0x800
	v_and_b32_e32 v4, 31, v2
	v_lshrrev_b32_e32 v3, 3, v2
	v_lshrrev_b32_e32 v21, 5, v2
	v_lshlrev_b32_e32 v6, 3, v18
	v_mov_b32_e32 v13, 0
	v_or_b32_e32 v2, s6, v4
	v_lshlrev_b32_e32 v7, 3, v4
	v_add_nc_u32_e32 v4, s6, v4
	v_add_nc_u32_e32 v5, s7, v3
	v_lshl_or_b32 v8, v3, 6, v6
	v_cmp_gt_i32_e32 vcc_lo, s20, v2
	v_lshl_or_b32 v22, v21, 8, v7
	s_waitcnt lgkmcnt(0)
	v_mad_i64_i32 v[2:3], null, s8, v4, 0
	s_add_u32 s18, s18, s0
	s_addc_u32 s19, s19, s1
	s_add_u32 s2, s2, s0
	s_addc_u32 s3, s3, s1
	v_cmp_gt_i32_e64 s0, s20, v5
	s_load_dwordx2 s[2:3], s[2:3], 0x0
	v_lshlrev_b64 v[2:3], 3, v[2:3]
	v_mad_i64_i32 v[4:5], null, s24, v5, 0
	s_load_dwordx2 s[18:19], s[18:19], 0x0
	s_lshl_b64 s[16:17], s[16:17], 3
	v_lshlrev_b32_e32 v9, 3, v21
	v_add_co_u32 v7, s1, v2, s16
	v_add_nc_u32_e32 v23, 0x800, v8
	v_add_co_ci_u32_e64 v8, null, s17, v3, s1
	v_lshlrev_b64 v[2:3], 3, v[4:5]
	v_add_co_u32 v4, s1, v7, v9
	s_lshl_b64 s[12:13], s[12:13], 3
	v_add_co_ci_u32_e64 v5, null, 0, v8, s1
	v_add_co_u32 v2, s1, v2, s12
	v_add_co_ci_u32_e64 v3, null, s13, v3, s1
	s_waitcnt lgkmcnt(0)
	v_add_co_u32 v8, s1, s2, v4
	v_add_co_ci_u32_e64 v9, null, s3, v5, s1
	v_add_co_u32 v10, s1, v2, v6
	v_add_co_ci_u32_e64 v11, null, 0, v3, s1
	v_mov_b32_e32 v2, 0
	v_add_co_u32 v10, s1, s18, v10
	v_mov_b32_e32 v4, 0
	v_mov_b32_e32 v6, 0
	v_mov_b32_e32 v3, 0
	v_mov_b32_e32 v5, 0
	v_mov_b32_e32 v7, 0
	v_add_co_ci_u32_e64 v11, null, s19, v11, s1
	s_branch .LBB330_6
.LBB330_5:                              ;   in Loop: Header=BB330_6 Depth=1
	s_or_b32 exec_lo, exec_lo, s1
	s_waitcnt vmcnt(0) lgkmcnt(0)
	ds_write_b64 v23, v[16:17]
	s_waitcnt lgkmcnt(0)
	s_barrier
	buffer_gl0_inv
	ds_read_b128 v[14:17], v20
	ds_read2_b64 v[24:27], v19 offset1:16
	ds_read_b128 v[28:31], v20 offset:1024
	ds_read_b128 v[32:35], v20 offset:16
	ds_read2_b64 v[36:39], v19 offset0:32 offset1:48
	ds_read_b128 v[40:43], v20 offset:1040
	v_add_co_u32 v8, s1, v8, 64
	v_add_co_ci_u32_e64 v9, null, 0, v9, s1
	v_add_co_u32 v10, s1, v10, 64
	v_add_co_ci_u32_e64 v11, null, 0, v11, s1
	s_add_i32 s9, s9, 8
	s_cmp_lt_i32 s9, s21
	s_waitcnt lgkmcnt(4)
	v_fma_f64 v[12:13], v[24:25], v[14:15], v[12:13]
	v_fma_f64 v[6:7], v[26:27], v[14:15], v[6:7]
	s_waitcnt lgkmcnt(3)
	v_fma_f64 v[14:15], v[24:25], v[28:29], v[4:5]
	v_fma_f64 v[24:25], v[26:27], v[28:29], v[2:3]
	ds_read2_b64 v[2:5], v19 offset0:64 offset1:80
	s_waitcnt lgkmcnt(2)
	v_fma_f64 v[26:27], v[36:37], v[16:17], v[12:13]
	v_fma_f64 v[6:7], v[38:39], v[16:17], v[6:7]
	;; [unrolled: 1-line block ×4, first 2 shown]
	ds_read2_b64 v[12:15], v19 offset0:96 offset1:112
	s_waitcnt lgkmcnt(1)
	v_fma_f64 v[28:29], v[2:3], v[32:33], v[26:27]
	v_fma_f64 v[6:7], v[4:5], v[32:33], v[6:7]
	;; [unrolled: 1-line block ×4, first 2 shown]
	ds_read_b128 v[2:5], v20 offset:32
	ds_read2_b64 v[24:27], v19 offset0:128 offset1:144
	s_waitcnt lgkmcnt(2)
	v_fma_f64 v[40:41], v[12:13], v[34:35], v[28:29]
	v_fma_f64 v[6:7], v[14:15], v[34:35], v[6:7]
	;; [unrolled: 1-line block ×4, first 2 shown]
	ds_read_b128 v[12:15], v20 offset:1056
	ds_read_b128 v[28:31], v20 offset:48
	ds_read2_b64 v[32:35], v19 offset0:160 offset1:176
	ds_read_b128 v[36:39], v20 offset:1072
	s_waitcnt lgkmcnt(4)
	v_fma_f64 v[40:41], v[24:25], v[2:3], v[40:41]
	v_fma_f64 v[2:3], v[26:27], v[2:3], v[6:7]
	s_waitcnt lgkmcnt(3)
	v_fma_f64 v[6:7], v[24:25], v[12:13], v[16:17]
	v_fma_f64 v[12:13], v[26:27], v[12:13], v[42:43]
	ds_read2_b64 v[24:27], v19 offset0:192 offset1:208
	s_waitcnt lgkmcnt(2)
	v_fma_f64 v[40:41], v[32:33], v[4:5], v[40:41]
	v_fma_f64 v[2:3], v[34:35], v[4:5], v[2:3]
	;; [unrolled: 1-line block ×4, first 2 shown]
	ds_read2_b64 v[14:17], v19 offset0:224 offset1:240
	s_waitcnt lgkmcnt(0)
	s_barrier
	buffer_gl0_inv
	v_fma_f64 v[12:13], v[24:25], v[28:29], v[40:41]
	v_fma_f64 v[2:3], v[26:27], v[28:29], v[2:3]
	v_fma_f64 v[4:5], v[24:25], v[36:37], v[4:5]
	v_fma_f64 v[24:25], v[26:27], v[36:37], v[6:7]
	v_fma_f64 v[12:13], v[14:15], v[30:31], v[12:13]
	v_fma_f64 v[6:7], v[16:17], v[30:31], v[2:3]
	v_fma_f64 v[4:5], v[14:15], v[38:39], v[4:5]
	v_fma_f64 v[2:3], v[16:17], v[38:39], v[24:25]
	s_cbranch_scc0 .LBB330_10
.LBB330_6:                              ; =>This Inner Loop Header: Depth=1
	v_add_nc_u32_e32 v14, s9, v21
	v_cmp_gt_i32_e64 s1, s21, v14
	v_mov_b32_e32 v14, 0
	v_mov_b32_e32 v15, 0
	s_and_b32 s2, vcc_lo, s1
	s_and_saveexec_b32 s1, s2
	s_cbranch_execz .LBB330_8
; %bb.7:                                ;   in Loop: Header=BB330_6 Depth=1
	flat_load_dwordx2 v[14:15], v[8:9]
.LBB330_8:                              ;   in Loop: Header=BB330_6 Depth=1
	s_or_b32 exec_lo, exec_lo, s1
	v_add_nc_u32_e32 v16, s9, v18
	s_waitcnt vmcnt(0) lgkmcnt(0)
	ds_write_b64 v22, v[14:15]
	v_cmp_gt_i32_e64 s1, s21, v16
	v_mov_b32_e32 v16, 0
	v_mov_b32_e32 v17, 0
	s_and_b32 s2, s1, s0
	s_and_saveexec_b32 s1, s2
	s_cbranch_execz .LBB330_5
; %bb.9:                                ;   in Loop: Header=BB330_6 Depth=1
	flat_load_dwordx2 v[16:17], v[10:11]
	s_branch .LBB330_5
.LBB330_10:
	s_clause 0x1
	s_load_dword s2, s[4:5], 0x50
	s_load_dwordx2 s[4:5], s[4:5], 0x58
	v_add_nc_u32_e32 v15, s7, v1
	v_add_nc_u32_e32 v0, s6, v0
	v_cmp_gt_i32_e64 s0, s20, v15
	v_cmp_le_i32_e32 vcc_lo, v0, v15
	v_ashrrev_i32_e32 v1, 31, v0
	s_waitcnt lgkmcnt(0)
	v_mad_i64_i32 v[8:9], null, v15, s2, 0
	s_lshl_b64 s[4:5], s[4:5], 3
	s_add_u32 s3, s22, s4
	s_addc_u32 s4, s23, s5
	v_cmp_neq_f64_e64 s5, s[10:11], 0
	s_and_b32 s6, s0, vcc_lo
	v_lshlrev_b64 v[8:9], 3, v[8:9]
	v_add_co_u32 v16, s1, s3, v8
	v_add_co_ci_u32_e64 v17, null, s4, v9, s1
	v_cndmask_b32_e64 v14, 0, 1, s5
	s_and_saveexec_b32 s1, s6
	s_cbranch_execz .LBB330_14
; %bb.11:
	v_mul_f64 v[8:9], s[14:15], v[12:13]
	v_lshlrev_b64 v[10:11], 3, v[0:1]
	v_add_co_u32 v10, vcc_lo, v16, v10
	v_add_co_ci_u32_e64 v11, null, v17, v11, vcc_lo
	s_andn2_b32 vcc_lo, exec_lo, s5
	s_cbranch_vccnz .LBB330_13
; %bb.12:
	flat_load_dwordx2 v[12:13], v[10:11]
	s_waitcnt vmcnt(0) lgkmcnt(0)
	v_fma_f64 v[8:9], s[10:11], v[12:13], v[8:9]
.LBB330_13:
	flat_store_dwordx2 v[10:11], v[8:9]
.LBB330_14:
	s_or_b32 exec_lo, exec_lo, s1
	v_add_nc_u32_e32 v8, 16, v0
	v_cmp_le_i32_e32 vcc_lo, v8, v15
	v_ashrrev_i32_e32 v9, 31, v8
	s_and_b32 s0, s0, vcc_lo
	s_and_saveexec_b32 s1, s0
	s_cbranch_execz .LBB330_18
; %bb.15:
	v_mul_f64 v[6:7], s[14:15], v[6:7]
	v_lshlrev_b64 v[10:11], 3, v[8:9]
	v_cmp_ne_u32_e32 vcc_lo, 1, v14
	v_add_co_u32 v10, s0, v16, v10
	v_add_co_ci_u32_e64 v11, null, v17, v11, s0
	s_cbranch_vccnz .LBB330_17
; %bb.16:
	flat_load_dwordx2 v[12:13], v[10:11]
	s_waitcnt vmcnt(0) lgkmcnt(0)
	v_fma_f64 v[6:7], s[10:11], v[12:13], v[6:7]
.LBB330_17:
	flat_store_dwordx2 v[10:11], v[6:7]
.LBB330_18:
	s_or_b32 exec_lo, exec_lo, s1
	v_add_nc_u32_e32 v10, 16, v15
	v_mad_i64_i32 v[6:7], null, v10, s2, 0
	v_cmp_gt_i32_e64 s0, s20, v10
	v_cmp_le_i32_e32 vcc_lo, v0, v10
	v_lshlrev_b64 v[6:7], 3, v[6:7]
	v_add_co_u32 v6, s1, s3, v6
	v_add_co_ci_u32_e64 v7, null, s4, v7, s1
	s_and_b32 s1, s0, vcc_lo
	s_and_saveexec_b32 s2, s1
	s_cbranch_execz .LBB330_22
; %bb.19:
	v_mul_f64 v[4:5], s[14:15], v[4:5]
	v_lshlrev_b64 v[0:1], 3, v[0:1]
	v_cmp_ne_u32_e32 vcc_lo, 1, v14
	v_add_co_u32 v0, s1, v6, v0
	v_add_co_ci_u32_e64 v1, null, v7, v1, s1
	s_cbranch_vccnz .LBB330_21
; %bb.20:
	flat_load_dwordx2 v[11:12], v[0:1]
	s_waitcnt vmcnt(0) lgkmcnt(0)
	v_fma_f64 v[4:5], s[10:11], v[11:12], v[4:5]
.LBB330_21:
	flat_store_dwordx2 v[0:1], v[4:5]
.LBB330_22:
	s_or_b32 exec_lo, exec_lo, s2
	v_cmp_le_i32_e32 vcc_lo, v8, v10
	s_and_b32 s0, s0, vcc_lo
	s_and_saveexec_b32 s1, s0
	s_cbranch_execz .LBB330_26
; %bb.23:
	v_mul_f64 v[0:1], s[14:15], v[2:3]
	v_lshlrev_b64 v[2:3], 3, v[8:9]
	v_cmp_ne_u32_e32 vcc_lo, 1, v14
	v_add_co_u32 v2, s0, v6, v2
	v_add_co_ci_u32_e64 v3, null, v7, v3, s0
	s_cbranch_vccnz .LBB330_25
; %bb.24:
	flat_load_dwordx2 v[4:5], v[2:3]
	s_waitcnt vmcnt(0) lgkmcnt(0)
	v_fma_f64 v[0:1], s[10:11], v[4:5], v[0:1]
.LBB330_25:
	flat_store_dwordx2 v[2:3], v[0:1]
.LBB330_26:
	s_endpgm
	.section	.rodata,"a",@progbits
	.p2align	6, 0x0
	.amdhsa_kernel _ZL29rocblas_internal_gemmt_kernelIiLi16ELi32ELi8ELc67ELc78ELc85ELb0ELb0EdPKdPKS1_PKPdEviT_T9_T10_S7_lS9_S7_lS8_T11_S7_li
		.amdhsa_group_segment_fixed_size 4096
		.amdhsa_private_segment_fixed_size 0
		.amdhsa_kernarg_size 100
		.amdhsa_user_sgpr_count 6
		.amdhsa_user_sgpr_private_segment_buffer 1
		.amdhsa_user_sgpr_dispatch_ptr 0
		.amdhsa_user_sgpr_queue_ptr 0
		.amdhsa_user_sgpr_kernarg_segment_ptr 1
		.amdhsa_user_sgpr_dispatch_id 0
		.amdhsa_user_sgpr_flat_scratch_init 0
		.amdhsa_user_sgpr_private_segment_size 0
		.amdhsa_wavefront_size32 1
		.amdhsa_uses_dynamic_stack 0
		.amdhsa_system_sgpr_private_segment_wavefront_offset 0
		.amdhsa_system_sgpr_workgroup_id_x 1
		.amdhsa_system_sgpr_workgroup_id_y 1
		.amdhsa_system_sgpr_workgroup_id_z 1
		.amdhsa_system_sgpr_workgroup_info 0
		.amdhsa_system_vgpr_workitem_id 1
		.amdhsa_next_free_vgpr 44
		.amdhsa_next_free_sgpr 25
		.amdhsa_reserve_vcc 1
		.amdhsa_reserve_flat_scratch 0
		.amdhsa_float_round_mode_32 0
		.amdhsa_float_round_mode_16_64 0
		.amdhsa_float_denorm_mode_32 3
		.amdhsa_float_denorm_mode_16_64 3
		.amdhsa_dx10_clamp 1
		.amdhsa_ieee_mode 1
		.amdhsa_fp16_overflow 0
		.amdhsa_workgroup_processor_mode 1
		.amdhsa_memory_ordered 1
		.amdhsa_forward_progress 1
		.amdhsa_shared_vgpr_count 0
		.amdhsa_exception_fp_ieee_invalid_op 0
		.amdhsa_exception_fp_denorm_src 0
		.amdhsa_exception_fp_ieee_div_zero 0
		.amdhsa_exception_fp_ieee_overflow 0
		.amdhsa_exception_fp_ieee_underflow 0
		.amdhsa_exception_fp_ieee_inexact 0
		.amdhsa_exception_int_div_zero 0
	.end_amdhsa_kernel
	.section	.text._ZL29rocblas_internal_gemmt_kernelIiLi16ELi32ELi8ELc67ELc78ELc85ELb0ELb0EdPKdPKS1_PKPdEviT_T9_T10_S7_lS9_S7_lS8_T11_S7_li,"axG",@progbits,_ZL29rocblas_internal_gemmt_kernelIiLi16ELi32ELi8ELc67ELc78ELc85ELb0ELb0EdPKdPKS1_PKPdEviT_T9_T10_S7_lS9_S7_lS8_T11_S7_li,comdat
.Lfunc_end330:
	.size	_ZL29rocblas_internal_gemmt_kernelIiLi16ELi32ELi8ELc67ELc78ELc85ELb0ELb0EdPKdPKS1_PKPdEviT_T9_T10_S7_lS9_S7_lS8_T11_S7_li, .Lfunc_end330-_ZL29rocblas_internal_gemmt_kernelIiLi16ELi32ELi8ELc67ELc78ELc85ELb0ELb0EdPKdPKS1_PKPdEviT_T9_T10_S7_lS9_S7_lS8_T11_S7_li
                                        ; -- End function
	.set _ZL29rocblas_internal_gemmt_kernelIiLi16ELi32ELi8ELc67ELc78ELc85ELb0ELb0EdPKdPKS1_PKPdEviT_T9_T10_S7_lS9_S7_lS8_T11_S7_li.num_vgpr, 44
	.set _ZL29rocblas_internal_gemmt_kernelIiLi16ELi32ELi8ELc67ELc78ELc85ELb0ELb0EdPKdPKS1_PKPdEviT_T9_T10_S7_lS9_S7_lS8_T11_S7_li.num_agpr, 0
	.set _ZL29rocblas_internal_gemmt_kernelIiLi16ELi32ELi8ELc67ELc78ELc85ELb0ELb0EdPKdPKS1_PKPdEviT_T9_T10_S7_lS9_S7_lS8_T11_S7_li.numbered_sgpr, 25
	.set _ZL29rocblas_internal_gemmt_kernelIiLi16ELi32ELi8ELc67ELc78ELc85ELb0ELb0EdPKdPKS1_PKPdEviT_T9_T10_S7_lS9_S7_lS8_T11_S7_li.num_named_barrier, 0
	.set _ZL29rocblas_internal_gemmt_kernelIiLi16ELi32ELi8ELc67ELc78ELc85ELb0ELb0EdPKdPKS1_PKPdEviT_T9_T10_S7_lS9_S7_lS8_T11_S7_li.private_seg_size, 0
	.set _ZL29rocblas_internal_gemmt_kernelIiLi16ELi32ELi8ELc67ELc78ELc85ELb0ELb0EdPKdPKS1_PKPdEviT_T9_T10_S7_lS9_S7_lS8_T11_S7_li.uses_vcc, 1
	.set _ZL29rocblas_internal_gemmt_kernelIiLi16ELi32ELi8ELc67ELc78ELc85ELb0ELb0EdPKdPKS1_PKPdEviT_T9_T10_S7_lS9_S7_lS8_T11_S7_li.uses_flat_scratch, 0
	.set _ZL29rocblas_internal_gemmt_kernelIiLi16ELi32ELi8ELc67ELc78ELc85ELb0ELb0EdPKdPKS1_PKPdEviT_T9_T10_S7_lS9_S7_lS8_T11_S7_li.has_dyn_sized_stack, 0
	.set _ZL29rocblas_internal_gemmt_kernelIiLi16ELi32ELi8ELc67ELc78ELc85ELb0ELb0EdPKdPKS1_PKPdEviT_T9_T10_S7_lS9_S7_lS8_T11_S7_li.has_recursion, 0
	.set _ZL29rocblas_internal_gemmt_kernelIiLi16ELi32ELi8ELc67ELc78ELc85ELb0ELb0EdPKdPKS1_PKPdEviT_T9_T10_S7_lS9_S7_lS8_T11_S7_li.has_indirect_call, 0
	.section	.AMDGPU.csdata,"",@progbits
; Kernel info:
; codeLenInByte = 1660
; TotalNumSgprs: 27
; NumVgprs: 44
; ScratchSize: 0
; MemoryBound: 0
; FloatMode: 240
; IeeeMode: 1
; LDSByteSize: 4096 bytes/workgroup (compile time only)
; SGPRBlocks: 0
; VGPRBlocks: 5
; NumSGPRsForWavesPerEU: 27
; NumVGPRsForWavesPerEU: 44
; Occupancy: 16
; WaveLimiterHint : 1
; COMPUTE_PGM_RSRC2:SCRATCH_EN: 0
; COMPUTE_PGM_RSRC2:USER_SGPR: 6
; COMPUTE_PGM_RSRC2:TRAP_HANDLER: 0
; COMPUTE_PGM_RSRC2:TGID_X_EN: 1
; COMPUTE_PGM_RSRC2:TGID_Y_EN: 1
; COMPUTE_PGM_RSRC2:TGID_Z_EN: 1
; COMPUTE_PGM_RSRC2:TIDIG_COMP_CNT: 1
	.section	.text._ZL29rocblas_internal_gemmt_kernelIiLi16ELi32ELi8ELc67ELc84ELc85ELb0ELb0EdPKdPKS1_PKPdEviT_T9_T10_S7_lS9_S7_lS8_T11_S7_li,"axG",@progbits,_ZL29rocblas_internal_gemmt_kernelIiLi16ELi32ELi8ELc67ELc84ELc85ELb0ELb0EdPKdPKS1_PKPdEviT_T9_T10_S7_lS9_S7_lS8_T11_S7_li,comdat
	.globl	_ZL29rocblas_internal_gemmt_kernelIiLi16ELi32ELi8ELc67ELc84ELc85ELb0ELb0EdPKdPKS1_PKPdEviT_T9_T10_S7_lS9_S7_lS8_T11_S7_li ; -- Begin function _ZL29rocblas_internal_gemmt_kernelIiLi16ELi32ELi8ELc67ELc84ELc85ELb0ELb0EdPKdPKS1_PKPdEviT_T9_T10_S7_lS9_S7_lS8_T11_S7_li
	.p2align	8
	.type	_ZL29rocblas_internal_gemmt_kernelIiLi16ELi32ELi8ELc67ELc84ELc85ELb0ELb0EdPKdPKS1_PKPdEviT_T9_T10_S7_lS9_S7_lS8_T11_S7_li,@function
_ZL29rocblas_internal_gemmt_kernelIiLi16ELi32ELi8ELc67ELc84ELc85ELb0ELb0EdPKdPKS1_PKPdEviT_T9_T10_S7_lS9_S7_lS8_T11_S7_li: ; @_ZL29rocblas_internal_gemmt_kernelIiLi16ELi32ELi8ELc67ELc84ELc85ELb0ELb0EdPKdPKS1_PKPdEviT_T9_T10_S7_lS9_S7_lS8_T11_S7_li
; %bb.0:
	s_load_dwordx4 s[12:15], s[4:5], 0x38
	s_waitcnt lgkmcnt(0)
	s_load_dwordx2 s[10:11], s[14:15], 0x0
	s_clause 0x1
	s_load_dwordx4 s[0:3], s[4:5], 0x8
	s_load_dwordx2 s[20:21], s[4:5], 0x0
	s_waitcnt lgkmcnt(0)
	s_load_dwordx2 s[14:15], s[0:1], 0x0
	v_cmp_neq_f64_e64 s9, s[10:11], 1.0
	s_and_b32 vcc_lo, exec_lo, s9
	s_cbranch_vccnz .LBB331_2
; %bb.1:
	s_waitcnt lgkmcnt(0)
	v_cmp_neq_f64_e64 s0, s[14:15], 0
	s_cmp_lg_u32 s21, 0
	s_cselect_b32 s1, -1, 0
	s_and_b32 s9, s1, s0
.LBB331_2:
	s_andn2_b32 vcc_lo, exec_lo, s9
	s_cbranch_vccnz .LBB331_26
; %bb.3:
	s_load_dwordx2 s[0:1], s[4:5], 0x48
	s_mov_b32 s9, 0
	s_waitcnt lgkmcnt(0)
	v_cmp_eq_f64_e64 s16, s[14:15], 0
	s_lshl_b64 s[24:25], s[8:9], 3
	v_mov_b32_e32 v12, 0
	v_mov_b32_e32 v6, 0
	;; [unrolled: 1-line block ×8, first 2 shown]
	s_add_u32 s0, s0, s24
	s_addc_u32 s1, s1, s25
	s_lshl_b32 s8, s6, 5
	s_load_dwordx2 s[22:23], s[0:1], 0x0
	s_lshl_b32 s26, s7, 5
	s_cmp_lt_i32 s21, 1
	s_cselect_b32 s0, -1, 0
	s_or_b32 s0, s16, s0
	s_and_b32 vcc_lo, exec_lo, s0
	s_cbranch_vccnz .LBB331_10
; %bb.4:
	s_clause 0x2
	s_load_dword s6, s[4:5], 0x30
	s_load_dword s1, s[4:5], 0x18
	s_load_dwordx4 s[16:19], s[4:5], 0x20
	v_lshl_add_u32 v2, v1, 4, v0
	v_and_b32_e32 v18, 7, v0
	v_mov_b32_e32 v12, 0
	v_lshlrev_b32_e32 v22, 3, v0
	v_lshl_add_u32 v23, v1, 6, 0x800
	v_and_b32_e32 v3, 31, v2
	v_lshrrev_b32_e32 v4, 3, v2
	v_lshlrev_b32_e32 v5, 3, v18
	v_lshrrev_b32_e32 v19, 5, v2
	v_mov_b32_e32 v13, 0
	v_or_b32_e32 v6, s8, v3
	v_lshlrev_b32_e32 v7, 3, v3
	v_add_nc_u32_e32 v2, s26, v4
	v_lshl_or_b32 v4, v4, 6, v5
	v_add_nc_u32_e32 v3, s8, v3
	v_cmp_gt_i32_e32 vcc_lo, s20, v6
	v_lshl_or_b32 v20, v19, 8, v7
	v_lshlrev_b32_e32 v8, 3, v19
	v_add_nc_u32_e32 v21, 0x800, v4
	s_waitcnt lgkmcnt(0)
	s_ashr_i32 s7, s6, 31
	v_mad_i64_i32 v[4:5], null, s1, v3, 0
	s_add_u32 s18, s18, s24
	s_addc_u32 s19, s19, s25
	s_add_u32 s2, s2, s24
	s_addc_u32 s3, s3, s25
	s_load_dwordx2 s[18:19], s[18:19], 0x0
	s_load_dwordx2 s[2:3], s[2:3], 0x0
	v_mad_i64_i32 v[6:7], null, s6, v18, 0
	v_lshlrev_b64 v[4:5], 3, v[4:5]
	s_lshl_b64 s[16:17], s[16:17], 3
	v_ashrrev_i32_e32 v3, 31, v2
	s_lshl_b64 s[12:13], s[12:13], 3
	v_cmp_gt_i32_e64 s0, s20, v2
	v_add_co_u32 v9, s1, v4, s16
	v_add_co_ci_u32_e64 v10, null, s17, v5, s1
	v_lshlrev_b64 v[4:5], 3, v[6:7]
	v_add_co_u32 v6, s1, v9, v8
	v_lshlrev_b64 v[2:3], 3, v[2:3]
	v_add_co_ci_u32_e64 v7, null, 0, v10, s1
	v_add_co_u32 v4, s1, v4, s12
	v_add_co_ci_u32_e64 v5, null, s13, v5, s1
	s_waitcnt lgkmcnt(0)
	v_add_co_u32 v8, s1, s2, v6
	v_add_co_ci_u32_e64 v9, null, s3, v7, s1
	v_add_co_u32 v10, s1, v4, v2
	v_add_co_ci_u32_e64 v11, null, v5, v3, s1
	v_mov_b32_e32 v2, 0
	v_add_co_u32 v10, s1, s18, v10
	v_mov_b32_e32 v4, 0
	v_mov_b32_e32 v6, 0
	;; [unrolled: 1-line block ×5, first 2 shown]
	v_add_co_ci_u32_e64 v11, null, s19, v11, s1
	s_lshl_b64 s[2:3], s[6:7], 6
	s_branch .LBB331_6
.LBB331_5:                              ;   in Loop: Header=BB331_6 Depth=1
	s_or_b32 exec_lo, exec_lo, s1
	s_waitcnt vmcnt(0) lgkmcnt(0)
	ds_write_b64 v21, v[16:17]
	s_waitcnt lgkmcnt(0)
	s_barrier
	buffer_gl0_inv
	ds_read_b128 v[14:17], v23
	ds_read2_b64 v[24:27], v22 offset1:16
	ds_read_b128 v[28:31], v23 offset:1024
	ds_read_b128 v[32:35], v23 offset:16
	ds_read2_b64 v[36:39], v22 offset0:32 offset1:48
	ds_read_b128 v[40:43], v23 offset:1040
	v_add_co_u32 v8, s1, v8, 64
	v_add_co_ci_u32_e64 v9, null, 0, v9, s1
	v_add_co_u32 v10, s1, v10, s2
	v_add_co_ci_u32_e64 v11, null, s3, v11, s1
	s_add_i32 s9, s9, 8
	s_cmp_lt_i32 s9, s21
	s_waitcnt lgkmcnt(4)
	v_fma_f64 v[12:13], v[24:25], v[14:15], v[12:13]
	v_fma_f64 v[6:7], v[26:27], v[14:15], v[6:7]
	s_waitcnt lgkmcnt(3)
	v_fma_f64 v[14:15], v[24:25], v[28:29], v[4:5]
	v_fma_f64 v[24:25], v[26:27], v[28:29], v[2:3]
	ds_read2_b64 v[2:5], v22 offset0:64 offset1:80
	s_waitcnt lgkmcnt(2)
	v_fma_f64 v[26:27], v[36:37], v[16:17], v[12:13]
	v_fma_f64 v[6:7], v[38:39], v[16:17], v[6:7]
	v_fma_f64 v[16:17], v[36:37], v[30:31], v[14:15]
	v_fma_f64 v[24:25], v[38:39], v[30:31], v[24:25]
	ds_read2_b64 v[12:15], v22 offset0:96 offset1:112
	s_waitcnt lgkmcnt(1)
	v_fma_f64 v[28:29], v[2:3], v[32:33], v[26:27]
	v_fma_f64 v[6:7], v[4:5], v[32:33], v[6:7]
	;; [unrolled: 1-line block ×4, first 2 shown]
	ds_read_b128 v[2:5], v23 offset:32
	ds_read2_b64 v[24:27], v22 offset0:128 offset1:144
	s_waitcnt lgkmcnt(2)
	v_fma_f64 v[40:41], v[12:13], v[34:35], v[28:29]
	v_fma_f64 v[6:7], v[14:15], v[34:35], v[6:7]
	;; [unrolled: 1-line block ×4, first 2 shown]
	ds_read_b128 v[12:15], v23 offset:1056
	ds_read_b128 v[28:31], v23 offset:48
	ds_read2_b64 v[32:35], v22 offset0:160 offset1:176
	ds_read_b128 v[36:39], v23 offset:1072
	s_waitcnt lgkmcnt(4)
	v_fma_f64 v[40:41], v[24:25], v[2:3], v[40:41]
	v_fma_f64 v[2:3], v[26:27], v[2:3], v[6:7]
	s_waitcnt lgkmcnt(3)
	v_fma_f64 v[6:7], v[24:25], v[12:13], v[16:17]
	v_fma_f64 v[12:13], v[26:27], v[12:13], v[42:43]
	ds_read2_b64 v[24:27], v22 offset0:192 offset1:208
	s_waitcnt lgkmcnt(2)
	v_fma_f64 v[40:41], v[32:33], v[4:5], v[40:41]
	v_fma_f64 v[2:3], v[34:35], v[4:5], v[2:3]
	;; [unrolled: 1-line block ×4, first 2 shown]
	ds_read2_b64 v[14:17], v22 offset0:224 offset1:240
	s_waitcnt lgkmcnt(0)
	s_barrier
	buffer_gl0_inv
	v_fma_f64 v[12:13], v[24:25], v[28:29], v[40:41]
	v_fma_f64 v[2:3], v[26:27], v[28:29], v[2:3]
	;; [unrolled: 1-line block ×8, first 2 shown]
	s_cbranch_scc0 .LBB331_10
.LBB331_6:                              ; =>This Inner Loop Header: Depth=1
	v_add_nc_u32_e32 v14, s9, v19
	v_cmp_gt_i32_e64 s1, s21, v14
	v_mov_b32_e32 v14, 0
	v_mov_b32_e32 v15, 0
	s_and_b32 s6, vcc_lo, s1
	s_and_saveexec_b32 s1, s6
	s_cbranch_execz .LBB331_8
; %bb.7:                                ;   in Loop: Header=BB331_6 Depth=1
	flat_load_dwordx2 v[14:15], v[8:9]
.LBB331_8:                              ;   in Loop: Header=BB331_6 Depth=1
	s_or_b32 exec_lo, exec_lo, s1
	v_add_nc_u32_e32 v16, s9, v18
	s_waitcnt vmcnt(0) lgkmcnt(0)
	ds_write_b64 v20, v[14:15]
	v_cmp_gt_i32_e64 s1, s21, v16
	v_mov_b32_e32 v16, 0
	v_mov_b32_e32 v17, 0
	s_and_b32 s6, s1, s0
	s_and_saveexec_b32 s1, s6
	s_cbranch_execz .LBB331_5
; %bb.9:                                ;   in Loop: Header=BB331_6 Depth=1
	flat_load_dwordx2 v[16:17], v[10:11]
	s_branch .LBB331_5
.LBB331_10:
	s_clause 0x1
	s_load_dword s2, s[4:5], 0x50
	s_load_dwordx2 s[4:5], s[4:5], 0x58
	v_add_nc_u32_e32 v15, s26, v1
	v_add_nc_u32_e32 v0, s8, v0
	v_cmp_gt_i32_e64 s0, s20, v15
	v_cmp_le_i32_e32 vcc_lo, v0, v15
	v_ashrrev_i32_e32 v1, 31, v0
	s_waitcnt lgkmcnt(0)
	v_mad_i64_i32 v[8:9], null, v15, s2, 0
	s_lshl_b64 s[4:5], s[4:5], 3
	s_add_u32 s3, s22, s4
	s_addc_u32 s4, s23, s5
	v_cmp_neq_f64_e64 s5, s[10:11], 0
	s_and_b32 s6, s0, vcc_lo
	v_lshlrev_b64 v[8:9], 3, v[8:9]
	v_add_co_u32 v16, s1, s3, v8
	v_add_co_ci_u32_e64 v17, null, s4, v9, s1
	v_cndmask_b32_e64 v14, 0, 1, s5
	s_and_saveexec_b32 s1, s6
	s_cbranch_execz .LBB331_14
; %bb.11:
	v_mul_f64 v[8:9], s[14:15], v[12:13]
	v_lshlrev_b64 v[10:11], 3, v[0:1]
	v_add_co_u32 v10, vcc_lo, v16, v10
	v_add_co_ci_u32_e64 v11, null, v17, v11, vcc_lo
	s_andn2_b32 vcc_lo, exec_lo, s5
	s_cbranch_vccnz .LBB331_13
; %bb.12:
	flat_load_dwordx2 v[12:13], v[10:11]
	s_waitcnt vmcnt(0) lgkmcnt(0)
	v_fma_f64 v[8:9], s[10:11], v[12:13], v[8:9]
.LBB331_13:
	flat_store_dwordx2 v[10:11], v[8:9]
.LBB331_14:
	s_or_b32 exec_lo, exec_lo, s1
	v_add_nc_u32_e32 v8, 16, v0
	v_cmp_le_i32_e32 vcc_lo, v8, v15
	v_ashrrev_i32_e32 v9, 31, v8
	s_and_b32 s0, s0, vcc_lo
	s_and_saveexec_b32 s1, s0
	s_cbranch_execz .LBB331_18
; %bb.15:
	v_mul_f64 v[6:7], s[14:15], v[6:7]
	v_lshlrev_b64 v[10:11], 3, v[8:9]
	v_cmp_ne_u32_e32 vcc_lo, 1, v14
	v_add_co_u32 v10, s0, v16, v10
	v_add_co_ci_u32_e64 v11, null, v17, v11, s0
	s_cbranch_vccnz .LBB331_17
; %bb.16:
	flat_load_dwordx2 v[12:13], v[10:11]
	s_waitcnt vmcnt(0) lgkmcnt(0)
	v_fma_f64 v[6:7], s[10:11], v[12:13], v[6:7]
.LBB331_17:
	flat_store_dwordx2 v[10:11], v[6:7]
.LBB331_18:
	s_or_b32 exec_lo, exec_lo, s1
	v_add_nc_u32_e32 v10, 16, v15
	v_mad_i64_i32 v[6:7], null, v10, s2, 0
	v_cmp_gt_i32_e64 s0, s20, v10
	v_cmp_le_i32_e32 vcc_lo, v0, v10
	v_lshlrev_b64 v[6:7], 3, v[6:7]
	v_add_co_u32 v6, s1, s3, v6
	v_add_co_ci_u32_e64 v7, null, s4, v7, s1
	s_and_b32 s1, s0, vcc_lo
	s_and_saveexec_b32 s2, s1
	s_cbranch_execz .LBB331_22
; %bb.19:
	v_mul_f64 v[4:5], s[14:15], v[4:5]
	v_lshlrev_b64 v[0:1], 3, v[0:1]
	v_cmp_ne_u32_e32 vcc_lo, 1, v14
	v_add_co_u32 v0, s1, v6, v0
	v_add_co_ci_u32_e64 v1, null, v7, v1, s1
	s_cbranch_vccnz .LBB331_21
; %bb.20:
	flat_load_dwordx2 v[11:12], v[0:1]
	s_waitcnt vmcnt(0) lgkmcnt(0)
	v_fma_f64 v[4:5], s[10:11], v[11:12], v[4:5]
.LBB331_21:
	flat_store_dwordx2 v[0:1], v[4:5]
.LBB331_22:
	s_or_b32 exec_lo, exec_lo, s2
	v_cmp_le_i32_e32 vcc_lo, v8, v10
	s_and_b32 s0, s0, vcc_lo
	s_and_saveexec_b32 s1, s0
	s_cbranch_execz .LBB331_26
; %bb.23:
	v_mul_f64 v[0:1], s[14:15], v[2:3]
	v_lshlrev_b64 v[2:3], 3, v[8:9]
	v_cmp_ne_u32_e32 vcc_lo, 1, v14
	v_add_co_u32 v2, s0, v6, v2
	v_add_co_ci_u32_e64 v3, null, v7, v3, s0
	s_cbranch_vccnz .LBB331_25
; %bb.24:
	flat_load_dwordx2 v[4:5], v[2:3]
	s_waitcnt vmcnt(0) lgkmcnt(0)
	v_fma_f64 v[0:1], s[10:11], v[4:5], v[0:1]
.LBB331_25:
	flat_store_dwordx2 v[2:3], v[0:1]
.LBB331_26:
	s_endpgm
	.section	.rodata,"a",@progbits
	.p2align	6, 0x0
	.amdhsa_kernel _ZL29rocblas_internal_gemmt_kernelIiLi16ELi32ELi8ELc67ELc84ELc85ELb0ELb0EdPKdPKS1_PKPdEviT_T9_T10_S7_lS9_S7_lS8_T11_S7_li
		.amdhsa_group_segment_fixed_size 4096
		.amdhsa_private_segment_fixed_size 0
		.amdhsa_kernarg_size 100
		.amdhsa_user_sgpr_count 6
		.amdhsa_user_sgpr_private_segment_buffer 1
		.amdhsa_user_sgpr_dispatch_ptr 0
		.amdhsa_user_sgpr_queue_ptr 0
		.amdhsa_user_sgpr_kernarg_segment_ptr 1
		.amdhsa_user_sgpr_dispatch_id 0
		.amdhsa_user_sgpr_flat_scratch_init 0
		.amdhsa_user_sgpr_private_segment_size 0
		.amdhsa_wavefront_size32 1
		.amdhsa_uses_dynamic_stack 0
		.amdhsa_system_sgpr_private_segment_wavefront_offset 0
		.amdhsa_system_sgpr_workgroup_id_x 1
		.amdhsa_system_sgpr_workgroup_id_y 1
		.amdhsa_system_sgpr_workgroup_id_z 1
		.amdhsa_system_sgpr_workgroup_info 0
		.amdhsa_system_vgpr_workitem_id 1
		.amdhsa_next_free_vgpr 44
		.amdhsa_next_free_sgpr 27
		.amdhsa_reserve_vcc 1
		.amdhsa_reserve_flat_scratch 0
		.amdhsa_float_round_mode_32 0
		.amdhsa_float_round_mode_16_64 0
		.amdhsa_float_denorm_mode_32 3
		.amdhsa_float_denorm_mode_16_64 3
		.amdhsa_dx10_clamp 1
		.amdhsa_ieee_mode 1
		.amdhsa_fp16_overflow 0
		.amdhsa_workgroup_processor_mode 1
		.amdhsa_memory_ordered 1
		.amdhsa_forward_progress 1
		.amdhsa_shared_vgpr_count 0
		.amdhsa_exception_fp_ieee_invalid_op 0
		.amdhsa_exception_fp_denorm_src 0
		.amdhsa_exception_fp_ieee_div_zero 0
		.amdhsa_exception_fp_ieee_overflow 0
		.amdhsa_exception_fp_ieee_underflow 0
		.amdhsa_exception_fp_ieee_inexact 0
		.amdhsa_exception_int_div_zero 0
	.end_amdhsa_kernel
	.section	.text._ZL29rocblas_internal_gemmt_kernelIiLi16ELi32ELi8ELc67ELc84ELc85ELb0ELb0EdPKdPKS1_PKPdEviT_T9_T10_S7_lS9_S7_lS8_T11_S7_li,"axG",@progbits,_ZL29rocblas_internal_gemmt_kernelIiLi16ELi32ELi8ELc67ELc84ELc85ELb0ELb0EdPKdPKS1_PKPdEviT_T9_T10_S7_lS9_S7_lS8_T11_S7_li,comdat
.Lfunc_end331:
	.size	_ZL29rocblas_internal_gemmt_kernelIiLi16ELi32ELi8ELc67ELc84ELc85ELb0ELb0EdPKdPKS1_PKPdEviT_T9_T10_S7_lS9_S7_lS8_T11_S7_li, .Lfunc_end331-_ZL29rocblas_internal_gemmt_kernelIiLi16ELi32ELi8ELc67ELc84ELc85ELb0ELb0EdPKdPKS1_PKPdEviT_T9_T10_S7_lS9_S7_lS8_T11_S7_li
                                        ; -- End function
	.set _ZL29rocblas_internal_gemmt_kernelIiLi16ELi32ELi8ELc67ELc84ELc85ELb0ELb0EdPKdPKS1_PKPdEviT_T9_T10_S7_lS9_S7_lS8_T11_S7_li.num_vgpr, 44
	.set _ZL29rocblas_internal_gemmt_kernelIiLi16ELi32ELi8ELc67ELc84ELc85ELb0ELb0EdPKdPKS1_PKPdEviT_T9_T10_S7_lS9_S7_lS8_T11_S7_li.num_agpr, 0
	.set _ZL29rocblas_internal_gemmt_kernelIiLi16ELi32ELi8ELc67ELc84ELc85ELb0ELb0EdPKdPKS1_PKPdEviT_T9_T10_S7_lS9_S7_lS8_T11_S7_li.numbered_sgpr, 27
	.set _ZL29rocblas_internal_gemmt_kernelIiLi16ELi32ELi8ELc67ELc84ELc85ELb0ELb0EdPKdPKS1_PKPdEviT_T9_T10_S7_lS9_S7_lS8_T11_S7_li.num_named_barrier, 0
	.set _ZL29rocblas_internal_gemmt_kernelIiLi16ELi32ELi8ELc67ELc84ELc85ELb0ELb0EdPKdPKS1_PKPdEviT_T9_T10_S7_lS9_S7_lS8_T11_S7_li.private_seg_size, 0
	.set _ZL29rocblas_internal_gemmt_kernelIiLi16ELi32ELi8ELc67ELc84ELc85ELb0ELb0EdPKdPKS1_PKPdEviT_T9_T10_S7_lS9_S7_lS8_T11_S7_li.uses_vcc, 1
	.set _ZL29rocblas_internal_gemmt_kernelIiLi16ELi32ELi8ELc67ELc84ELc85ELb0ELb0EdPKdPKS1_PKPdEviT_T9_T10_S7_lS9_S7_lS8_T11_S7_li.uses_flat_scratch, 0
	.set _ZL29rocblas_internal_gemmt_kernelIiLi16ELi32ELi8ELc67ELc84ELc85ELb0ELb0EdPKdPKS1_PKPdEviT_T9_T10_S7_lS9_S7_lS8_T11_S7_li.has_dyn_sized_stack, 0
	.set _ZL29rocblas_internal_gemmt_kernelIiLi16ELi32ELi8ELc67ELc84ELc85ELb0ELb0EdPKdPKS1_PKPdEviT_T9_T10_S7_lS9_S7_lS8_T11_S7_li.has_recursion, 0
	.set _ZL29rocblas_internal_gemmt_kernelIiLi16ELi32ELi8ELc67ELc84ELc85ELb0ELb0EdPKdPKS1_PKPdEviT_T9_T10_S7_lS9_S7_lS8_T11_S7_li.has_indirect_call, 0
	.section	.AMDGPU.csdata,"",@progbits
; Kernel info:
; codeLenInByte = 1680
; TotalNumSgprs: 29
; NumVgprs: 44
; ScratchSize: 0
; MemoryBound: 0
; FloatMode: 240
; IeeeMode: 1
; LDSByteSize: 4096 bytes/workgroup (compile time only)
; SGPRBlocks: 0
; VGPRBlocks: 5
; NumSGPRsForWavesPerEU: 29
; NumVGPRsForWavesPerEU: 44
; Occupancy: 16
; WaveLimiterHint : 1
; COMPUTE_PGM_RSRC2:SCRATCH_EN: 0
; COMPUTE_PGM_RSRC2:USER_SGPR: 6
; COMPUTE_PGM_RSRC2:TRAP_HANDLER: 0
; COMPUTE_PGM_RSRC2:TGID_X_EN: 1
; COMPUTE_PGM_RSRC2:TGID_Y_EN: 1
; COMPUTE_PGM_RSRC2:TGID_Z_EN: 1
; COMPUTE_PGM_RSRC2:TIDIG_COMP_CNT: 1
	.section	.text._ZL29rocblas_internal_gemmt_kernelIiLi16ELi32ELi8ELc67ELc67ELc85ELb0ELb0EdPKdPKS1_PKPdEviT_T9_T10_S7_lS9_S7_lS8_T11_S7_li,"axG",@progbits,_ZL29rocblas_internal_gemmt_kernelIiLi16ELi32ELi8ELc67ELc67ELc85ELb0ELb0EdPKdPKS1_PKPdEviT_T9_T10_S7_lS9_S7_lS8_T11_S7_li,comdat
	.globl	_ZL29rocblas_internal_gemmt_kernelIiLi16ELi32ELi8ELc67ELc67ELc85ELb0ELb0EdPKdPKS1_PKPdEviT_T9_T10_S7_lS9_S7_lS8_T11_S7_li ; -- Begin function _ZL29rocblas_internal_gemmt_kernelIiLi16ELi32ELi8ELc67ELc67ELc85ELb0ELb0EdPKdPKS1_PKPdEviT_T9_T10_S7_lS9_S7_lS8_T11_S7_li
	.p2align	8
	.type	_ZL29rocblas_internal_gemmt_kernelIiLi16ELi32ELi8ELc67ELc67ELc85ELb0ELb0EdPKdPKS1_PKPdEviT_T9_T10_S7_lS9_S7_lS8_T11_S7_li,@function
_ZL29rocblas_internal_gemmt_kernelIiLi16ELi32ELi8ELc67ELc67ELc85ELb0ELb0EdPKdPKS1_PKPdEviT_T9_T10_S7_lS9_S7_lS8_T11_S7_li: ; @_ZL29rocblas_internal_gemmt_kernelIiLi16ELi32ELi8ELc67ELc67ELc85ELb0ELb0EdPKdPKS1_PKPdEviT_T9_T10_S7_lS9_S7_lS8_T11_S7_li
; %bb.0:
	s_load_dwordx4 s[12:15], s[4:5], 0x38
	s_waitcnt lgkmcnt(0)
	s_load_dwordx2 s[10:11], s[14:15], 0x0
	s_clause 0x1
	s_load_dwordx4 s[0:3], s[4:5], 0x8
	s_load_dwordx2 s[20:21], s[4:5], 0x0
	s_waitcnt lgkmcnt(0)
	s_load_dwordx2 s[14:15], s[0:1], 0x0
	v_cmp_neq_f64_e64 s9, s[10:11], 1.0
	s_and_b32 vcc_lo, exec_lo, s9
	s_cbranch_vccnz .LBB332_2
; %bb.1:
	s_waitcnt lgkmcnt(0)
	v_cmp_neq_f64_e64 s0, s[14:15], 0
	s_cmp_lg_u32 s21, 0
	s_cselect_b32 s1, -1, 0
	s_and_b32 s9, s1, s0
.LBB332_2:
	s_andn2_b32 vcc_lo, exec_lo, s9
	s_cbranch_vccnz .LBB332_26
; %bb.3:
	s_load_dwordx2 s[0:1], s[4:5], 0x48
	s_mov_b32 s9, 0
	s_waitcnt lgkmcnt(0)
	v_cmp_eq_f64_e64 s16, s[14:15], 0
	s_lshl_b64 s[24:25], s[8:9], 3
	v_mov_b32_e32 v12, 0
	v_mov_b32_e32 v6, 0
	;; [unrolled: 1-line block ×8, first 2 shown]
	s_add_u32 s0, s0, s24
	s_addc_u32 s1, s1, s25
	s_lshl_b32 s8, s6, 5
	s_load_dwordx2 s[22:23], s[0:1], 0x0
	s_lshl_b32 s26, s7, 5
	s_cmp_lt_i32 s21, 1
	s_cselect_b32 s0, -1, 0
	s_or_b32 s0, s16, s0
	s_and_b32 vcc_lo, exec_lo, s0
	s_cbranch_vccnz .LBB332_10
; %bb.4:
	s_clause 0x2
	s_load_dword s6, s[4:5], 0x30
	s_load_dword s1, s[4:5], 0x18
	s_load_dwordx4 s[16:19], s[4:5], 0x20
	v_lshl_add_u32 v2, v1, 4, v0
	v_and_b32_e32 v18, 7, v0
	v_mov_b32_e32 v12, 0
	v_lshlrev_b32_e32 v22, 3, v0
	v_lshl_add_u32 v23, v1, 6, 0x800
	v_and_b32_e32 v3, 31, v2
	v_lshrrev_b32_e32 v4, 3, v2
	v_lshlrev_b32_e32 v5, 3, v18
	v_lshrrev_b32_e32 v19, 5, v2
	v_mov_b32_e32 v13, 0
	v_or_b32_e32 v6, s8, v3
	v_lshlrev_b32_e32 v7, 3, v3
	v_add_nc_u32_e32 v2, s26, v4
	v_lshl_or_b32 v4, v4, 6, v5
	v_add_nc_u32_e32 v3, s8, v3
	v_cmp_gt_i32_e32 vcc_lo, s20, v6
	v_lshl_or_b32 v20, v19, 8, v7
	v_lshlrev_b32_e32 v8, 3, v19
	v_add_nc_u32_e32 v21, 0x800, v4
	s_waitcnt lgkmcnt(0)
	s_ashr_i32 s7, s6, 31
	v_mad_i64_i32 v[4:5], null, s1, v3, 0
	s_add_u32 s18, s18, s24
	s_addc_u32 s19, s19, s25
	s_add_u32 s2, s2, s24
	s_addc_u32 s3, s3, s25
	s_load_dwordx2 s[18:19], s[18:19], 0x0
	s_load_dwordx2 s[2:3], s[2:3], 0x0
	v_mad_i64_i32 v[6:7], null, s6, v18, 0
	v_lshlrev_b64 v[4:5], 3, v[4:5]
	s_lshl_b64 s[16:17], s[16:17], 3
	v_ashrrev_i32_e32 v3, 31, v2
	s_lshl_b64 s[12:13], s[12:13], 3
	v_cmp_gt_i32_e64 s0, s20, v2
	v_add_co_u32 v9, s1, v4, s16
	v_add_co_ci_u32_e64 v10, null, s17, v5, s1
	v_lshlrev_b64 v[4:5], 3, v[6:7]
	v_add_co_u32 v6, s1, v9, v8
	v_lshlrev_b64 v[2:3], 3, v[2:3]
	v_add_co_ci_u32_e64 v7, null, 0, v10, s1
	v_add_co_u32 v4, s1, v4, s12
	v_add_co_ci_u32_e64 v5, null, s13, v5, s1
	s_waitcnt lgkmcnt(0)
	v_add_co_u32 v8, s1, s2, v6
	v_add_co_ci_u32_e64 v9, null, s3, v7, s1
	v_add_co_u32 v10, s1, v4, v2
	v_add_co_ci_u32_e64 v11, null, v5, v3, s1
	v_mov_b32_e32 v2, 0
	v_add_co_u32 v10, s1, s18, v10
	v_mov_b32_e32 v4, 0
	v_mov_b32_e32 v6, 0
	;; [unrolled: 1-line block ×5, first 2 shown]
	v_add_co_ci_u32_e64 v11, null, s19, v11, s1
	s_lshl_b64 s[2:3], s[6:7], 6
	s_branch .LBB332_6
.LBB332_5:                              ;   in Loop: Header=BB332_6 Depth=1
	s_or_b32 exec_lo, exec_lo, s1
	s_waitcnt vmcnt(0) lgkmcnt(0)
	ds_write_b64 v21, v[16:17]
	s_waitcnt lgkmcnt(0)
	s_barrier
	buffer_gl0_inv
	ds_read_b128 v[14:17], v23
	ds_read2_b64 v[24:27], v22 offset1:16
	ds_read_b128 v[28:31], v23 offset:1024
	ds_read_b128 v[32:35], v23 offset:16
	ds_read2_b64 v[36:39], v22 offset0:32 offset1:48
	ds_read_b128 v[40:43], v23 offset:1040
	v_add_co_u32 v8, s1, v8, 64
	v_add_co_ci_u32_e64 v9, null, 0, v9, s1
	v_add_co_u32 v10, s1, v10, s2
	v_add_co_ci_u32_e64 v11, null, s3, v11, s1
	s_add_i32 s9, s9, 8
	s_cmp_lt_i32 s9, s21
	s_waitcnt lgkmcnt(4)
	v_fma_f64 v[12:13], v[24:25], v[14:15], v[12:13]
	v_fma_f64 v[6:7], v[26:27], v[14:15], v[6:7]
	s_waitcnt lgkmcnt(3)
	v_fma_f64 v[14:15], v[24:25], v[28:29], v[4:5]
	v_fma_f64 v[24:25], v[26:27], v[28:29], v[2:3]
	ds_read2_b64 v[2:5], v22 offset0:64 offset1:80
	s_waitcnt lgkmcnt(2)
	v_fma_f64 v[26:27], v[36:37], v[16:17], v[12:13]
	v_fma_f64 v[6:7], v[38:39], v[16:17], v[6:7]
	v_fma_f64 v[16:17], v[36:37], v[30:31], v[14:15]
	v_fma_f64 v[24:25], v[38:39], v[30:31], v[24:25]
	ds_read2_b64 v[12:15], v22 offset0:96 offset1:112
	s_waitcnt lgkmcnt(1)
	v_fma_f64 v[28:29], v[2:3], v[32:33], v[26:27]
	v_fma_f64 v[6:7], v[4:5], v[32:33], v[6:7]
	;; [unrolled: 1-line block ×4, first 2 shown]
	ds_read_b128 v[2:5], v23 offset:32
	ds_read2_b64 v[24:27], v22 offset0:128 offset1:144
	s_waitcnt lgkmcnt(2)
	v_fma_f64 v[40:41], v[12:13], v[34:35], v[28:29]
	v_fma_f64 v[6:7], v[14:15], v[34:35], v[6:7]
	;; [unrolled: 1-line block ×4, first 2 shown]
	ds_read_b128 v[12:15], v23 offset:1056
	ds_read_b128 v[28:31], v23 offset:48
	ds_read2_b64 v[32:35], v22 offset0:160 offset1:176
	ds_read_b128 v[36:39], v23 offset:1072
	s_waitcnt lgkmcnt(4)
	v_fma_f64 v[40:41], v[24:25], v[2:3], v[40:41]
	v_fma_f64 v[2:3], v[26:27], v[2:3], v[6:7]
	s_waitcnt lgkmcnt(3)
	v_fma_f64 v[6:7], v[24:25], v[12:13], v[16:17]
	v_fma_f64 v[12:13], v[26:27], v[12:13], v[42:43]
	ds_read2_b64 v[24:27], v22 offset0:192 offset1:208
	s_waitcnt lgkmcnt(2)
	v_fma_f64 v[40:41], v[32:33], v[4:5], v[40:41]
	v_fma_f64 v[2:3], v[34:35], v[4:5], v[2:3]
	;; [unrolled: 1-line block ×4, first 2 shown]
	ds_read2_b64 v[14:17], v22 offset0:224 offset1:240
	s_waitcnt lgkmcnt(0)
	s_barrier
	buffer_gl0_inv
	v_fma_f64 v[12:13], v[24:25], v[28:29], v[40:41]
	v_fma_f64 v[2:3], v[26:27], v[28:29], v[2:3]
	;; [unrolled: 1-line block ×8, first 2 shown]
	s_cbranch_scc0 .LBB332_10
.LBB332_6:                              ; =>This Inner Loop Header: Depth=1
	v_add_nc_u32_e32 v14, s9, v19
	v_cmp_gt_i32_e64 s1, s21, v14
	v_mov_b32_e32 v14, 0
	v_mov_b32_e32 v15, 0
	s_and_b32 s6, vcc_lo, s1
	s_and_saveexec_b32 s1, s6
	s_cbranch_execz .LBB332_8
; %bb.7:                                ;   in Loop: Header=BB332_6 Depth=1
	flat_load_dwordx2 v[14:15], v[8:9]
.LBB332_8:                              ;   in Loop: Header=BB332_6 Depth=1
	s_or_b32 exec_lo, exec_lo, s1
	v_add_nc_u32_e32 v16, s9, v18
	s_waitcnt vmcnt(0) lgkmcnt(0)
	ds_write_b64 v20, v[14:15]
	v_cmp_gt_i32_e64 s1, s21, v16
	v_mov_b32_e32 v16, 0
	v_mov_b32_e32 v17, 0
	s_and_b32 s6, s1, s0
	s_and_saveexec_b32 s1, s6
	s_cbranch_execz .LBB332_5
; %bb.9:                                ;   in Loop: Header=BB332_6 Depth=1
	flat_load_dwordx2 v[16:17], v[10:11]
	s_branch .LBB332_5
.LBB332_10:
	s_clause 0x1
	s_load_dword s2, s[4:5], 0x50
	s_load_dwordx2 s[4:5], s[4:5], 0x58
	v_add_nc_u32_e32 v15, s26, v1
	v_add_nc_u32_e32 v0, s8, v0
	v_cmp_gt_i32_e64 s0, s20, v15
	v_cmp_le_i32_e32 vcc_lo, v0, v15
	v_ashrrev_i32_e32 v1, 31, v0
	s_waitcnt lgkmcnt(0)
	v_mad_i64_i32 v[8:9], null, v15, s2, 0
	s_lshl_b64 s[4:5], s[4:5], 3
	s_add_u32 s3, s22, s4
	s_addc_u32 s4, s23, s5
	v_cmp_neq_f64_e64 s5, s[10:11], 0
	s_and_b32 s6, s0, vcc_lo
	v_lshlrev_b64 v[8:9], 3, v[8:9]
	v_add_co_u32 v16, s1, s3, v8
	v_add_co_ci_u32_e64 v17, null, s4, v9, s1
	v_cndmask_b32_e64 v14, 0, 1, s5
	s_and_saveexec_b32 s1, s6
	s_cbranch_execz .LBB332_14
; %bb.11:
	v_mul_f64 v[8:9], s[14:15], v[12:13]
	v_lshlrev_b64 v[10:11], 3, v[0:1]
	v_add_co_u32 v10, vcc_lo, v16, v10
	v_add_co_ci_u32_e64 v11, null, v17, v11, vcc_lo
	s_andn2_b32 vcc_lo, exec_lo, s5
	s_cbranch_vccnz .LBB332_13
; %bb.12:
	flat_load_dwordx2 v[12:13], v[10:11]
	s_waitcnt vmcnt(0) lgkmcnt(0)
	v_fma_f64 v[8:9], s[10:11], v[12:13], v[8:9]
.LBB332_13:
	flat_store_dwordx2 v[10:11], v[8:9]
.LBB332_14:
	s_or_b32 exec_lo, exec_lo, s1
	v_add_nc_u32_e32 v8, 16, v0
	v_cmp_le_i32_e32 vcc_lo, v8, v15
	v_ashrrev_i32_e32 v9, 31, v8
	s_and_b32 s0, s0, vcc_lo
	s_and_saveexec_b32 s1, s0
	s_cbranch_execz .LBB332_18
; %bb.15:
	v_mul_f64 v[6:7], s[14:15], v[6:7]
	v_lshlrev_b64 v[10:11], 3, v[8:9]
	v_cmp_ne_u32_e32 vcc_lo, 1, v14
	v_add_co_u32 v10, s0, v16, v10
	v_add_co_ci_u32_e64 v11, null, v17, v11, s0
	s_cbranch_vccnz .LBB332_17
; %bb.16:
	flat_load_dwordx2 v[12:13], v[10:11]
	s_waitcnt vmcnt(0) lgkmcnt(0)
	v_fma_f64 v[6:7], s[10:11], v[12:13], v[6:7]
.LBB332_17:
	flat_store_dwordx2 v[10:11], v[6:7]
.LBB332_18:
	s_or_b32 exec_lo, exec_lo, s1
	v_add_nc_u32_e32 v10, 16, v15
	v_mad_i64_i32 v[6:7], null, v10, s2, 0
	v_cmp_gt_i32_e64 s0, s20, v10
	v_cmp_le_i32_e32 vcc_lo, v0, v10
	v_lshlrev_b64 v[6:7], 3, v[6:7]
	v_add_co_u32 v6, s1, s3, v6
	v_add_co_ci_u32_e64 v7, null, s4, v7, s1
	s_and_b32 s1, s0, vcc_lo
	s_and_saveexec_b32 s2, s1
	s_cbranch_execz .LBB332_22
; %bb.19:
	v_mul_f64 v[4:5], s[14:15], v[4:5]
	v_lshlrev_b64 v[0:1], 3, v[0:1]
	v_cmp_ne_u32_e32 vcc_lo, 1, v14
	v_add_co_u32 v0, s1, v6, v0
	v_add_co_ci_u32_e64 v1, null, v7, v1, s1
	s_cbranch_vccnz .LBB332_21
; %bb.20:
	flat_load_dwordx2 v[11:12], v[0:1]
	s_waitcnt vmcnt(0) lgkmcnt(0)
	v_fma_f64 v[4:5], s[10:11], v[11:12], v[4:5]
.LBB332_21:
	flat_store_dwordx2 v[0:1], v[4:5]
.LBB332_22:
	s_or_b32 exec_lo, exec_lo, s2
	v_cmp_le_i32_e32 vcc_lo, v8, v10
	s_and_b32 s0, s0, vcc_lo
	s_and_saveexec_b32 s1, s0
	s_cbranch_execz .LBB332_26
; %bb.23:
	v_mul_f64 v[0:1], s[14:15], v[2:3]
	v_lshlrev_b64 v[2:3], 3, v[8:9]
	v_cmp_ne_u32_e32 vcc_lo, 1, v14
	v_add_co_u32 v2, s0, v6, v2
	v_add_co_ci_u32_e64 v3, null, v7, v3, s0
	s_cbranch_vccnz .LBB332_25
; %bb.24:
	flat_load_dwordx2 v[4:5], v[2:3]
	s_waitcnt vmcnt(0) lgkmcnt(0)
	v_fma_f64 v[0:1], s[10:11], v[4:5], v[0:1]
.LBB332_25:
	flat_store_dwordx2 v[2:3], v[0:1]
.LBB332_26:
	s_endpgm
	.section	.rodata,"a",@progbits
	.p2align	6, 0x0
	.amdhsa_kernel _ZL29rocblas_internal_gemmt_kernelIiLi16ELi32ELi8ELc67ELc67ELc85ELb0ELb0EdPKdPKS1_PKPdEviT_T9_T10_S7_lS9_S7_lS8_T11_S7_li
		.amdhsa_group_segment_fixed_size 4096
		.amdhsa_private_segment_fixed_size 0
		.amdhsa_kernarg_size 100
		.amdhsa_user_sgpr_count 6
		.amdhsa_user_sgpr_private_segment_buffer 1
		.amdhsa_user_sgpr_dispatch_ptr 0
		.amdhsa_user_sgpr_queue_ptr 0
		.amdhsa_user_sgpr_kernarg_segment_ptr 1
		.amdhsa_user_sgpr_dispatch_id 0
		.amdhsa_user_sgpr_flat_scratch_init 0
		.amdhsa_user_sgpr_private_segment_size 0
		.amdhsa_wavefront_size32 1
		.amdhsa_uses_dynamic_stack 0
		.amdhsa_system_sgpr_private_segment_wavefront_offset 0
		.amdhsa_system_sgpr_workgroup_id_x 1
		.amdhsa_system_sgpr_workgroup_id_y 1
		.amdhsa_system_sgpr_workgroup_id_z 1
		.amdhsa_system_sgpr_workgroup_info 0
		.amdhsa_system_vgpr_workitem_id 1
		.amdhsa_next_free_vgpr 44
		.amdhsa_next_free_sgpr 27
		.amdhsa_reserve_vcc 1
		.amdhsa_reserve_flat_scratch 0
		.amdhsa_float_round_mode_32 0
		.amdhsa_float_round_mode_16_64 0
		.amdhsa_float_denorm_mode_32 3
		.amdhsa_float_denorm_mode_16_64 3
		.amdhsa_dx10_clamp 1
		.amdhsa_ieee_mode 1
		.amdhsa_fp16_overflow 0
		.amdhsa_workgroup_processor_mode 1
		.amdhsa_memory_ordered 1
		.amdhsa_forward_progress 1
		.amdhsa_shared_vgpr_count 0
		.amdhsa_exception_fp_ieee_invalid_op 0
		.amdhsa_exception_fp_denorm_src 0
		.amdhsa_exception_fp_ieee_div_zero 0
		.amdhsa_exception_fp_ieee_overflow 0
		.amdhsa_exception_fp_ieee_underflow 0
		.amdhsa_exception_fp_ieee_inexact 0
		.amdhsa_exception_int_div_zero 0
	.end_amdhsa_kernel
	.section	.text._ZL29rocblas_internal_gemmt_kernelIiLi16ELi32ELi8ELc67ELc67ELc85ELb0ELb0EdPKdPKS1_PKPdEviT_T9_T10_S7_lS9_S7_lS8_T11_S7_li,"axG",@progbits,_ZL29rocblas_internal_gemmt_kernelIiLi16ELi32ELi8ELc67ELc67ELc85ELb0ELb0EdPKdPKS1_PKPdEviT_T9_T10_S7_lS9_S7_lS8_T11_S7_li,comdat
.Lfunc_end332:
	.size	_ZL29rocblas_internal_gemmt_kernelIiLi16ELi32ELi8ELc67ELc67ELc85ELb0ELb0EdPKdPKS1_PKPdEviT_T9_T10_S7_lS9_S7_lS8_T11_S7_li, .Lfunc_end332-_ZL29rocblas_internal_gemmt_kernelIiLi16ELi32ELi8ELc67ELc67ELc85ELb0ELb0EdPKdPKS1_PKPdEviT_T9_T10_S7_lS9_S7_lS8_T11_S7_li
                                        ; -- End function
	.set _ZL29rocblas_internal_gemmt_kernelIiLi16ELi32ELi8ELc67ELc67ELc85ELb0ELb0EdPKdPKS1_PKPdEviT_T9_T10_S7_lS9_S7_lS8_T11_S7_li.num_vgpr, 44
	.set _ZL29rocblas_internal_gemmt_kernelIiLi16ELi32ELi8ELc67ELc67ELc85ELb0ELb0EdPKdPKS1_PKPdEviT_T9_T10_S7_lS9_S7_lS8_T11_S7_li.num_agpr, 0
	.set _ZL29rocblas_internal_gemmt_kernelIiLi16ELi32ELi8ELc67ELc67ELc85ELb0ELb0EdPKdPKS1_PKPdEviT_T9_T10_S7_lS9_S7_lS8_T11_S7_li.numbered_sgpr, 27
	.set _ZL29rocblas_internal_gemmt_kernelIiLi16ELi32ELi8ELc67ELc67ELc85ELb0ELb0EdPKdPKS1_PKPdEviT_T9_T10_S7_lS9_S7_lS8_T11_S7_li.num_named_barrier, 0
	.set _ZL29rocblas_internal_gemmt_kernelIiLi16ELi32ELi8ELc67ELc67ELc85ELb0ELb0EdPKdPKS1_PKPdEviT_T9_T10_S7_lS9_S7_lS8_T11_S7_li.private_seg_size, 0
	.set _ZL29rocblas_internal_gemmt_kernelIiLi16ELi32ELi8ELc67ELc67ELc85ELb0ELb0EdPKdPKS1_PKPdEviT_T9_T10_S7_lS9_S7_lS8_T11_S7_li.uses_vcc, 1
	.set _ZL29rocblas_internal_gemmt_kernelIiLi16ELi32ELi8ELc67ELc67ELc85ELb0ELb0EdPKdPKS1_PKPdEviT_T9_T10_S7_lS9_S7_lS8_T11_S7_li.uses_flat_scratch, 0
	.set _ZL29rocblas_internal_gemmt_kernelIiLi16ELi32ELi8ELc67ELc67ELc85ELb0ELb0EdPKdPKS1_PKPdEviT_T9_T10_S7_lS9_S7_lS8_T11_S7_li.has_dyn_sized_stack, 0
	.set _ZL29rocblas_internal_gemmt_kernelIiLi16ELi32ELi8ELc67ELc67ELc85ELb0ELb0EdPKdPKS1_PKPdEviT_T9_T10_S7_lS9_S7_lS8_T11_S7_li.has_recursion, 0
	.set _ZL29rocblas_internal_gemmt_kernelIiLi16ELi32ELi8ELc67ELc67ELc85ELb0ELb0EdPKdPKS1_PKPdEviT_T9_T10_S7_lS9_S7_lS8_T11_S7_li.has_indirect_call, 0
	.section	.AMDGPU.csdata,"",@progbits
; Kernel info:
; codeLenInByte = 1680
; TotalNumSgprs: 29
; NumVgprs: 44
; ScratchSize: 0
; MemoryBound: 0
; FloatMode: 240
; IeeeMode: 1
; LDSByteSize: 4096 bytes/workgroup (compile time only)
; SGPRBlocks: 0
; VGPRBlocks: 5
; NumSGPRsForWavesPerEU: 29
; NumVGPRsForWavesPerEU: 44
; Occupancy: 16
; WaveLimiterHint : 1
; COMPUTE_PGM_RSRC2:SCRATCH_EN: 0
; COMPUTE_PGM_RSRC2:USER_SGPR: 6
; COMPUTE_PGM_RSRC2:TRAP_HANDLER: 0
; COMPUTE_PGM_RSRC2:TGID_X_EN: 1
; COMPUTE_PGM_RSRC2:TGID_Y_EN: 1
; COMPUTE_PGM_RSRC2:TGID_Z_EN: 1
; COMPUTE_PGM_RSRC2:TIDIG_COMP_CNT: 1
	.section	.text._ZL29rocblas_internal_gemmt_kernelIiLi16ELi32ELi8ELc78ELc78ELc76ELb0ELb0EdPKdPKS1_PKPdEviT_T9_T10_S7_lS9_S7_lS8_T11_S7_li,"axG",@progbits,_ZL29rocblas_internal_gemmt_kernelIiLi16ELi32ELi8ELc78ELc78ELc76ELb0ELb0EdPKdPKS1_PKPdEviT_T9_T10_S7_lS9_S7_lS8_T11_S7_li,comdat
	.globl	_ZL29rocblas_internal_gemmt_kernelIiLi16ELi32ELi8ELc78ELc78ELc76ELb0ELb0EdPKdPKS1_PKPdEviT_T9_T10_S7_lS9_S7_lS8_T11_S7_li ; -- Begin function _ZL29rocblas_internal_gemmt_kernelIiLi16ELi32ELi8ELc78ELc78ELc76ELb0ELb0EdPKdPKS1_PKPdEviT_T9_T10_S7_lS9_S7_lS8_T11_S7_li
	.p2align	8
	.type	_ZL29rocblas_internal_gemmt_kernelIiLi16ELi32ELi8ELc78ELc78ELc76ELb0ELb0EdPKdPKS1_PKPdEviT_T9_T10_S7_lS9_S7_lS8_T11_S7_li,@function
_ZL29rocblas_internal_gemmt_kernelIiLi16ELi32ELi8ELc78ELc78ELc76ELb0ELb0EdPKdPKS1_PKPdEviT_T9_T10_S7_lS9_S7_lS8_T11_S7_li: ; @_ZL29rocblas_internal_gemmt_kernelIiLi16ELi32ELi8ELc78ELc78ELc76ELb0ELb0EdPKdPKS1_PKPdEviT_T9_T10_S7_lS9_S7_lS8_T11_S7_li
; %bb.0:
	s_load_dwordx4 s[12:15], s[4:5], 0x38
	s_waitcnt lgkmcnt(0)
	s_load_dwordx2 s[10:11], s[14:15], 0x0
	s_clause 0x1
	s_load_dwordx4 s[0:3], s[4:5], 0x8
	s_load_dwordx2 s[20:21], s[4:5], 0x0
	s_waitcnt lgkmcnt(0)
	s_load_dwordx2 s[14:15], s[0:1], 0x0
	v_cmp_neq_f64_e64 s9, s[10:11], 1.0
	s_and_b32 vcc_lo, exec_lo, s9
	s_cbranch_vccnz .LBB333_2
; %bb.1:
	s_waitcnt lgkmcnt(0)
	v_cmp_neq_f64_e64 s0, s[14:15], 0
	s_cmp_lg_u32 s21, 0
	s_cselect_b32 s1, -1, 0
	s_and_b32 s9, s1, s0
.LBB333_2:
	s_andn2_b32 vcc_lo, exec_lo, s9
	s_cbranch_vccnz .LBB333_26
; %bb.3:
	s_load_dwordx2 s[0:1], s[4:5], 0x48
	s_mov_b32 s9, 0
	s_waitcnt lgkmcnt(0)
	v_cmp_eq_f64_e64 s16, s[14:15], 0
	s_lshl_b64 s[24:25], s[8:9], 3
	v_mov_b32_e32 v12, 0
	v_mov_b32_e32 v6, 0
	;; [unrolled: 1-line block ×8, first 2 shown]
	s_add_u32 s0, s0, s24
	s_addc_u32 s1, s1, s25
	s_lshl_b32 s8, s6, 5
	s_load_dwordx2 s[22:23], s[0:1], 0x0
	s_lshl_b32 s26, s7, 5
	s_cmp_lt_i32 s21, 1
	s_cselect_b32 s0, -1, 0
	s_or_b32 s0, s16, s0
	s_and_b32 vcc_lo, exec_lo, s0
	s_cbranch_vccnz .LBB333_10
; %bb.4:
	s_clause 0x1
	s_load_dword s6, s[4:5], 0x18
	s_load_dwordx4 s[16:19], s[4:5], 0x20
	v_lshl_add_u32 v2, v1, 4, v0
	v_and_b32_e32 v18, 7, v0
	s_load_dword s1, s[4:5], 0x30
	v_mov_b32_e32 v12, 0
	v_lshlrev_b32_e32 v19, 3, v0
	v_lshrrev_b32_e32 v4, 3, v2
	v_lshlrev_b32_e32 v10, 3, v18
	v_and_b32_e32 v3, 31, v2
	v_lshrrev_b32_e32 v20, 5, v2
	v_lshl_add_u32 v23, v1, 6, 0x800
	v_add_nc_u32_e32 v7, s26, v4
	v_lshl_or_b32 v4, v4, 6, v10
	v_or_b32_e32 v5, s8, v3
	v_lshlrev_b32_e32 v6, 3, v3
	v_add_nc_u32_e32 v2, s8, v3
	v_cmp_gt_i32_e64 s0, s20, v7
	v_add_nc_u32_e32 v22, 0x800, v4
	v_cmp_gt_i32_e32 vcc_lo, s20, v5
	s_waitcnt lgkmcnt(0)
	v_mad_i64_i32 v[3:4], null, v20, s6, 0
	s_ashr_i32 s7, s6, 31
	s_add_u32 s18, s18, s24
	s_addc_u32 s19, s19, s25
	s_add_u32 s2, s2, s24
	s_addc_u32 s3, s3, s25
	s_load_dwordx2 s[18:19], s[18:19], 0x0
	s_load_dwordx2 s[2:3], s[2:3], 0x0
	v_lshl_or_b32 v21, v20, 8, v6
	v_lshlrev_b64 v[4:5], 3, v[3:4]
	v_mad_i64_i32 v[6:7], null, s1, v7, 0
	v_ashrrev_i32_e32 v3, 31, v2
	s_lshl_b64 s[16:17], s[16:17], 3
	s_lshl_b64 s[12:13], s[12:13], 3
	v_add_co_u32 v8, s1, v4, s16
	v_lshlrev_b64 v[2:3], 3, v[2:3]
	v_add_co_ci_u32_e64 v9, null, s17, v5, s1
	v_lshlrev_b64 v[4:5], 3, v[6:7]
	v_mov_b32_e32 v6, 0
	v_mov_b32_e32 v7, 0
	v_add_co_u32 v2, s1, v8, v2
	v_add_co_ci_u32_e64 v3, null, v9, v3, s1
	v_add_co_u32 v4, s1, v4, s12
	v_add_co_ci_u32_e64 v5, null, s13, v5, s1
	s_waitcnt lgkmcnt(0)
	v_add_co_u32 v8, s1, s2, v2
	v_add_co_ci_u32_e64 v9, null, s3, v3, s1
	v_add_co_u32 v10, s1, v4, v10
	v_add_co_ci_u32_e64 v11, null, 0, v5, s1
	v_mov_b32_e32 v2, 0
	v_add_co_u32 v10, s1, s18, v10
	v_mov_b32_e32 v4, 0
	v_mov_b32_e32 v3, 0
	;; [unrolled: 1-line block ×4, first 2 shown]
	v_add_co_ci_u32_e64 v11, null, s19, v11, s1
	s_lshl_b64 s[2:3], s[6:7], 6
	s_branch .LBB333_6
.LBB333_5:                              ;   in Loop: Header=BB333_6 Depth=1
	s_or_b32 exec_lo, exec_lo, s1
	s_waitcnt vmcnt(0) lgkmcnt(0)
	ds_write_b64 v22, v[16:17]
	s_waitcnt lgkmcnt(0)
	s_barrier
	buffer_gl0_inv
	ds_read_b128 v[14:17], v23
	ds_read2_b64 v[24:27], v19 offset1:16
	ds_read_b128 v[28:31], v23 offset:1024
	ds_read_b128 v[32:35], v23 offset:16
	ds_read2_b64 v[36:39], v19 offset0:32 offset1:48
	ds_read_b128 v[40:43], v23 offset:1040
	v_add_co_u32 v8, s1, v8, s2
	v_add_co_ci_u32_e64 v9, null, s3, v9, s1
	v_add_co_u32 v10, s1, v10, 64
	v_add_co_ci_u32_e64 v11, null, 0, v11, s1
	s_add_i32 s9, s9, 8
	s_cmp_lt_i32 s9, s21
	s_waitcnt lgkmcnt(4)
	v_fma_f64 v[12:13], v[24:25], v[14:15], v[12:13]
	v_fma_f64 v[6:7], v[26:27], v[14:15], v[6:7]
	s_waitcnt lgkmcnt(3)
	v_fma_f64 v[14:15], v[24:25], v[28:29], v[4:5]
	v_fma_f64 v[24:25], v[26:27], v[28:29], v[2:3]
	ds_read2_b64 v[2:5], v19 offset0:64 offset1:80
	s_waitcnt lgkmcnt(2)
	v_fma_f64 v[26:27], v[36:37], v[16:17], v[12:13]
	v_fma_f64 v[6:7], v[38:39], v[16:17], v[6:7]
	;; [unrolled: 1-line block ×4, first 2 shown]
	ds_read2_b64 v[12:15], v19 offset0:96 offset1:112
	s_waitcnt lgkmcnt(1)
	v_fma_f64 v[28:29], v[2:3], v[32:33], v[26:27]
	v_fma_f64 v[6:7], v[4:5], v[32:33], v[6:7]
	;; [unrolled: 1-line block ×4, first 2 shown]
	ds_read_b128 v[2:5], v23 offset:32
	ds_read2_b64 v[24:27], v19 offset0:128 offset1:144
	s_waitcnt lgkmcnt(2)
	v_fma_f64 v[40:41], v[12:13], v[34:35], v[28:29]
	v_fma_f64 v[6:7], v[14:15], v[34:35], v[6:7]
	;; [unrolled: 1-line block ×4, first 2 shown]
	ds_read_b128 v[12:15], v23 offset:1056
	ds_read_b128 v[28:31], v23 offset:48
	ds_read2_b64 v[32:35], v19 offset0:160 offset1:176
	ds_read_b128 v[36:39], v23 offset:1072
	s_waitcnt lgkmcnt(4)
	v_fma_f64 v[40:41], v[24:25], v[2:3], v[40:41]
	v_fma_f64 v[2:3], v[26:27], v[2:3], v[6:7]
	s_waitcnt lgkmcnt(3)
	v_fma_f64 v[6:7], v[24:25], v[12:13], v[16:17]
	v_fma_f64 v[12:13], v[26:27], v[12:13], v[42:43]
	ds_read2_b64 v[24:27], v19 offset0:192 offset1:208
	s_waitcnt lgkmcnt(2)
	v_fma_f64 v[40:41], v[32:33], v[4:5], v[40:41]
	v_fma_f64 v[2:3], v[34:35], v[4:5], v[2:3]
	;; [unrolled: 1-line block ×4, first 2 shown]
	ds_read2_b64 v[14:17], v19 offset0:224 offset1:240
	s_waitcnt lgkmcnt(0)
	s_barrier
	buffer_gl0_inv
	v_fma_f64 v[12:13], v[24:25], v[28:29], v[40:41]
	v_fma_f64 v[2:3], v[26:27], v[28:29], v[2:3]
	v_fma_f64 v[4:5], v[24:25], v[36:37], v[4:5]
	v_fma_f64 v[24:25], v[26:27], v[36:37], v[6:7]
	v_fma_f64 v[12:13], v[14:15], v[30:31], v[12:13]
	v_fma_f64 v[6:7], v[16:17], v[30:31], v[2:3]
	v_fma_f64 v[4:5], v[14:15], v[38:39], v[4:5]
	v_fma_f64 v[2:3], v[16:17], v[38:39], v[24:25]
	s_cbranch_scc0 .LBB333_10
.LBB333_6:                              ; =>This Inner Loop Header: Depth=1
	v_add_nc_u32_e32 v14, s9, v20
	v_cmp_gt_i32_e64 s1, s21, v14
	v_mov_b32_e32 v14, 0
	v_mov_b32_e32 v15, 0
	s_and_b32 s6, vcc_lo, s1
	s_and_saveexec_b32 s1, s6
	s_cbranch_execz .LBB333_8
; %bb.7:                                ;   in Loop: Header=BB333_6 Depth=1
	flat_load_dwordx2 v[14:15], v[8:9]
.LBB333_8:                              ;   in Loop: Header=BB333_6 Depth=1
	s_or_b32 exec_lo, exec_lo, s1
	v_add_nc_u32_e32 v16, s9, v18
	s_waitcnt vmcnt(0) lgkmcnt(0)
	ds_write_b64 v21, v[14:15]
	v_cmp_gt_i32_e64 s1, s21, v16
	v_mov_b32_e32 v16, 0
	v_mov_b32_e32 v17, 0
	s_and_b32 s6, s1, s0
	s_and_saveexec_b32 s1, s6
	s_cbranch_execz .LBB333_5
; %bb.9:                                ;   in Loop: Header=BB333_6 Depth=1
	flat_load_dwordx2 v[16:17], v[10:11]
	s_branch .LBB333_5
.LBB333_10:
	s_clause 0x1
	s_load_dword s3, s[4:5], 0x50
	s_load_dwordx2 s[4:5], s[4:5], 0x58
	v_cmp_neq_f64_e64 s2, s[10:11], 0
	v_add_nc_u32_e32 v15, s26, v1
	v_add_nc_u32_e32 v0, s8, v0
	v_cmp_le_i32_e32 vcc_lo, v15, v0
	v_cmp_gt_i32_e64 s0, s20, v0
	v_ashrrev_i32_e32 v1, 31, v0
	s_waitcnt lgkmcnt(0)
	v_mad_i64_i32 v[8:9], null, v15, s3, 0
	s_lshl_b64 s[4:5], s[4:5], 3
	s_add_u32 s4, s22, s4
	s_addc_u32 s5, s23, s5
	v_cndmask_b32_e64 v14, 0, 1, s2
	s_and_b32 s6, vcc_lo, s0
	v_lshlrev_b64 v[8:9], 3, v[8:9]
	v_add_co_u32 v16, s1, s4, v8
	v_add_co_ci_u32_e64 v17, null, s5, v9, s1
	s_and_saveexec_b32 s1, s6
	s_cbranch_execz .LBB333_14
; %bb.11:
	v_mul_f64 v[8:9], s[14:15], v[12:13]
	v_lshlrev_b64 v[10:11], 3, v[0:1]
	v_add_co_u32 v10, vcc_lo, v16, v10
	v_add_co_ci_u32_e64 v11, null, v17, v11, vcc_lo
	s_andn2_b32 vcc_lo, exec_lo, s2
	s_cbranch_vccnz .LBB333_13
; %bb.12:
	flat_load_dwordx2 v[12:13], v[10:11]
	s_waitcnt vmcnt(0) lgkmcnt(0)
	v_fma_f64 v[8:9], s[10:11], v[12:13], v[8:9]
.LBB333_13:
	flat_store_dwordx2 v[10:11], v[8:9]
.LBB333_14:
	s_or_b32 exec_lo, exec_lo, s1
	v_add_nc_u32_e32 v8, 16, v0
	v_cmp_le_i32_e32 vcc_lo, v15, v8
	v_cmp_gt_i32_e64 s1, s20, v8
	v_ashrrev_i32_e32 v9, 31, v8
	s_and_b32 s2, vcc_lo, s1
	s_and_saveexec_b32 s6, s2
	s_cbranch_execz .LBB333_18
; %bb.15:
	v_mul_f64 v[6:7], s[14:15], v[6:7]
	v_lshlrev_b64 v[10:11], 3, v[8:9]
	v_cmp_ne_u32_e32 vcc_lo, 1, v14
	v_add_co_u32 v10, s2, v16, v10
	v_add_co_ci_u32_e64 v11, null, v17, v11, s2
	s_cbranch_vccnz .LBB333_17
; %bb.16:
	flat_load_dwordx2 v[12:13], v[10:11]
	s_waitcnt vmcnt(0) lgkmcnt(0)
	v_fma_f64 v[6:7], s[10:11], v[12:13], v[6:7]
.LBB333_17:
	flat_store_dwordx2 v[10:11], v[6:7]
.LBB333_18:
	s_or_b32 exec_lo, exec_lo, s6
	v_add_nc_u32_e32 v10, 16, v15
	v_mad_i64_i32 v[6:7], null, v10, s3, 0
	v_cmp_le_i32_e32 vcc_lo, v10, v0
	s_and_b32 s0, vcc_lo, s0
	v_lshlrev_b64 v[6:7], 3, v[6:7]
	v_add_co_u32 v6, s2, s4, v6
	v_add_co_ci_u32_e64 v7, null, s5, v7, s2
	s_and_saveexec_b32 s2, s0
	s_cbranch_execz .LBB333_22
; %bb.19:
	v_mul_f64 v[4:5], s[14:15], v[4:5]
	v_lshlrev_b64 v[0:1], 3, v[0:1]
	v_cmp_ne_u32_e32 vcc_lo, 1, v14
	v_add_co_u32 v0, s0, v6, v0
	v_add_co_ci_u32_e64 v1, null, v7, v1, s0
	s_cbranch_vccnz .LBB333_21
; %bb.20:
	flat_load_dwordx2 v[11:12], v[0:1]
	s_waitcnt vmcnt(0) lgkmcnt(0)
	v_fma_f64 v[4:5], s[10:11], v[11:12], v[4:5]
.LBB333_21:
	flat_store_dwordx2 v[0:1], v[4:5]
.LBB333_22:
	s_or_b32 exec_lo, exec_lo, s2
	v_cmp_le_i32_e32 vcc_lo, v10, v8
	s_and_b32 s0, vcc_lo, s1
	s_and_saveexec_b32 s1, s0
	s_cbranch_execz .LBB333_26
; %bb.23:
	v_mul_f64 v[0:1], s[14:15], v[2:3]
	v_lshlrev_b64 v[2:3], 3, v[8:9]
	v_cmp_ne_u32_e32 vcc_lo, 1, v14
	v_add_co_u32 v2, s0, v6, v2
	v_add_co_ci_u32_e64 v3, null, v7, v3, s0
	s_cbranch_vccnz .LBB333_25
; %bb.24:
	flat_load_dwordx2 v[4:5], v[2:3]
	s_waitcnt vmcnt(0) lgkmcnt(0)
	v_fma_f64 v[0:1], s[10:11], v[4:5], v[0:1]
.LBB333_25:
	flat_store_dwordx2 v[2:3], v[0:1]
.LBB333_26:
	s_endpgm
	.section	.rodata,"a",@progbits
	.p2align	6, 0x0
	.amdhsa_kernel _ZL29rocblas_internal_gemmt_kernelIiLi16ELi32ELi8ELc78ELc78ELc76ELb0ELb0EdPKdPKS1_PKPdEviT_T9_T10_S7_lS9_S7_lS8_T11_S7_li
		.amdhsa_group_segment_fixed_size 4096
		.amdhsa_private_segment_fixed_size 0
		.amdhsa_kernarg_size 100
		.amdhsa_user_sgpr_count 6
		.amdhsa_user_sgpr_private_segment_buffer 1
		.amdhsa_user_sgpr_dispatch_ptr 0
		.amdhsa_user_sgpr_queue_ptr 0
		.amdhsa_user_sgpr_kernarg_segment_ptr 1
		.amdhsa_user_sgpr_dispatch_id 0
		.amdhsa_user_sgpr_flat_scratch_init 0
		.amdhsa_user_sgpr_private_segment_size 0
		.amdhsa_wavefront_size32 1
		.amdhsa_uses_dynamic_stack 0
		.amdhsa_system_sgpr_private_segment_wavefront_offset 0
		.amdhsa_system_sgpr_workgroup_id_x 1
		.amdhsa_system_sgpr_workgroup_id_y 1
		.amdhsa_system_sgpr_workgroup_id_z 1
		.amdhsa_system_sgpr_workgroup_info 0
		.amdhsa_system_vgpr_workitem_id 1
		.amdhsa_next_free_vgpr 44
		.amdhsa_next_free_sgpr 27
		.amdhsa_reserve_vcc 1
		.amdhsa_reserve_flat_scratch 0
		.amdhsa_float_round_mode_32 0
		.amdhsa_float_round_mode_16_64 0
		.amdhsa_float_denorm_mode_32 3
		.amdhsa_float_denorm_mode_16_64 3
		.amdhsa_dx10_clamp 1
		.amdhsa_ieee_mode 1
		.amdhsa_fp16_overflow 0
		.amdhsa_workgroup_processor_mode 1
		.amdhsa_memory_ordered 1
		.amdhsa_forward_progress 1
		.amdhsa_shared_vgpr_count 0
		.amdhsa_exception_fp_ieee_invalid_op 0
		.amdhsa_exception_fp_denorm_src 0
		.amdhsa_exception_fp_ieee_div_zero 0
		.amdhsa_exception_fp_ieee_overflow 0
		.amdhsa_exception_fp_ieee_underflow 0
		.amdhsa_exception_fp_ieee_inexact 0
		.amdhsa_exception_int_div_zero 0
	.end_amdhsa_kernel
	.section	.text._ZL29rocblas_internal_gemmt_kernelIiLi16ELi32ELi8ELc78ELc78ELc76ELb0ELb0EdPKdPKS1_PKPdEviT_T9_T10_S7_lS9_S7_lS8_T11_S7_li,"axG",@progbits,_ZL29rocblas_internal_gemmt_kernelIiLi16ELi32ELi8ELc78ELc78ELc76ELb0ELb0EdPKdPKS1_PKPdEviT_T9_T10_S7_lS9_S7_lS8_T11_S7_li,comdat
.Lfunc_end333:
	.size	_ZL29rocblas_internal_gemmt_kernelIiLi16ELi32ELi8ELc78ELc78ELc76ELb0ELb0EdPKdPKS1_PKPdEviT_T9_T10_S7_lS9_S7_lS8_T11_S7_li, .Lfunc_end333-_ZL29rocblas_internal_gemmt_kernelIiLi16ELi32ELi8ELc78ELc78ELc76ELb0ELb0EdPKdPKS1_PKPdEviT_T9_T10_S7_lS9_S7_lS8_T11_S7_li
                                        ; -- End function
	.set _ZL29rocblas_internal_gemmt_kernelIiLi16ELi32ELi8ELc78ELc78ELc76ELb0ELb0EdPKdPKS1_PKPdEviT_T9_T10_S7_lS9_S7_lS8_T11_S7_li.num_vgpr, 44
	.set _ZL29rocblas_internal_gemmt_kernelIiLi16ELi32ELi8ELc78ELc78ELc76ELb0ELb0EdPKdPKS1_PKPdEviT_T9_T10_S7_lS9_S7_lS8_T11_S7_li.num_agpr, 0
	.set _ZL29rocblas_internal_gemmt_kernelIiLi16ELi32ELi8ELc78ELc78ELc76ELb0ELb0EdPKdPKS1_PKPdEviT_T9_T10_S7_lS9_S7_lS8_T11_S7_li.numbered_sgpr, 27
	.set _ZL29rocblas_internal_gemmt_kernelIiLi16ELi32ELi8ELc78ELc78ELc76ELb0ELb0EdPKdPKS1_PKPdEviT_T9_T10_S7_lS9_S7_lS8_T11_S7_li.num_named_barrier, 0
	.set _ZL29rocblas_internal_gemmt_kernelIiLi16ELi32ELi8ELc78ELc78ELc76ELb0ELb0EdPKdPKS1_PKPdEviT_T9_T10_S7_lS9_S7_lS8_T11_S7_li.private_seg_size, 0
	.set _ZL29rocblas_internal_gemmt_kernelIiLi16ELi32ELi8ELc78ELc78ELc76ELb0ELb0EdPKdPKS1_PKPdEviT_T9_T10_S7_lS9_S7_lS8_T11_S7_li.uses_vcc, 1
	.set _ZL29rocblas_internal_gemmt_kernelIiLi16ELi32ELi8ELc78ELc78ELc76ELb0ELb0EdPKdPKS1_PKPdEviT_T9_T10_S7_lS9_S7_lS8_T11_S7_li.uses_flat_scratch, 0
	.set _ZL29rocblas_internal_gemmt_kernelIiLi16ELi32ELi8ELc78ELc78ELc76ELb0ELb0EdPKdPKS1_PKPdEviT_T9_T10_S7_lS9_S7_lS8_T11_S7_li.has_dyn_sized_stack, 0
	.set _ZL29rocblas_internal_gemmt_kernelIiLi16ELi32ELi8ELc78ELc78ELc76ELb0ELb0EdPKdPKS1_PKPdEviT_T9_T10_S7_lS9_S7_lS8_T11_S7_li.has_recursion, 0
	.set _ZL29rocblas_internal_gemmt_kernelIiLi16ELi32ELi8ELc78ELc78ELc76ELb0ELb0EdPKdPKS1_PKPdEviT_T9_T10_S7_lS9_S7_lS8_T11_S7_li.has_indirect_call, 0
	.section	.AMDGPU.csdata,"",@progbits
; Kernel info:
; codeLenInByte = 1676
; TotalNumSgprs: 29
; NumVgprs: 44
; ScratchSize: 0
; MemoryBound: 0
; FloatMode: 240
; IeeeMode: 1
; LDSByteSize: 4096 bytes/workgroup (compile time only)
; SGPRBlocks: 0
; VGPRBlocks: 5
; NumSGPRsForWavesPerEU: 29
; NumVGPRsForWavesPerEU: 44
; Occupancy: 16
; WaveLimiterHint : 1
; COMPUTE_PGM_RSRC2:SCRATCH_EN: 0
; COMPUTE_PGM_RSRC2:USER_SGPR: 6
; COMPUTE_PGM_RSRC2:TRAP_HANDLER: 0
; COMPUTE_PGM_RSRC2:TGID_X_EN: 1
; COMPUTE_PGM_RSRC2:TGID_Y_EN: 1
; COMPUTE_PGM_RSRC2:TGID_Z_EN: 1
; COMPUTE_PGM_RSRC2:TIDIG_COMP_CNT: 1
	.section	.text._ZL29rocblas_internal_gemmt_kernelIiLi16ELi32ELi8ELc78ELc84ELc76ELb0ELb0EdPKdPKS1_PKPdEviT_T9_T10_S7_lS9_S7_lS8_T11_S7_li,"axG",@progbits,_ZL29rocblas_internal_gemmt_kernelIiLi16ELi32ELi8ELc78ELc84ELc76ELb0ELb0EdPKdPKS1_PKPdEviT_T9_T10_S7_lS9_S7_lS8_T11_S7_li,comdat
	.globl	_ZL29rocblas_internal_gemmt_kernelIiLi16ELi32ELi8ELc78ELc84ELc76ELb0ELb0EdPKdPKS1_PKPdEviT_T9_T10_S7_lS9_S7_lS8_T11_S7_li ; -- Begin function _ZL29rocblas_internal_gemmt_kernelIiLi16ELi32ELi8ELc78ELc84ELc76ELb0ELb0EdPKdPKS1_PKPdEviT_T9_T10_S7_lS9_S7_lS8_T11_S7_li
	.p2align	8
	.type	_ZL29rocblas_internal_gemmt_kernelIiLi16ELi32ELi8ELc78ELc84ELc76ELb0ELb0EdPKdPKS1_PKPdEviT_T9_T10_S7_lS9_S7_lS8_T11_S7_li,@function
_ZL29rocblas_internal_gemmt_kernelIiLi16ELi32ELi8ELc78ELc84ELc76ELb0ELb0EdPKdPKS1_PKPdEviT_T9_T10_S7_lS9_S7_lS8_T11_S7_li: ; @_ZL29rocblas_internal_gemmt_kernelIiLi16ELi32ELi8ELc78ELc84ELc76ELb0ELb0EdPKdPKS1_PKPdEviT_T9_T10_S7_lS9_S7_lS8_T11_S7_li
; %bb.0:
	s_load_dwordx4 s[12:15], s[4:5], 0x38
	s_waitcnt lgkmcnt(0)
	s_load_dwordx2 s[10:11], s[14:15], 0x0
	s_clause 0x1
	s_load_dwordx4 s[0:3], s[4:5], 0x8
	s_load_dwordx2 s[20:21], s[4:5], 0x0
	s_waitcnt lgkmcnt(0)
	s_load_dwordx2 s[14:15], s[0:1], 0x0
	v_cmp_neq_f64_e64 s9, s[10:11], 1.0
	s_and_b32 vcc_lo, exec_lo, s9
	s_cbranch_vccnz .LBB334_2
; %bb.1:
	s_waitcnt lgkmcnt(0)
	v_cmp_neq_f64_e64 s0, s[14:15], 0
	s_cmp_lg_u32 s21, 0
	s_cselect_b32 s1, -1, 0
	s_and_b32 s9, s1, s0
.LBB334_2:
	s_andn2_b32 vcc_lo, exec_lo, s9
	s_cbranch_vccnz .LBB334_26
; %bb.3:
	s_load_dwordx2 s[0:1], s[4:5], 0x48
	s_mov_b32 s9, 0
	s_waitcnt lgkmcnt(0)
	v_cmp_eq_f64_e64 s16, s[14:15], 0
	s_lshl_b64 s[26:27], s[8:9], 3
	v_mov_b32_e32 v12, 0
	v_mov_b32_e32 v6, 0
	;; [unrolled: 1-line block ×8, first 2 shown]
	s_add_u32 s0, s0, s26
	s_addc_u32 s1, s1, s27
	s_lshl_b32 s8, s6, 5
	s_load_dwordx2 s[22:23], s[0:1], 0x0
	s_lshl_b32 s28, s7, 5
	s_cmp_lt_i32 s21, 1
	s_cselect_b32 s0, -1, 0
	s_or_b32 s0, s16, s0
	s_and_b32 vcc_lo, exec_lo, s0
	s_cbranch_vccnz .LBB334_10
; %bb.4:
	s_clause 0x2
	s_load_dword s6, s[4:5], 0x18
	s_load_dword s24, s[4:5], 0x30
	s_load_dwordx4 s[16:19], s[4:5], 0x20
	v_lshl_add_u32 v2, v1, 4, v0
	v_and_b32_e32 v18, 7, v0
	v_mov_b32_e32 v12, 0
	v_lshlrev_b32_e32 v22, 3, v0
	v_lshl_add_u32 v23, v1, 6, 0x800
	v_and_b32_e32 v3, 31, v2
	v_lshrrev_b32_e32 v4, 3, v2
	v_lshlrev_b32_e32 v5, 3, v18
	v_lshrrev_b32_e32 v19, 5, v2
	v_mov_b32_e32 v13, 0
	v_or_b32_e32 v6, s8, v3
	v_lshlrev_b32_e32 v7, 3, v3
	v_lshl_or_b32 v8, v4, 6, v5
	v_add_nc_u32_e32 v2, s28, v4
	v_add_nc_u32_e32 v4, s8, v3
	v_cmp_gt_i32_e32 vcc_lo, s20, v6
	v_lshl_or_b32 v20, v19, 8, v7
	s_waitcnt lgkmcnt(0)
	s_ashr_i32 s7, s6, 31
	s_ashr_i32 s25, s24, 31
	v_mad_i64_i32 v[5:6], null, v19, s6, 0
	s_add_u32 s18, s18, s26
	s_addc_u32 s19, s19, s27
	s_add_u32 s2, s2, s26
	s_addc_u32 s3, s3, s27
	s_load_dwordx2 s[18:19], s[18:19], 0x0
	s_load_dwordx2 s[2:3], s[2:3], 0x0
	v_add_nc_u32_e32 v21, 0x800, v8
	v_lshlrev_b64 v[6:7], 3, v[5:6]
	v_mad_i64_i32 v[8:9], null, s24, v18, 0
	v_ashrrev_i32_e32 v5, 31, v4
	s_lshl_b64 s[16:17], s[16:17], 3
	v_ashrrev_i32_e32 v3, 31, v2
	v_add_co_u32 v10, s1, v6, s16
	v_lshlrev_b64 v[4:5], 3, v[4:5]
	v_add_co_ci_u32_e64 v11, null, s17, v7, s1
	v_lshlrev_b64 v[6:7], 3, v[8:9]
	s_lshl_b64 s[12:13], s[12:13], 3
	v_cmp_gt_i32_e64 s0, s20, v2
	v_add_co_u32 v4, s1, v10, v4
	v_lshlrev_b64 v[2:3], 3, v[2:3]
	v_add_co_ci_u32_e64 v5, null, v11, v5, s1
	v_add_co_u32 v6, s1, v6, s12
	v_add_co_ci_u32_e64 v7, null, s13, v7, s1
	s_waitcnt lgkmcnt(0)
	v_add_co_u32 v8, s1, s2, v4
	v_add_co_ci_u32_e64 v9, null, s3, v5, s1
	v_add_co_u32 v10, s1, v6, v2
	v_add_co_ci_u32_e64 v11, null, v7, v3, s1
	v_mov_b32_e32 v2, 0
	v_add_co_u32 v10, s1, s18, v10
	v_mov_b32_e32 v4, 0
	v_mov_b32_e32 v6, 0
	;; [unrolled: 1-line block ×5, first 2 shown]
	v_add_co_ci_u32_e64 v11, null, s19, v11, s1
	s_lshl_b64 s[2:3], s[6:7], 6
	s_lshl_b64 s[6:7], s[24:25], 6
	s_branch .LBB334_6
.LBB334_5:                              ;   in Loop: Header=BB334_6 Depth=1
	s_or_b32 exec_lo, exec_lo, s1
	s_waitcnt vmcnt(0) lgkmcnt(0)
	ds_write_b64 v21, v[16:17]
	s_waitcnt lgkmcnt(0)
	s_barrier
	buffer_gl0_inv
	ds_read_b128 v[14:17], v23
	ds_read2_b64 v[24:27], v22 offset1:16
	ds_read_b128 v[28:31], v23 offset:1024
	ds_read_b128 v[32:35], v23 offset:16
	ds_read2_b64 v[36:39], v22 offset0:32 offset1:48
	ds_read_b128 v[40:43], v23 offset:1040
	v_add_co_u32 v8, s1, v8, s2
	v_add_co_ci_u32_e64 v9, null, s3, v9, s1
	v_add_co_u32 v10, s1, v10, s6
	v_add_co_ci_u32_e64 v11, null, s7, v11, s1
	s_add_i32 s9, s9, 8
	s_cmp_lt_i32 s9, s21
	s_waitcnt lgkmcnt(4)
	v_fma_f64 v[12:13], v[24:25], v[14:15], v[12:13]
	v_fma_f64 v[6:7], v[26:27], v[14:15], v[6:7]
	s_waitcnt lgkmcnt(3)
	v_fma_f64 v[14:15], v[24:25], v[28:29], v[4:5]
	v_fma_f64 v[24:25], v[26:27], v[28:29], v[2:3]
	ds_read2_b64 v[2:5], v22 offset0:64 offset1:80
	s_waitcnt lgkmcnt(2)
	v_fma_f64 v[26:27], v[36:37], v[16:17], v[12:13]
	v_fma_f64 v[6:7], v[38:39], v[16:17], v[6:7]
	;; [unrolled: 1-line block ×4, first 2 shown]
	ds_read2_b64 v[12:15], v22 offset0:96 offset1:112
	s_waitcnt lgkmcnt(1)
	v_fma_f64 v[28:29], v[2:3], v[32:33], v[26:27]
	v_fma_f64 v[6:7], v[4:5], v[32:33], v[6:7]
	;; [unrolled: 1-line block ×4, first 2 shown]
	ds_read_b128 v[2:5], v23 offset:32
	ds_read2_b64 v[24:27], v22 offset0:128 offset1:144
	s_waitcnt lgkmcnt(2)
	v_fma_f64 v[40:41], v[12:13], v[34:35], v[28:29]
	v_fma_f64 v[6:7], v[14:15], v[34:35], v[6:7]
	;; [unrolled: 1-line block ×4, first 2 shown]
	ds_read_b128 v[12:15], v23 offset:1056
	ds_read_b128 v[28:31], v23 offset:48
	ds_read2_b64 v[32:35], v22 offset0:160 offset1:176
	ds_read_b128 v[36:39], v23 offset:1072
	s_waitcnt lgkmcnt(4)
	v_fma_f64 v[40:41], v[24:25], v[2:3], v[40:41]
	v_fma_f64 v[2:3], v[26:27], v[2:3], v[6:7]
	s_waitcnt lgkmcnt(3)
	v_fma_f64 v[6:7], v[24:25], v[12:13], v[16:17]
	v_fma_f64 v[12:13], v[26:27], v[12:13], v[42:43]
	ds_read2_b64 v[24:27], v22 offset0:192 offset1:208
	s_waitcnt lgkmcnt(2)
	v_fma_f64 v[40:41], v[32:33], v[4:5], v[40:41]
	v_fma_f64 v[2:3], v[34:35], v[4:5], v[2:3]
	;; [unrolled: 1-line block ×4, first 2 shown]
	ds_read2_b64 v[14:17], v22 offset0:224 offset1:240
	s_waitcnt lgkmcnt(0)
	s_barrier
	buffer_gl0_inv
	v_fma_f64 v[12:13], v[24:25], v[28:29], v[40:41]
	v_fma_f64 v[2:3], v[26:27], v[28:29], v[2:3]
	;; [unrolled: 1-line block ×8, first 2 shown]
	s_cbranch_scc0 .LBB334_10
.LBB334_6:                              ; =>This Inner Loop Header: Depth=1
	v_add_nc_u32_e32 v14, s9, v19
	v_cmp_gt_i32_e64 s1, s21, v14
	v_mov_b32_e32 v14, 0
	v_mov_b32_e32 v15, 0
	s_and_b32 s12, vcc_lo, s1
	s_and_saveexec_b32 s1, s12
	s_cbranch_execz .LBB334_8
; %bb.7:                                ;   in Loop: Header=BB334_6 Depth=1
	flat_load_dwordx2 v[14:15], v[8:9]
.LBB334_8:                              ;   in Loop: Header=BB334_6 Depth=1
	s_or_b32 exec_lo, exec_lo, s1
	v_add_nc_u32_e32 v16, s9, v18
	s_waitcnt vmcnt(0) lgkmcnt(0)
	ds_write_b64 v20, v[14:15]
	v_cmp_gt_i32_e64 s1, s21, v16
	v_mov_b32_e32 v16, 0
	v_mov_b32_e32 v17, 0
	s_and_b32 s12, s1, s0
	s_and_saveexec_b32 s1, s12
	s_cbranch_execz .LBB334_5
; %bb.9:                                ;   in Loop: Header=BB334_6 Depth=1
	flat_load_dwordx2 v[16:17], v[10:11]
	s_branch .LBB334_5
.LBB334_10:
	s_clause 0x1
	s_load_dword s3, s[4:5], 0x50
	s_load_dwordx2 s[4:5], s[4:5], 0x58
	v_cmp_neq_f64_e64 s2, s[10:11], 0
	v_add_nc_u32_e32 v15, s28, v1
	v_add_nc_u32_e32 v0, s8, v0
	v_cmp_le_i32_e32 vcc_lo, v15, v0
	v_cmp_gt_i32_e64 s0, s20, v0
	v_ashrrev_i32_e32 v1, 31, v0
	s_waitcnt lgkmcnt(0)
	v_mad_i64_i32 v[8:9], null, v15, s3, 0
	s_lshl_b64 s[4:5], s[4:5], 3
	s_add_u32 s4, s22, s4
	s_addc_u32 s5, s23, s5
	v_cndmask_b32_e64 v14, 0, 1, s2
	s_and_b32 s6, vcc_lo, s0
	v_lshlrev_b64 v[8:9], 3, v[8:9]
	v_add_co_u32 v16, s1, s4, v8
	v_add_co_ci_u32_e64 v17, null, s5, v9, s1
	s_and_saveexec_b32 s1, s6
	s_cbranch_execz .LBB334_14
; %bb.11:
	v_mul_f64 v[8:9], s[14:15], v[12:13]
	v_lshlrev_b64 v[10:11], 3, v[0:1]
	v_add_co_u32 v10, vcc_lo, v16, v10
	v_add_co_ci_u32_e64 v11, null, v17, v11, vcc_lo
	s_andn2_b32 vcc_lo, exec_lo, s2
	s_cbranch_vccnz .LBB334_13
; %bb.12:
	flat_load_dwordx2 v[12:13], v[10:11]
	s_waitcnt vmcnt(0) lgkmcnt(0)
	v_fma_f64 v[8:9], s[10:11], v[12:13], v[8:9]
.LBB334_13:
	flat_store_dwordx2 v[10:11], v[8:9]
.LBB334_14:
	s_or_b32 exec_lo, exec_lo, s1
	v_add_nc_u32_e32 v8, 16, v0
	v_cmp_le_i32_e32 vcc_lo, v15, v8
	v_cmp_gt_i32_e64 s1, s20, v8
	v_ashrrev_i32_e32 v9, 31, v8
	s_and_b32 s2, vcc_lo, s1
	s_and_saveexec_b32 s6, s2
	s_cbranch_execz .LBB334_18
; %bb.15:
	v_mul_f64 v[6:7], s[14:15], v[6:7]
	v_lshlrev_b64 v[10:11], 3, v[8:9]
	v_cmp_ne_u32_e32 vcc_lo, 1, v14
	v_add_co_u32 v10, s2, v16, v10
	v_add_co_ci_u32_e64 v11, null, v17, v11, s2
	s_cbranch_vccnz .LBB334_17
; %bb.16:
	flat_load_dwordx2 v[12:13], v[10:11]
	s_waitcnt vmcnt(0) lgkmcnt(0)
	v_fma_f64 v[6:7], s[10:11], v[12:13], v[6:7]
.LBB334_17:
	flat_store_dwordx2 v[10:11], v[6:7]
.LBB334_18:
	s_or_b32 exec_lo, exec_lo, s6
	v_add_nc_u32_e32 v10, 16, v15
	v_mad_i64_i32 v[6:7], null, v10, s3, 0
	v_cmp_le_i32_e32 vcc_lo, v10, v0
	s_and_b32 s0, vcc_lo, s0
	v_lshlrev_b64 v[6:7], 3, v[6:7]
	v_add_co_u32 v6, s2, s4, v6
	v_add_co_ci_u32_e64 v7, null, s5, v7, s2
	s_and_saveexec_b32 s2, s0
	s_cbranch_execz .LBB334_22
; %bb.19:
	v_mul_f64 v[4:5], s[14:15], v[4:5]
	v_lshlrev_b64 v[0:1], 3, v[0:1]
	v_cmp_ne_u32_e32 vcc_lo, 1, v14
	v_add_co_u32 v0, s0, v6, v0
	v_add_co_ci_u32_e64 v1, null, v7, v1, s0
	s_cbranch_vccnz .LBB334_21
; %bb.20:
	flat_load_dwordx2 v[11:12], v[0:1]
	s_waitcnt vmcnt(0) lgkmcnt(0)
	v_fma_f64 v[4:5], s[10:11], v[11:12], v[4:5]
.LBB334_21:
	flat_store_dwordx2 v[0:1], v[4:5]
.LBB334_22:
	s_or_b32 exec_lo, exec_lo, s2
	v_cmp_le_i32_e32 vcc_lo, v10, v8
	s_and_b32 s0, vcc_lo, s1
	s_and_saveexec_b32 s1, s0
	s_cbranch_execz .LBB334_26
; %bb.23:
	v_mul_f64 v[0:1], s[14:15], v[2:3]
	v_lshlrev_b64 v[2:3], 3, v[8:9]
	v_cmp_ne_u32_e32 vcc_lo, 1, v14
	v_add_co_u32 v2, s0, v6, v2
	v_add_co_ci_u32_e64 v3, null, v7, v3, s0
	s_cbranch_vccnz .LBB334_25
; %bb.24:
	flat_load_dwordx2 v[4:5], v[2:3]
	s_waitcnt vmcnt(0) lgkmcnt(0)
	v_fma_f64 v[0:1], s[10:11], v[4:5], v[0:1]
.LBB334_25:
	flat_store_dwordx2 v[2:3], v[0:1]
.LBB334_26:
	s_endpgm
	.section	.rodata,"a",@progbits
	.p2align	6, 0x0
	.amdhsa_kernel _ZL29rocblas_internal_gemmt_kernelIiLi16ELi32ELi8ELc78ELc84ELc76ELb0ELb0EdPKdPKS1_PKPdEviT_T9_T10_S7_lS9_S7_lS8_T11_S7_li
		.amdhsa_group_segment_fixed_size 4096
		.amdhsa_private_segment_fixed_size 0
		.amdhsa_kernarg_size 100
		.amdhsa_user_sgpr_count 6
		.amdhsa_user_sgpr_private_segment_buffer 1
		.amdhsa_user_sgpr_dispatch_ptr 0
		.amdhsa_user_sgpr_queue_ptr 0
		.amdhsa_user_sgpr_kernarg_segment_ptr 1
		.amdhsa_user_sgpr_dispatch_id 0
		.amdhsa_user_sgpr_flat_scratch_init 0
		.amdhsa_user_sgpr_private_segment_size 0
		.amdhsa_wavefront_size32 1
		.amdhsa_uses_dynamic_stack 0
		.amdhsa_system_sgpr_private_segment_wavefront_offset 0
		.amdhsa_system_sgpr_workgroup_id_x 1
		.amdhsa_system_sgpr_workgroup_id_y 1
		.amdhsa_system_sgpr_workgroup_id_z 1
		.amdhsa_system_sgpr_workgroup_info 0
		.amdhsa_system_vgpr_workitem_id 1
		.amdhsa_next_free_vgpr 44
		.amdhsa_next_free_sgpr 29
		.amdhsa_reserve_vcc 1
		.amdhsa_reserve_flat_scratch 0
		.amdhsa_float_round_mode_32 0
		.amdhsa_float_round_mode_16_64 0
		.amdhsa_float_denorm_mode_32 3
		.amdhsa_float_denorm_mode_16_64 3
		.amdhsa_dx10_clamp 1
		.amdhsa_ieee_mode 1
		.amdhsa_fp16_overflow 0
		.amdhsa_workgroup_processor_mode 1
		.amdhsa_memory_ordered 1
		.amdhsa_forward_progress 1
		.amdhsa_shared_vgpr_count 0
		.amdhsa_exception_fp_ieee_invalid_op 0
		.amdhsa_exception_fp_denorm_src 0
		.amdhsa_exception_fp_ieee_div_zero 0
		.amdhsa_exception_fp_ieee_overflow 0
		.amdhsa_exception_fp_ieee_underflow 0
		.amdhsa_exception_fp_ieee_inexact 0
		.amdhsa_exception_int_div_zero 0
	.end_amdhsa_kernel
	.section	.text._ZL29rocblas_internal_gemmt_kernelIiLi16ELi32ELi8ELc78ELc84ELc76ELb0ELb0EdPKdPKS1_PKPdEviT_T9_T10_S7_lS9_S7_lS8_T11_S7_li,"axG",@progbits,_ZL29rocblas_internal_gemmt_kernelIiLi16ELi32ELi8ELc78ELc84ELc76ELb0ELb0EdPKdPKS1_PKPdEviT_T9_T10_S7_lS9_S7_lS8_T11_S7_li,comdat
.Lfunc_end334:
	.size	_ZL29rocblas_internal_gemmt_kernelIiLi16ELi32ELi8ELc78ELc84ELc76ELb0ELb0EdPKdPKS1_PKPdEviT_T9_T10_S7_lS9_S7_lS8_T11_S7_li, .Lfunc_end334-_ZL29rocblas_internal_gemmt_kernelIiLi16ELi32ELi8ELc78ELc84ELc76ELb0ELb0EdPKdPKS1_PKPdEviT_T9_T10_S7_lS9_S7_lS8_T11_S7_li
                                        ; -- End function
	.set _ZL29rocblas_internal_gemmt_kernelIiLi16ELi32ELi8ELc78ELc84ELc76ELb0ELb0EdPKdPKS1_PKPdEviT_T9_T10_S7_lS9_S7_lS8_T11_S7_li.num_vgpr, 44
	.set _ZL29rocblas_internal_gemmt_kernelIiLi16ELi32ELi8ELc78ELc84ELc76ELb0ELb0EdPKdPKS1_PKPdEviT_T9_T10_S7_lS9_S7_lS8_T11_S7_li.num_agpr, 0
	.set _ZL29rocblas_internal_gemmt_kernelIiLi16ELi32ELi8ELc78ELc84ELc76ELb0ELb0EdPKdPKS1_PKPdEviT_T9_T10_S7_lS9_S7_lS8_T11_S7_li.numbered_sgpr, 29
	.set _ZL29rocblas_internal_gemmt_kernelIiLi16ELi32ELi8ELc78ELc84ELc76ELb0ELb0EdPKdPKS1_PKPdEviT_T9_T10_S7_lS9_S7_lS8_T11_S7_li.num_named_barrier, 0
	.set _ZL29rocblas_internal_gemmt_kernelIiLi16ELi32ELi8ELc78ELc84ELc76ELb0ELb0EdPKdPKS1_PKPdEviT_T9_T10_S7_lS9_S7_lS8_T11_S7_li.private_seg_size, 0
	.set _ZL29rocblas_internal_gemmt_kernelIiLi16ELi32ELi8ELc78ELc84ELc76ELb0ELb0EdPKdPKS1_PKPdEviT_T9_T10_S7_lS9_S7_lS8_T11_S7_li.uses_vcc, 1
	.set _ZL29rocblas_internal_gemmt_kernelIiLi16ELi32ELi8ELc78ELc84ELc76ELb0ELb0EdPKdPKS1_PKPdEviT_T9_T10_S7_lS9_S7_lS8_T11_S7_li.uses_flat_scratch, 0
	.set _ZL29rocblas_internal_gemmt_kernelIiLi16ELi32ELi8ELc78ELc84ELc76ELb0ELb0EdPKdPKS1_PKPdEviT_T9_T10_S7_lS9_S7_lS8_T11_S7_li.has_dyn_sized_stack, 0
	.set _ZL29rocblas_internal_gemmt_kernelIiLi16ELi32ELi8ELc78ELc84ELc76ELb0ELb0EdPKdPKS1_PKPdEviT_T9_T10_S7_lS9_S7_lS8_T11_S7_li.has_recursion, 0
	.set _ZL29rocblas_internal_gemmt_kernelIiLi16ELi32ELi8ELc78ELc84ELc76ELb0ELb0EdPKdPKS1_PKPdEviT_T9_T10_S7_lS9_S7_lS8_T11_S7_li.has_indirect_call, 0
	.section	.AMDGPU.csdata,"",@progbits
; Kernel info:
; codeLenInByte = 1696
; TotalNumSgprs: 31
; NumVgprs: 44
; ScratchSize: 0
; MemoryBound: 0
; FloatMode: 240
; IeeeMode: 1
; LDSByteSize: 4096 bytes/workgroup (compile time only)
; SGPRBlocks: 0
; VGPRBlocks: 5
; NumSGPRsForWavesPerEU: 31
; NumVGPRsForWavesPerEU: 44
; Occupancy: 16
; WaveLimiterHint : 1
; COMPUTE_PGM_RSRC2:SCRATCH_EN: 0
; COMPUTE_PGM_RSRC2:USER_SGPR: 6
; COMPUTE_PGM_RSRC2:TRAP_HANDLER: 0
; COMPUTE_PGM_RSRC2:TGID_X_EN: 1
; COMPUTE_PGM_RSRC2:TGID_Y_EN: 1
; COMPUTE_PGM_RSRC2:TGID_Z_EN: 1
; COMPUTE_PGM_RSRC2:TIDIG_COMP_CNT: 1
	.section	.text._ZL29rocblas_internal_gemmt_kernelIiLi16ELi32ELi8ELc78ELc67ELc76ELb0ELb0EdPKdPKS1_PKPdEviT_T9_T10_S7_lS9_S7_lS8_T11_S7_li,"axG",@progbits,_ZL29rocblas_internal_gemmt_kernelIiLi16ELi32ELi8ELc78ELc67ELc76ELb0ELb0EdPKdPKS1_PKPdEviT_T9_T10_S7_lS9_S7_lS8_T11_S7_li,comdat
	.globl	_ZL29rocblas_internal_gemmt_kernelIiLi16ELi32ELi8ELc78ELc67ELc76ELb0ELb0EdPKdPKS1_PKPdEviT_T9_T10_S7_lS9_S7_lS8_T11_S7_li ; -- Begin function _ZL29rocblas_internal_gemmt_kernelIiLi16ELi32ELi8ELc78ELc67ELc76ELb0ELb0EdPKdPKS1_PKPdEviT_T9_T10_S7_lS9_S7_lS8_T11_S7_li
	.p2align	8
	.type	_ZL29rocblas_internal_gemmt_kernelIiLi16ELi32ELi8ELc78ELc67ELc76ELb0ELb0EdPKdPKS1_PKPdEviT_T9_T10_S7_lS9_S7_lS8_T11_S7_li,@function
_ZL29rocblas_internal_gemmt_kernelIiLi16ELi32ELi8ELc78ELc67ELc76ELb0ELb0EdPKdPKS1_PKPdEviT_T9_T10_S7_lS9_S7_lS8_T11_S7_li: ; @_ZL29rocblas_internal_gemmt_kernelIiLi16ELi32ELi8ELc78ELc67ELc76ELb0ELb0EdPKdPKS1_PKPdEviT_T9_T10_S7_lS9_S7_lS8_T11_S7_li
; %bb.0:
	s_load_dwordx4 s[12:15], s[4:5], 0x38
	s_waitcnt lgkmcnt(0)
	s_load_dwordx2 s[10:11], s[14:15], 0x0
	s_clause 0x1
	s_load_dwordx4 s[0:3], s[4:5], 0x8
	s_load_dwordx2 s[20:21], s[4:5], 0x0
	s_waitcnt lgkmcnt(0)
	s_load_dwordx2 s[14:15], s[0:1], 0x0
	v_cmp_neq_f64_e64 s9, s[10:11], 1.0
	s_and_b32 vcc_lo, exec_lo, s9
	s_cbranch_vccnz .LBB335_2
; %bb.1:
	s_waitcnt lgkmcnt(0)
	v_cmp_neq_f64_e64 s0, s[14:15], 0
	s_cmp_lg_u32 s21, 0
	s_cselect_b32 s1, -1, 0
	s_and_b32 s9, s1, s0
.LBB335_2:
	s_andn2_b32 vcc_lo, exec_lo, s9
	s_cbranch_vccnz .LBB335_26
; %bb.3:
	s_load_dwordx2 s[0:1], s[4:5], 0x48
	s_mov_b32 s9, 0
	s_waitcnt lgkmcnt(0)
	v_cmp_eq_f64_e64 s16, s[14:15], 0
	s_lshl_b64 s[26:27], s[8:9], 3
	v_mov_b32_e32 v12, 0
	v_mov_b32_e32 v6, 0
	;; [unrolled: 1-line block ×8, first 2 shown]
	s_add_u32 s0, s0, s26
	s_addc_u32 s1, s1, s27
	s_lshl_b32 s8, s6, 5
	s_load_dwordx2 s[22:23], s[0:1], 0x0
	s_lshl_b32 s28, s7, 5
	s_cmp_lt_i32 s21, 1
	s_cselect_b32 s0, -1, 0
	s_or_b32 s0, s16, s0
	s_and_b32 vcc_lo, exec_lo, s0
	s_cbranch_vccnz .LBB335_10
; %bb.4:
	s_clause 0x2
	s_load_dword s6, s[4:5], 0x18
	s_load_dword s24, s[4:5], 0x30
	s_load_dwordx4 s[16:19], s[4:5], 0x20
	v_lshl_add_u32 v2, v1, 4, v0
	v_and_b32_e32 v18, 7, v0
	v_mov_b32_e32 v12, 0
	v_lshlrev_b32_e32 v22, 3, v0
	v_lshl_add_u32 v23, v1, 6, 0x800
	v_and_b32_e32 v3, 31, v2
	v_lshrrev_b32_e32 v4, 3, v2
	v_lshlrev_b32_e32 v5, 3, v18
	v_lshrrev_b32_e32 v19, 5, v2
	v_mov_b32_e32 v13, 0
	v_or_b32_e32 v6, s8, v3
	v_lshlrev_b32_e32 v7, 3, v3
	v_lshl_or_b32 v8, v4, 6, v5
	v_add_nc_u32_e32 v2, s28, v4
	v_add_nc_u32_e32 v4, s8, v3
	v_cmp_gt_i32_e32 vcc_lo, s20, v6
	v_lshl_or_b32 v20, v19, 8, v7
	s_waitcnt lgkmcnt(0)
	s_ashr_i32 s7, s6, 31
	s_ashr_i32 s25, s24, 31
	v_mad_i64_i32 v[5:6], null, v19, s6, 0
	s_add_u32 s18, s18, s26
	s_addc_u32 s19, s19, s27
	s_add_u32 s2, s2, s26
	s_addc_u32 s3, s3, s27
	s_load_dwordx2 s[18:19], s[18:19], 0x0
	s_load_dwordx2 s[2:3], s[2:3], 0x0
	v_add_nc_u32_e32 v21, 0x800, v8
	v_lshlrev_b64 v[6:7], 3, v[5:6]
	v_mad_i64_i32 v[8:9], null, s24, v18, 0
	v_ashrrev_i32_e32 v5, 31, v4
	s_lshl_b64 s[16:17], s[16:17], 3
	v_ashrrev_i32_e32 v3, 31, v2
	v_add_co_u32 v10, s1, v6, s16
	v_lshlrev_b64 v[4:5], 3, v[4:5]
	v_add_co_ci_u32_e64 v11, null, s17, v7, s1
	v_lshlrev_b64 v[6:7], 3, v[8:9]
	s_lshl_b64 s[12:13], s[12:13], 3
	v_cmp_gt_i32_e64 s0, s20, v2
	v_add_co_u32 v4, s1, v10, v4
	v_lshlrev_b64 v[2:3], 3, v[2:3]
	v_add_co_ci_u32_e64 v5, null, v11, v5, s1
	v_add_co_u32 v6, s1, v6, s12
	v_add_co_ci_u32_e64 v7, null, s13, v7, s1
	s_waitcnt lgkmcnt(0)
	v_add_co_u32 v8, s1, s2, v4
	v_add_co_ci_u32_e64 v9, null, s3, v5, s1
	v_add_co_u32 v10, s1, v6, v2
	v_add_co_ci_u32_e64 v11, null, v7, v3, s1
	v_mov_b32_e32 v2, 0
	v_add_co_u32 v10, s1, s18, v10
	v_mov_b32_e32 v4, 0
	v_mov_b32_e32 v6, 0
	;; [unrolled: 1-line block ×5, first 2 shown]
	v_add_co_ci_u32_e64 v11, null, s19, v11, s1
	s_lshl_b64 s[2:3], s[6:7], 6
	s_lshl_b64 s[6:7], s[24:25], 6
	s_branch .LBB335_6
.LBB335_5:                              ;   in Loop: Header=BB335_6 Depth=1
	s_or_b32 exec_lo, exec_lo, s1
	s_waitcnt vmcnt(0) lgkmcnt(0)
	ds_write_b64 v21, v[16:17]
	s_waitcnt lgkmcnt(0)
	s_barrier
	buffer_gl0_inv
	ds_read_b128 v[14:17], v23
	ds_read2_b64 v[24:27], v22 offset1:16
	ds_read_b128 v[28:31], v23 offset:1024
	ds_read_b128 v[32:35], v23 offset:16
	ds_read2_b64 v[36:39], v22 offset0:32 offset1:48
	ds_read_b128 v[40:43], v23 offset:1040
	v_add_co_u32 v8, s1, v8, s2
	v_add_co_ci_u32_e64 v9, null, s3, v9, s1
	v_add_co_u32 v10, s1, v10, s6
	v_add_co_ci_u32_e64 v11, null, s7, v11, s1
	s_add_i32 s9, s9, 8
	s_cmp_lt_i32 s9, s21
	s_waitcnt lgkmcnt(4)
	v_fma_f64 v[12:13], v[24:25], v[14:15], v[12:13]
	v_fma_f64 v[6:7], v[26:27], v[14:15], v[6:7]
	s_waitcnt lgkmcnt(3)
	v_fma_f64 v[14:15], v[24:25], v[28:29], v[4:5]
	v_fma_f64 v[24:25], v[26:27], v[28:29], v[2:3]
	ds_read2_b64 v[2:5], v22 offset0:64 offset1:80
	s_waitcnt lgkmcnt(2)
	v_fma_f64 v[26:27], v[36:37], v[16:17], v[12:13]
	v_fma_f64 v[6:7], v[38:39], v[16:17], v[6:7]
	;; [unrolled: 1-line block ×4, first 2 shown]
	ds_read2_b64 v[12:15], v22 offset0:96 offset1:112
	s_waitcnt lgkmcnt(1)
	v_fma_f64 v[28:29], v[2:3], v[32:33], v[26:27]
	v_fma_f64 v[6:7], v[4:5], v[32:33], v[6:7]
	;; [unrolled: 1-line block ×4, first 2 shown]
	ds_read_b128 v[2:5], v23 offset:32
	ds_read2_b64 v[24:27], v22 offset0:128 offset1:144
	s_waitcnt lgkmcnt(2)
	v_fma_f64 v[40:41], v[12:13], v[34:35], v[28:29]
	v_fma_f64 v[6:7], v[14:15], v[34:35], v[6:7]
	;; [unrolled: 1-line block ×4, first 2 shown]
	ds_read_b128 v[12:15], v23 offset:1056
	ds_read_b128 v[28:31], v23 offset:48
	ds_read2_b64 v[32:35], v22 offset0:160 offset1:176
	ds_read_b128 v[36:39], v23 offset:1072
	s_waitcnt lgkmcnt(4)
	v_fma_f64 v[40:41], v[24:25], v[2:3], v[40:41]
	v_fma_f64 v[2:3], v[26:27], v[2:3], v[6:7]
	s_waitcnt lgkmcnt(3)
	v_fma_f64 v[6:7], v[24:25], v[12:13], v[16:17]
	v_fma_f64 v[12:13], v[26:27], v[12:13], v[42:43]
	ds_read2_b64 v[24:27], v22 offset0:192 offset1:208
	s_waitcnt lgkmcnt(2)
	v_fma_f64 v[40:41], v[32:33], v[4:5], v[40:41]
	v_fma_f64 v[2:3], v[34:35], v[4:5], v[2:3]
	v_fma_f64 v[4:5], v[32:33], v[14:15], v[6:7]
	v_fma_f64 v[6:7], v[34:35], v[14:15], v[12:13]
	ds_read2_b64 v[14:17], v22 offset0:224 offset1:240
	s_waitcnt lgkmcnt(0)
	s_barrier
	buffer_gl0_inv
	v_fma_f64 v[12:13], v[24:25], v[28:29], v[40:41]
	v_fma_f64 v[2:3], v[26:27], v[28:29], v[2:3]
	;; [unrolled: 1-line block ×8, first 2 shown]
	s_cbranch_scc0 .LBB335_10
.LBB335_6:                              ; =>This Inner Loop Header: Depth=1
	v_add_nc_u32_e32 v14, s9, v19
	v_cmp_gt_i32_e64 s1, s21, v14
	v_mov_b32_e32 v14, 0
	v_mov_b32_e32 v15, 0
	s_and_b32 s12, vcc_lo, s1
	s_and_saveexec_b32 s1, s12
	s_cbranch_execz .LBB335_8
; %bb.7:                                ;   in Loop: Header=BB335_6 Depth=1
	flat_load_dwordx2 v[14:15], v[8:9]
.LBB335_8:                              ;   in Loop: Header=BB335_6 Depth=1
	s_or_b32 exec_lo, exec_lo, s1
	v_add_nc_u32_e32 v16, s9, v18
	s_waitcnt vmcnt(0) lgkmcnt(0)
	ds_write_b64 v20, v[14:15]
	v_cmp_gt_i32_e64 s1, s21, v16
	v_mov_b32_e32 v16, 0
	v_mov_b32_e32 v17, 0
	s_and_b32 s12, s1, s0
	s_and_saveexec_b32 s1, s12
	s_cbranch_execz .LBB335_5
; %bb.9:                                ;   in Loop: Header=BB335_6 Depth=1
	flat_load_dwordx2 v[16:17], v[10:11]
	s_branch .LBB335_5
.LBB335_10:
	s_clause 0x1
	s_load_dword s3, s[4:5], 0x50
	s_load_dwordx2 s[4:5], s[4:5], 0x58
	v_cmp_neq_f64_e64 s2, s[10:11], 0
	v_add_nc_u32_e32 v15, s28, v1
	v_add_nc_u32_e32 v0, s8, v0
	v_cmp_le_i32_e32 vcc_lo, v15, v0
	v_cmp_gt_i32_e64 s0, s20, v0
	v_ashrrev_i32_e32 v1, 31, v0
	s_waitcnt lgkmcnt(0)
	v_mad_i64_i32 v[8:9], null, v15, s3, 0
	s_lshl_b64 s[4:5], s[4:5], 3
	s_add_u32 s4, s22, s4
	s_addc_u32 s5, s23, s5
	v_cndmask_b32_e64 v14, 0, 1, s2
	s_and_b32 s6, vcc_lo, s0
	v_lshlrev_b64 v[8:9], 3, v[8:9]
	v_add_co_u32 v16, s1, s4, v8
	v_add_co_ci_u32_e64 v17, null, s5, v9, s1
	s_and_saveexec_b32 s1, s6
	s_cbranch_execz .LBB335_14
; %bb.11:
	v_mul_f64 v[8:9], s[14:15], v[12:13]
	v_lshlrev_b64 v[10:11], 3, v[0:1]
	v_add_co_u32 v10, vcc_lo, v16, v10
	v_add_co_ci_u32_e64 v11, null, v17, v11, vcc_lo
	s_andn2_b32 vcc_lo, exec_lo, s2
	s_cbranch_vccnz .LBB335_13
; %bb.12:
	flat_load_dwordx2 v[12:13], v[10:11]
	s_waitcnt vmcnt(0) lgkmcnt(0)
	v_fma_f64 v[8:9], s[10:11], v[12:13], v[8:9]
.LBB335_13:
	flat_store_dwordx2 v[10:11], v[8:9]
.LBB335_14:
	s_or_b32 exec_lo, exec_lo, s1
	v_add_nc_u32_e32 v8, 16, v0
	v_cmp_le_i32_e32 vcc_lo, v15, v8
	v_cmp_gt_i32_e64 s1, s20, v8
	v_ashrrev_i32_e32 v9, 31, v8
	s_and_b32 s2, vcc_lo, s1
	s_and_saveexec_b32 s6, s2
	s_cbranch_execz .LBB335_18
; %bb.15:
	v_mul_f64 v[6:7], s[14:15], v[6:7]
	v_lshlrev_b64 v[10:11], 3, v[8:9]
	v_cmp_ne_u32_e32 vcc_lo, 1, v14
	v_add_co_u32 v10, s2, v16, v10
	v_add_co_ci_u32_e64 v11, null, v17, v11, s2
	s_cbranch_vccnz .LBB335_17
; %bb.16:
	flat_load_dwordx2 v[12:13], v[10:11]
	s_waitcnt vmcnt(0) lgkmcnt(0)
	v_fma_f64 v[6:7], s[10:11], v[12:13], v[6:7]
.LBB335_17:
	flat_store_dwordx2 v[10:11], v[6:7]
.LBB335_18:
	s_or_b32 exec_lo, exec_lo, s6
	v_add_nc_u32_e32 v10, 16, v15
	v_mad_i64_i32 v[6:7], null, v10, s3, 0
	v_cmp_le_i32_e32 vcc_lo, v10, v0
	s_and_b32 s0, vcc_lo, s0
	v_lshlrev_b64 v[6:7], 3, v[6:7]
	v_add_co_u32 v6, s2, s4, v6
	v_add_co_ci_u32_e64 v7, null, s5, v7, s2
	s_and_saveexec_b32 s2, s0
	s_cbranch_execz .LBB335_22
; %bb.19:
	v_mul_f64 v[4:5], s[14:15], v[4:5]
	v_lshlrev_b64 v[0:1], 3, v[0:1]
	v_cmp_ne_u32_e32 vcc_lo, 1, v14
	v_add_co_u32 v0, s0, v6, v0
	v_add_co_ci_u32_e64 v1, null, v7, v1, s0
	s_cbranch_vccnz .LBB335_21
; %bb.20:
	flat_load_dwordx2 v[11:12], v[0:1]
	s_waitcnt vmcnt(0) lgkmcnt(0)
	v_fma_f64 v[4:5], s[10:11], v[11:12], v[4:5]
.LBB335_21:
	flat_store_dwordx2 v[0:1], v[4:5]
.LBB335_22:
	s_or_b32 exec_lo, exec_lo, s2
	v_cmp_le_i32_e32 vcc_lo, v10, v8
	s_and_b32 s0, vcc_lo, s1
	s_and_saveexec_b32 s1, s0
	s_cbranch_execz .LBB335_26
; %bb.23:
	v_mul_f64 v[0:1], s[14:15], v[2:3]
	v_lshlrev_b64 v[2:3], 3, v[8:9]
	v_cmp_ne_u32_e32 vcc_lo, 1, v14
	v_add_co_u32 v2, s0, v6, v2
	v_add_co_ci_u32_e64 v3, null, v7, v3, s0
	s_cbranch_vccnz .LBB335_25
; %bb.24:
	flat_load_dwordx2 v[4:5], v[2:3]
	s_waitcnt vmcnt(0) lgkmcnt(0)
	v_fma_f64 v[0:1], s[10:11], v[4:5], v[0:1]
.LBB335_25:
	flat_store_dwordx2 v[2:3], v[0:1]
.LBB335_26:
	s_endpgm
	.section	.rodata,"a",@progbits
	.p2align	6, 0x0
	.amdhsa_kernel _ZL29rocblas_internal_gemmt_kernelIiLi16ELi32ELi8ELc78ELc67ELc76ELb0ELb0EdPKdPKS1_PKPdEviT_T9_T10_S7_lS9_S7_lS8_T11_S7_li
		.amdhsa_group_segment_fixed_size 4096
		.amdhsa_private_segment_fixed_size 0
		.amdhsa_kernarg_size 100
		.amdhsa_user_sgpr_count 6
		.amdhsa_user_sgpr_private_segment_buffer 1
		.amdhsa_user_sgpr_dispatch_ptr 0
		.amdhsa_user_sgpr_queue_ptr 0
		.amdhsa_user_sgpr_kernarg_segment_ptr 1
		.amdhsa_user_sgpr_dispatch_id 0
		.amdhsa_user_sgpr_flat_scratch_init 0
		.amdhsa_user_sgpr_private_segment_size 0
		.amdhsa_wavefront_size32 1
		.amdhsa_uses_dynamic_stack 0
		.amdhsa_system_sgpr_private_segment_wavefront_offset 0
		.amdhsa_system_sgpr_workgroup_id_x 1
		.amdhsa_system_sgpr_workgroup_id_y 1
		.amdhsa_system_sgpr_workgroup_id_z 1
		.amdhsa_system_sgpr_workgroup_info 0
		.amdhsa_system_vgpr_workitem_id 1
		.amdhsa_next_free_vgpr 44
		.amdhsa_next_free_sgpr 29
		.amdhsa_reserve_vcc 1
		.amdhsa_reserve_flat_scratch 0
		.amdhsa_float_round_mode_32 0
		.amdhsa_float_round_mode_16_64 0
		.amdhsa_float_denorm_mode_32 3
		.amdhsa_float_denorm_mode_16_64 3
		.amdhsa_dx10_clamp 1
		.amdhsa_ieee_mode 1
		.amdhsa_fp16_overflow 0
		.amdhsa_workgroup_processor_mode 1
		.amdhsa_memory_ordered 1
		.amdhsa_forward_progress 1
		.amdhsa_shared_vgpr_count 0
		.amdhsa_exception_fp_ieee_invalid_op 0
		.amdhsa_exception_fp_denorm_src 0
		.amdhsa_exception_fp_ieee_div_zero 0
		.amdhsa_exception_fp_ieee_overflow 0
		.amdhsa_exception_fp_ieee_underflow 0
		.amdhsa_exception_fp_ieee_inexact 0
		.amdhsa_exception_int_div_zero 0
	.end_amdhsa_kernel
	.section	.text._ZL29rocblas_internal_gemmt_kernelIiLi16ELi32ELi8ELc78ELc67ELc76ELb0ELb0EdPKdPKS1_PKPdEviT_T9_T10_S7_lS9_S7_lS8_T11_S7_li,"axG",@progbits,_ZL29rocblas_internal_gemmt_kernelIiLi16ELi32ELi8ELc78ELc67ELc76ELb0ELb0EdPKdPKS1_PKPdEviT_T9_T10_S7_lS9_S7_lS8_T11_S7_li,comdat
.Lfunc_end335:
	.size	_ZL29rocblas_internal_gemmt_kernelIiLi16ELi32ELi8ELc78ELc67ELc76ELb0ELb0EdPKdPKS1_PKPdEviT_T9_T10_S7_lS9_S7_lS8_T11_S7_li, .Lfunc_end335-_ZL29rocblas_internal_gemmt_kernelIiLi16ELi32ELi8ELc78ELc67ELc76ELb0ELb0EdPKdPKS1_PKPdEviT_T9_T10_S7_lS9_S7_lS8_T11_S7_li
                                        ; -- End function
	.set _ZL29rocblas_internal_gemmt_kernelIiLi16ELi32ELi8ELc78ELc67ELc76ELb0ELb0EdPKdPKS1_PKPdEviT_T9_T10_S7_lS9_S7_lS8_T11_S7_li.num_vgpr, 44
	.set _ZL29rocblas_internal_gemmt_kernelIiLi16ELi32ELi8ELc78ELc67ELc76ELb0ELb0EdPKdPKS1_PKPdEviT_T9_T10_S7_lS9_S7_lS8_T11_S7_li.num_agpr, 0
	.set _ZL29rocblas_internal_gemmt_kernelIiLi16ELi32ELi8ELc78ELc67ELc76ELb0ELb0EdPKdPKS1_PKPdEviT_T9_T10_S7_lS9_S7_lS8_T11_S7_li.numbered_sgpr, 29
	.set _ZL29rocblas_internal_gemmt_kernelIiLi16ELi32ELi8ELc78ELc67ELc76ELb0ELb0EdPKdPKS1_PKPdEviT_T9_T10_S7_lS9_S7_lS8_T11_S7_li.num_named_barrier, 0
	.set _ZL29rocblas_internal_gemmt_kernelIiLi16ELi32ELi8ELc78ELc67ELc76ELb0ELb0EdPKdPKS1_PKPdEviT_T9_T10_S7_lS9_S7_lS8_T11_S7_li.private_seg_size, 0
	.set _ZL29rocblas_internal_gemmt_kernelIiLi16ELi32ELi8ELc78ELc67ELc76ELb0ELb0EdPKdPKS1_PKPdEviT_T9_T10_S7_lS9_S7_lS8_T11_S7_li.uses_vcc, 1
	.set _ZL29rocblas_internal_gemmt_kernelIiLi16ELi32ELi8ELc78ELc67ELc76ELb0ELb0EdPKdPKS1_PKPdEviT_T9_T10_S7_lS9_S7_lS8_T11_S7_li.uses_flat_scratch, 0
	.set _ZL29rocblas_internal_gemmt_kernelIiLi16ELi32ELi8ELc78ELc67ELc76ELb0ELb0EdPKdPKS1_PKPdEviT_T9_T10_S7_lS9_S7_lS8_T11_S7_li.has_dyn_sized_stack, 0
	.set _ZL29rocblas_internal_gemmt_kernelIiLi16ELi32ELi8ELc78ELc67ELc76ELb0ELb0EdPKdPKS1_PKPdEviT_T9_T10_S7_lS9_S7_lS8_T11_S7_li.has_recursion, 0
	.set _ZL29rocblas_internal_gemmt_kernelIiLi16ELi32ELi8ELc78ELc67ELc76ELb0ELb0EdPKdPKS1_PKPdEviT_T9_T10_S7_lS9_S7_lS8_T11_S7_li.has_indirect_call, 0
	.section	.AMDGPU.csdata,"",@progbits
; Kernel info:
; codeLenInByte = 1696
; TotalNumSgprs: 31
; NumVgprs: 44
; ScratchSize: 0
; MemoryBound: 0
; FloatMode: 240
; IeeeMode: 1
; LDSByteSize: 4096 bytes/workgroup (compile time only)
; SGPRBlocks: 0
; VGPRBlocks: 5
; NumSGPRsForWavesPerEU: 31
; NumVGPRsForWavesPerEU: 44
; Occupancy: 16
; WaveLimiterHint : 1
; COMPUTE_PGM_RSRC2:SCRATCH_EN: 0
; COMPUTE_PGM_RSRC2:USER_SGPR: 6
; COMPUTE_PGM_RSRC2:TRAP_HANDLER: 0
; COMPUTE_PGM_RSRC2:TGID_X_EN: 1
; COMPUTE_PGM_RSRC2:TGID_Y_EN: 1
; COMPUTE_PGM_RSRC2:TGID_Z_EN: 1
; COMPUTE_PGM_RSRC2:TIDIG_COMP_CNT: 1
	.section	.text._ZL29rocblas_internal_gemmt_kernelIiLi16ELi32ELi8ELc84ELc78ELc76ELb0ELb0EdPKdPKS1_PKPdEviT_T9_T10_S7_lS9_S7_lS8_T11_S7_li,"axG",@progbits,_ZL29rocblas_internal_gemmt_kernelIiLi16ELi32ELi8ELc84ELc78ELc76ELb0ELb0EdPKdPKS1_PKPdEviT_T9_T10_S7_lS9_S7_lS8_T11_S7_li,comdat
	.globl	_ZL29rocblas_internal_gemmt_kernelIiLi16ELi32ELi8ELc84ELc78ELc76ELb0ELb0EdPKdPKS1_PKPdEviT_T9_T10_S7_lS9_S7_lS8_T11_S7_li ; -- Begin function _ZL29rocblas_internal_gemmt_kernelIiLi16ELi32ELi8ELc84ELc78ELc76ELb0ELb0EdPKdPKS1_PKPdEviT_T9_T10_S7_lS9_S7_lS8_T11_S7_li
	.p2align	8
	.type	_ZL29rocblas_internal_gemmt_kernelIiLi16ELi32ELi8ELc84ELc78ELc76ELb0ELb0EdPKdPKS1_PKPdEviT_T9_T10_S7_lS9_S7_lS8_T11_S7_li,@function
_ZL29rocblas_internal_gemmt_kernelIiLi16ELi32ELi8ELc84ELc78ELc76ELb0ELb0EdPKdPKS1_PKPdEviT_T9_T10_S7_lS9_S7_lS8_T11_S7_li: ; @_ZL29rocblas_internal_gemmt_kernelIiLi16ELi32ELi8ELc84ELc78ELc76ELb0ELb0EdPKdPKS1_PKPdEviT_T9_T10_S7_lS9_S7_lS8_T11_S7_li
; %bb.0:
	s_load_dwordx4 s[12:15], s[4:5], 0x38
	s_waitcnt lgkmcnt(0)
	s_load_dwordx2 s[10:11], s[14:15], 0x0
	s_clause 0x1
	s_load_dwordx4 s[0:3], s[4:5], 0x8
	s_load_dwordx2 s[20:21], s[4:5], 0x0
	s_waitcnt lgkmcnt(0)
	s_load_dwordx2 s[14:15], s[0:1], 0x0
	v_cmp_neq_f64_e64 s9, s[10:11], 1.0
	s_and_b32 vcc_lo, exec_lo, s9
	s_cbranch_vccnz .LBB336_2
; %bb.1:
	s_waitcnt lgkmcnt(0)
	v_cmp_neq_f64_e64 s0, s[14:15], 0
	s_cmp_lg_u32 s21, 0
	s_cselect_b32 s1, -1, 0
	s_and_b32 s9, s1, s0
.LBB336_2:
	s_andn2_b32 vcc_lo, exec_lo, s9
	s_cbranch_vccnz .LBB336_26
; %bb.3:
	s_load_dwordx2 s[16:17], s[4:5], 0x48
	s_mov_b32 s9, 0
	s_waitcnt lgkmcnt(0)
	v_cmp_eq_f64_e64 s18, s[14:15], 0
	s_lshl_b64 s[0:1], s[8:9], 3
	v_mov_b32_e32 v12, 0
	v_mov_b32_e32 v6, 0
	;; [unrolled: 1-line block ×8, first 2 shown]
	s_add_u32 s16, s16, s0
	s_addc_u32 s17, s17, s1
	s_lshl_b32 s6, s6, 5
	s_load_dwordx2 s[22:23], s[16:17], 0x0
	s_lshl_b32 s7, s7, 5
	s_cmp_lt_i32 s21, 1
	s_cselect_b32 s8, -1, 0
	s_or_b32 s8, s18, s8
	s_and_b32 vcc_lo, exec_lo, s8
	s_cbranch_vccnz .LBB336_10
; %bb.4:
	s_clause 0x2
	s_load_dword s8, s[4:5], 0x18
	s_load_dwordx4 s[16:19], s[4:5], 0x20
	s_load_dword s24, s[4:5], 0x30
	v_lshl_add_u32 v2, v1, 4, v0
	v_and_b32_e32 v18, 7, v0
	v_mov_b32_e32 v12, 0
	v_lshlrev_b32_e32 v19, 3, v0
	v_lshl_add_u32 v20, v1, 6, 0x800
	v_and_b32_e32 v4, 31, v2
	v_lshrrev_b32_e32 v3, 3, v2
	v_lshrrev_b32_e32 v21, 5, v2
	v_lshlrev_b32_e32 v6, 3, v18
	v_mov_b32_e32 v13, 0
	v_or_b32_e32 v2, s6, v4
	v_lshlrev_b32_e32 v7, 3, v4
	v_add_nc_u32_e32 v4, s6, v4
	v_add_nc_u32_e32 v5, s7, v3
	v_lshl_or_b32 v8, v3, 6, v6
	v_cmp_gt_i32_e32 vcc_lo, s20, v2
	v_lshl_or_b32 v22, v21, 8, v7
	s_waitcnt lgkmcnt(0)
	v_mad_i64_i32 v[2:3], null, s8, v4, 0
	s_add_u32 s18, s18, s0
	s_addc_u32 s19, s19, s1
	s_add_u32 s2, s2, s0
	s_addc_u32 s3, s3, s1
	v_cmp_gt_i32_e64 s0, s20, v5
	s_load_dwordx2 s[2:3], s[2:3], 0x0
	v_lshlrev_b64 v[2:3], 3, v[2:3]
	v_mad_i64_i32 v[4:5], null, s24, v5, 0
	s_load_dwordx2 s[18:19], s[18:19], 0x0
	s_lshl_b64 s[16:17], s[16:17], 3
	v_lshlrev_b32_e32 v9, 3, v21
	v_add_co_u32 v7, s1, v2, s16
	v_add_nc_u32_e32 v23, 0x800, v8
	v_add_co_ci_u32_e64 v8, null, s17, v3, s1
	v_lshlrev_b64 v[2:3], 3, v[4:5]
	v_add_co_u32 v4, s1, v7, v9
	s_lshl_b64 s[12:13], s[12:13], 3
	v_add_co_ci_u32_e64 v5, null, 0, v8, s1
	v_add_co_u32 v2, s1, v2, s12
	v_add_co_ci_u32_e64 v3, null, s13, v3, s1
	s_waitcnt lgkmcnt(0)
	v_add_co_u32 v8, s1, s2, v4
	v_add_co_ci_u32_e64 v9, null, s3, v5, s1
	v_add_co_u32 v10, s1, v2, v6
	v_add_co_ci_u32_e64 v11, null, 0, v3, s1
	v_mov_b32_e32 v2, 0
	v_add_co_u32 v10, s1, s18, v10
	v_mov_b32_e32 v4, 0
	v_mov_b32_e32 v6, 0
	;; [unrolled: 1-line block ×5, first 2 shown]
	v_add_co_ci_u32_e64 v11, null, s19, v11, s1
	s_branch .LBB336_6
.LBB336_5:                              ;   in Loop: Header=BB336_6 Depth=1
	s_or_b32 exec_lo, exec_lo, s1
	s_waitcnt vmcnt(0) lgkmcnt(0)
	ds_write_b64 v23, v[16:17]
	s_waitcnt lgkmcnt(0)
	s_barrier
	buffer_gl0_inv
	ds_read_b128 v[14:17], v20
	ds_read2_b64 v[24:27], v19 offset1:16
	ds_read_b128 v[28:31], v20 offset:1024
	ds_read_b128 v[32:35], v20 offset:16
	ds_read2_b64 v[36:39], v19 offset0:32 offset1:48
	ds_read_b128 v[40:43], v20 offset:1040
	v_add_co_u32 v8, s1, v8, 64
	v_add_co_ci_u32_e64 v9, null, 0, v9, s1
	v_add_co_u32 v10, s1, v10, 64
	v_add_co_ci_u32_e64 v11, null, 0, v11, s1
	s_add_i32 s9, s9, 8
	s_cmp_lt_i32 s9, s21
	s_waitcnt lgkmcnt(4)
	v_fma_f64 v[12:13], v[24:25], v[14:15], v[12:13]
	v_fma_f64 v[6:7], v[26:27], v[14:15], v[6:7]
	s_waitcnt lgkmcnt(3)
	v_fma_f64 v[14:15], v[24:25], v[28:29], v[4:5]
	v_fma_f64 v[24:25], v[26:27], v[28:29], v[2:3]
	ds_read2_b64 v[2:5], v19 offset0:64 offset1:80
	s_waitcnt lgkmcnt(2)
	v_fma_f64 v[26:27], v[36:37], v[16:17], v[12:13]
	v_fma_f64 v[6:7], v[38:39], v[16:17], v[6:7]
	;; [unrolled: 1-line block ×4, first 2 shown]
	ds_read2_b64 v[12:15], v19 offset0:96 offset1:112
	s_waitcnt lgkmcnt(1)
	v_fma_f64 v[28:29], v[2:3], v[32:33], v[26:27]
	v_fma_f64 v[6:7], v[4:5], v[32:33], v[6:7]
	;; [unrolled: 1-line block ×4, first 2 shown]
	ds_read_b128 v[2:5], v20 offset:32
	ds_read2_b64 v[24:27], v19 offset0:128 offset1:144
	s_waitcnt lgkmcnt(2)
	v_fma_f64 v[40:41], v[12:13], v[34:35], v[28:29]
	v_fma_f64 v[6:7], v[14:15], v[34:35], v[6:7]
	;; [unrolled: 1-line block ×4, first 2 shown]
	ds_read_b128 v[12:15], v20 offset:1056
	ds_read_b128 v[28:31], v20 offset:48
	ds_read2_b64 v[32:35], v19 offset0:160 offset1:176
	ds_read_b128 v[36:39], v20 offset:1072
	s_waitcnt lgkmcnt(4)
	v_fma_f64 v[40:41], v[24:25], v[2:3], v[40:41]
	v_fma_f64 v[2:3], v[26:27], v[2:3], v[6:7]
	s_waitcnt lgkmcnt(3)
	v_fma_f64 v[6:7], v[24:25], v[12:13], v[16:17]
	v_fma_f64 v[12:13], v[26:27], v[12:13], v[42:43]
	ds_read2_b64 v[24:27], v19 offset0:192 offset1:208
	s_waitcnt lgkmcnt(2)
	v_fma_f64 v[40:41], v[32:33], v[4:5], v[40:41]
	v_fma_f64 v[2:3], v[34:35], v[4:5], v[2:3]
	;; [unrolled: 1-line block ×4, first 2 shown]
	ds_read2_b64 v[14:17], v19 offset0:224 offset1:240
	s_waitcnt lgkmcnt(0)
	s_barrier
	buffer_gl0_inv
	v_fma_f64 v[12:13], v[24:25], v[28:29], v[40:41]
	v_fma_f64 v[2:3], v[26:27], v[28:29], v[2:3]
	;; [unrolled: 1-line block ×8, first 2 shown]
	s_cbranch_scc0 .LBB336_10
.LBB336_6:                              ; =>This Inner Loop Header: Depth=1
	v_add_nc_u32_e32 v14, s9, v21
	v_cmp_gt_i32_e64 s1, s21, v14
	v_mov_b32_e32 v14, 0
	v_mov_b32_e32 v15, 0
	s_and_b32 s2, vcc_lo, s1
	s_and_saveexec_b32 s1, s2
	s_cbranch_execz .LBB336_8
; %bb.7:                                ;   in Loop: Header=BB336_6 Depth=1
	flat_load_dwordx2 v[14:15], v[8:9]
.LBB336_8:                              ;   in Loop: Header=BB336_6 Depth=1
	s_or_b32 exec_lo, exec_lo, s1
	v_add_nc_u32_e32 v16, s9, v18
	s_waitcnt vmcnt(0) lgkmcnt(0)
	ds_write_b64 v22, v[14:15]
	v_cmp_gt_i32_e64 s1, s21, v16
	v_mov_b32_e32 v16, 0
	v_mov_b32_e32 v17, 0
	s_and_b32 s2, s1, s0
	s_and_saveexec_b32 s1, s2
	s_cbranch_execz .LBB336_5
; %bb.9:                                ;   in Loop: Header=BB336_6 Depth=1
	flat_load_dwordx2 v[16:17], v[10:11]
	s_branch .LBB336_5
.LBB336_10:
	s_clause 0x1
	s_load_dword s3, s[4:5], 0x50
	s_load_dwordx2 s[4:5], s[4:5], 0x58
	v_cmp_neq_f64_e64 s2, s[10:11], 0
	v_add_nc_u32_e32 v15, s7, v1
	v_add_nc_u32_e32 v0, s6, v0
	v_cmp_le_i32_e32 vcc_lo, v15, v0
	v_cmp_gt_i32_e64 s0, s20, v0
	v_ashrrev_i32_e32 v1, 31, v0
	s_waitcnt lgkmcnt(0)
	v_mad_i64_i32 v[8:9], null, v15, s3, 0
	s_lshl_b64 s[4:5], s[4:5], 3
	s_add_u32 s4, s22, s4
	s_addc_u32 s5, s23, s5
	v_cndmask_b32_e64 v14, 0, 1, s2
	s_and_b32 s6, vcc_lo, s0
	v_lshlrev_b64 v[8:9], 3, v[8:9]
	v_add_co_u32 v16, s1, s4, v8
	v_add_co_ci_u32_e64 v17, null, s5, v9, s1
	s_and_saveexec_b32 s1, s6
	s_cbranch_execz .LBB336_14
; %bb.11:
	v_mul_f64 v[8:9], s[14:15], v[12:13]
	v_lshlrev_b64 v[10:11], 3, v[0:1]
	v_add_co_u32 v10, vcc_lo, v16, v10
	v_add_co_ci_u32_e64 v11, null, v17, v11, vcc_lo
	s_andn2_b32 vcc_lo, exec_lo, s2
	s_cbranch_vccnz .LBB336_13
; %bb.12:
	flat_load_dwordx2 v[12:13], v[10:11]
	s_waitcnt vmcnt(0) lgkmcnt(0)
	v_fma_f64 v[8:9], s[10:11], v[12:13], v[8:9]
.LBB336_13:
	flat_store_dwordx2 v[10:11], v[8:9]
.LBB336_14:
	s_or_b32 exec_lo, exec_lo, s1
	v_add_nc_u32_e32 v8, 16, v0
	v_cmp_le_i32_e32 vcc_lo, v15, v8
	v_cmp_gt_i32_e64 s1, s20, v8
	v_ashrrev_i32_e32 v9, 31, v8
	s_and_b32 s2, vcc_lo, s1
	s_and_saveexec_b32 s6, s2
	s_cbranch_execz .LBB336_18
; %bb.15:
	v_mul_f64 v[6:7], s[14:15], v[6:7]
	v_lshlrev_b64 v[10:11], 3, v[8:9]
	v_cmp_ne_u32_e32 vcc_lo, 1, v14
	v_add_co_u32 v10, s2, v16, v10
	v_add_co_ci_u32_e64 v11, null, v17, v11, s2
	s_cbranch_vccnz .LBB336_17
; %bb.16:
	flat_load_dwordx2 v[12:13], v[10:11]
	s_waitcnt vmcnt(0) lgkmcnt(0)
	v_fma_f64 v[6:7], s[10:11], v[12:13], v[6:7]
.LBB336_17:
	flat_store_dwordx2 v[10:11], v[6:7]
.LBB336_18:
	s_or_b32 exec_lo, exec_lo, s6
	v_add_nc_u32_e32 v10, 16, v15
	v_mad_i64_i32 v[6:7], null, v10, s3, 0
	v_cmp_le_i32_e32 vcc_lo, v10, v0
	s_and_b32 s0, vcc_lo, s0
	v_lshlrev_b64 v[6:7], 3, v[6:7]
	v_add_co_u32 v6, s2, s4, v6
	v_add_co_ci_u32_e64 v7, null, s5, v7, s2
	s_and_saveexec_b32 s2, s0
	s_cbranch_execz .LBB336_22
; %bb.19:
	v_mul_f64 v[4:5], s[14:15], v[4:5]
	v_lshlrev_b64 v[0:1], 3, v[0:1]
	v_cmp_ne_u32_e32 vcc_lo, 1, v14
	v_add_co_u32 v0, s0, v6, v0
	v_add_co_ci_u32_e64 v1, null, v7, v1, s0
	s_cbranch_vccnz .LBB336_21
; %bb.20:
	flat_load_dwordx2 v[11:12], v[0:1]
	s_waitcnt vmcnt(0) lgkmcnt(0)
	v_fma_f64 v[4:5], s[10:11], v[11:12], v[4:5]
.LBB336_21:
	flat_store_dwordx2 v[0:1], v[4:5]
.LBB336_22:
	s_or_b32 exec_lo, exec_lo, s2
	v_cmp_le_i32_e32 vcc_lo, v10, v8
	s_and_b32 s0, vcc_lo, s1
	s_and_saveexec_b32 s1, s0
	s_cbranch_execz .LBB336_26
; %bb.23:
	v_mul_f64 v[0:1], s[14:15], v[2:3]
	v_lshlrev_b64 v[2:3], 3, v[8:9]
	v_cmp_ne_u32_e32 vcc_lo, 1, v14
	v_add_co_u32 v2, s0, v6, v2
	v_add_co_ci_u32_e64 v3, null, v7, v3, s0
	s_cbranch_vccnz .LBB336_25
; %bb.24:
	flat_load_dwordx2 v[4:5], v[2:3]
	s_waitcnt vmcnt(0) lgkmcnt(0)
	v_fma_f64 v[0:1], s[10:11], v[4:5], v[0:1]
.LBB336_25:
	flat_store_dwordx2 v[2:3], v[0:1]
.LBB336_26:
	s_endpgm
	.section	.rodata,"a",@progbits
	.p2align	6, 0x0
	.amdhsa_kernel _ZL29rocblas_internal_gemmt_kernelIiLi16ELi32ELi8ELc84ELc78ELc76ELb0ELb0EdPKdPKS1_PKPdEviT_T9_T10_S7_lS9_S7_lS8_T11_S7_li
		.amdhsa_group_segment_fixed_size 4096
		.amdhsa_private_segment_fixed_size 0
		.amdhsa_kernarg_size 100
		.amdhsa_user_sgpr_count 6
		.amdhsa_user_sgpr_private_segment_buffer 1
		.amdhsa_user_sgpr_dispatch_ptr 0
		.amdhsa_user_sgpr_queue_ptr 0
		.amdhsa_user_sgpr_kernarg_segment_ptr 1
		.amdhsa_user_sgpr_dispatch_id 0
		.amdhsa_user_sgpr_flat_scratch_init 0
		.amdhsa_user_sgpr_private_segment_size 0
		.amdhsa_wavefront_size32 1
		.amdhsa_uses_dynamic_stack 0
		.amdhsa_system_sgpr_private_segment_wavefront_offset 0
		.amdhsa_system_sgpr_workgroup_id_x 1
		.amdhsa_system_sgpr_workgroup_id_y 1
		.amdhsa_system_sgpr_workgroup_id_z 1
		.amdhsa_system_sgpr_workgroup_info 0
		.amdhsa_system_vgpr_workitem_id 1
		.amdhsa_next_free_vgpr 44
		.amdhsa_next_free_sgpr 25
		.amdhsa_reserve_vcc 1
		.amdhsa_reserve_flat_scratch 0
		.amdhsa_float_round_mode_32 0
		.amdhsa_float_round_mode_16_64 0
		.amdhsa_float_denorm_mode_32 3
		.amdhsa_float_denorm_mode_16_64 3
		.amdhsa_dx10_clamp 1
		.amdhsa_ieee_mode 1
		.amdhsa_fp16_overflow 0
		.amdhsa_workgroup_processor_mode 1
		.amdhsa_memory_ordered 1
		.amdhsa_forward_progress 1
		.amdhsa_shared_vgpr_count 0
		.amdhsa_exception_fp_ieee_invalid_op 0
		.amdhsa_exception_fp_denorm_src 0
		.amdhsa_exception_fp_ieee_div_zero 0
		.amdhsa_exception_fp_ieee_overflow 0
		.amdhsa_exception_fp_ieee_underflow 0
		.amdhsa_exception_fp_ieee_inexact 0
		.amdhsa_exception_int_div_zero 0
	.end_amdhsa_kernel
	.section	.text._ZL29rocblas_internal_gemmt_kernelIiLi16ELi32ELi8ELc84ELc78ELc76ELb0ELb0EdPKdPKS1_PKPdEviT_T9_T10_S7_lS9_S7_lS8_T11_S7_li,"axG",@progbits,_ZL29rocblas_internal_gemmt_kernelIiLi16ELi32ELi8ELc84ELc78ELc76ELb0ELb0EdPKdPKS1_PKPdEviT_T9_T10_S7_lS9_S7_lS8_T11_S7_li,comdat
.Lfunc_end336:
	.size	_ZL29rocblas_internal_gemmt_kernelIiLi16ELi32ELi8ELc84ELc78ELc76ELb0ELb0EdPKdPKS1_PKPdEviT_T9_T10_S7_lS9_S7_lS8_T11_S7_li, .Lfunc_end336-_ZL29rocblas_internal_gemmt_kernelIiLi16ELi32ELi8ELc84ELc78ELc76ELb0ELb0EdPKdPKS1_PKPdEviT_T9_T10_S7_lS9_S7_lS8_T11_S7_li
                                        ; -- End function
	.set _ZL29rocblas_internal_gemmt_kernelIiLi16ELi32ELi8ELc84ELc78ELc76ELb0ELb0EdPKdPKS1_PKPdEviT_T9_T10_S7_lS9_S7_lS8_T11_S7_li.num_vgpr, 44
	.set _ZL29rocblas_internal_gemmt_kernelIiLi16ELi32ELi8ELc84ELc78ELc76ELb0ELb0EdPKdPKS1_PKPdEviT_T9_T10_S7_lS9_S7_lS8_T11_S7_li.num_agpr, 0
	.set _ZL29rocblas_internal_gemmt_kernelIiLi16ELi32ELi8ELc84ELc78ELc76ELb0ELb0EdPKdPKS1_PKPdEviT_T9_T10_S7_lS9_S7_lS8_T11_S7_li.numbered_sgpr, 25
	.set _ZL29rocblas_internal_gemmt_kernelIiLi16ELi32ELi8ELc84ELc78ELc76ELb0ELb0EdPKdPKS1_PKPdEviT_T9_T10_S7_lS9_S7_lS8_T11_S7_li.num_named_barrier, 0
	.set _ZL29rocblas_internal_gemmt_kernelIiLi16ELi32ELi8ELc84ELc78ELc76ELb0ELb0EdPKdPKS1_PKPdEviT_T9_T10_S7_lS9_S7_lS8_T11_S7_li.private_seg_size, 0
	.set _ZL29rocblas_internal_gemmt_kernelIiLi16ELi32ELi8ELc84ELc78ELc76ELb0ELb0EdPKdPKS1_PKPdEviT_T9_T10_S7_lS9_S7_lS8_T11_S7_li.uses_vcc, 1
	.set _ZL29rocblas_internal_gemmt_kernelIiLi16ELi32ELi8ELc84ELc78ELc76ELb0ELb0EdPKdPKS1_PKPdEviT_T9_T10_S7_lS9_S7_lS8_T11_S7_li.uses_flat_scratch, 0
	.set _ZL29rocblas_internal_gemmt_kernelIiLi16ELi32ELi8ELc84ELc78ELc76ELb0ELb0EdPKdPKS1_PKPdEviT_T9_T10_S7_lS9_S7_lS8_T11_S7_li.has_dyn_sized_stack, 0
	.set _ZL29rocblas_internal_gemmt_kernelIiLi16ELi32ELi8ELc84ELc78ELc76ELb0ELb0EdPKdPKS1_PKPdEviT_T9_T10_S7_lS9_S7_lS8_T11_S7_li.has_recursion, 0
	.set _ZL29rocblas_internal_gemmt_kernelIiLi16ELi32ELi8ELc84ELc78ELc76ELb0ELb0EdPKdPKS1_PKPdEviT_T9_T10_S7_lS9_S7_lS8_T11_S7_li.has_indirect_call, 0
	.section	.AMDGPU.csdata,"",@progbits
; Kernel info:
; codeLenInByte = 1660
; TotalNumSgprs: 27
; NumVgprs: 44
; ScratchSize: 0
; MemoryBound: 0
; FloatMode: 240
; IeeeMode: 1
; LDSByteSize: 4096 bytes/workgroup (compile time only)
; SGPRBlocks: 0
; VGPRBlocks: 5
; NumSGPRsForWavesPerEU: 27
; NumVGPRsForWavesPerEU: 44
; Occupancy: 16
; WaveLimiterHint : 1
; COMPUTE_PGM_RSRC2:SCRATCH_EN: 0
; COMPUTE_PGM_RSRC2:USER_SGPR: 6
; COMPUTE_PGM_RSRC2:TRAP_HANDLER: 0
; COMPUTE_PGM_RSRC2:TGID_X_EN: 1
; COMPUTE_PGM_RSRC2:TGID_Y_EN: 1
; COMPUTE_PGM_RSRC2:TGID_Z_EN: 1
; COMPUTE_PGM_RSRC2:TIDIG_COMP_CNT: 1
	.section	.text._ZL29rocblas_internal_gemmt_kernelIiLi16ELi32ELi8ELc84ELc84ELc76ELb0ELb0EdPKdPKS1_PKPdEviT_T9_T10_S7_lS9_S7_lS8_T11_S7_li,"axG",@progbits,_ZL29rocblas_internal_gemmt_kernelIiLi16ELi32ELi8ELc84ELc84ELc76ELb0ELb0EdPKdPKS1_PKPdEviT_T9_T10_S7_lS9_S7_lS8_T11_S7_li,comdat
	.globl	_ZL29rocblas_internal_gemmt_kernelIiLi16ELi32ELi8ELc84ELc84ELc76ELb0ELb0EdPKdPKS1_PKPdEviT_T9_T10_S7_lS9_S7_lS8_T11_S7_li ; -- Begin function _ZL29rocblas_internal_gemmt_kernelIiLi16ELi32ELi8ELc84ELc84ELc76ELb0ELb0EdPKdPKS1_PKPdEviT_T9_T10_S7_lS9_S7_lS8_T11_S7_li
	.p2align	8
	.type	_ZL29rocblas_internal_gemmt_kernelIiLi16ELi32ELi8ELc84ELc84ELc76ELb0ELb0EdPKdPKS1_PKPdEviT_T9_T10_S7_lS9_S7_lS8_T11_S7_li,@function
_ZL29rocblas_internal_gemmt_kernelIiLi16ELi32ELi8ELc84ELc84ELc76ELb0ELb0EdPKdPKS1_PKPdEviT_T9_T10_S7_lS9_S7_lS8_T11_S7_li: ; @_ZL29rocblas_internal_gemmt_kernelIiLi16ELi32ELi8ELc84ELc84ELc76ELb0ELb0EdPKdPKS1_PKPdEviT_T9_T10_S7_lS9_S7_lS8_T11_S7_li
; %bb.0:
	s_load_dwordx4 s[12:15], s[4:5], 0x38
	s_waitcnt lgkmcnt(0)
	s_load_dwordx2 s[10:11], s[14:15], 0x0
	s_clause 0x1
	s_load_dwordx4 s[0:3], s[4:5], 0x8
	s_load_dwordx2 s[20:21], s[4:5], 0x0
	s_waitcnt lgkmcnt(0)
	s_load_dwordx2 s[14:15], s[0:1], 0x0
	v_cmp_neq_f64_e64 s9, s[10:11], 1.0
	s_and_b32 vcc_lo, exec_lo, s9
	s_cbranch_vccnz .LBB337_2
; %bb.1:
	s_waitcnt lgkmcnt(0)
	v_cmp_neq_f64_e64 s0, s[14:15], 0
	s_cmp_lg_u32 s21, 0
	s_cselect_b32 s1, -1, 0
	s_and_b32 s9, s1, s0
.LBB337_2:
	s_andn2_b32 vcc_lo, exec_lo, s9
	s_cbranch_vccnz .LBB337_26
; %bb.3:
	s_load_dwordx2 s[0:1], s[4:5], 0x48
	s_mov_b32 s9, 0
	s_waitcnt lgkmcnt(0)
	v_cmp_eq_f64_e64 s16, s[14:15], 0
	s_lshl_b64 s[24:25], s[8:9], 3
	v_mov_b32_e32 v12, 0
	v_mov_b32_e32 v6, 0
	v_mov_b32_e32 v4, 0
	v_mov_b32_e32 v2, 0
	v_mov_b32_e32 v13, 0
	v_mov_b32_e32 v7, 0
	v_mov_b32_e32 v5, 0
	v_mov_b32_e32 v3, 0
	s_add_u32 s0, s0, s24
	s_addc_u32 s1, s1, s25
	s_lshl_b32 s8, s6, 5
	s_load_dwordx2 s[22:23], s[0:1], 0x0
	s_lshl_b32 s26, s7, 5
	s_cmp_lt_i32 s21, 1
	s_cselect_b32 s0, -1, 0
	s_or_b32 s0, s16, s0
	s_and_b32 vcc_lo, exec_lo, s0
	s_cbranch_vccnz .LBB337_10
; %bb.4:
	s_clause 0x2
	s_load_dword s6, s[4:5], 0x30
	s_load_dword s1, s[4:5], 0x18
	s_load_dwordx4 s[16:19], s[4:5], 0x20
	v_lshl_add_u32 v2, v1, 4, v0
	v_and_b32_e32 v18, 7, v0
	v_mov_b32_e32 v12, 0
	v_lshlrev_b32_e32 v22, 3, v0
	v_lshl_add_u32 v23, v1, 6, 0x800
	v_and_b32_e32 v3, 31, v2
	v_lshrrev_b32_e32 v4, 3, v2
	v_lshlrev_b32_e32 v5, 3, v18
	v_lshrrev_b32_e32 v19, 5, v2
	v_mov_b32_e32 v13, 0
	v_or_b32_e32 v6, s8, v3
	v_lshlrev_b32_e32 v7, 3, v3
	v_add_nc_u32_e32 v2, s26, v4
	v_lshl_or_b32 v4, v4, 6, v5
	v_add_nc_u32_e32 v3, s8, v3
	v_cmp_gt_i32_e32 vcc_lo, s20, v6
	v_lshl_or_b32 v20, v19, 8, v7
	v_lshlrev_b32_e32 v8, 3, v19
	v_add_nc_u32_e32 v21, 0x800, v4
	s_waitcnt lgkmcnt(0)
	s_ashr_i32 s7, s6, 31
	v_mad_i64_i32 v[4:5], null, s1, v3, 0
	s_add_u32 s18, s18, s24
	s_addc_u32 s19, s19, s25
	s_add_u32 s2, s2, s24
	s_addc_u32 s3, s3, s25
	s_load_dwordx2 s[18:19], s[18:19], 0x0
	s_load_dwordx2 s[2:3], s[2:3], 0x0
	v_mad_i64_i32 v[6:7], null, s6, v18, 0
	v_lshlrev_b64 v[4:5], 3, v[4:5]
	s_lshl_b64 s[16:17], s[16:17], 3
	v_ashrrev_i32_e32 v3, 31, v2
	s_lshl_b64 s[12:13], s[12:13], 3
	v_cmp_gt_i32_e64 s0, s20, v2
	v_add_co_u32 v9, s1, v4, s16
	v_add_co_ci_u32_e64 v10, null, s17, v5, s1
	v_lshlrev_b64 v[4:5], 3, v[6:7]
	v_add_co_u32 v6, s1, v9, v8
	v_lshlrev_b64 v[2:3], 3, v[2:3]
	v_add_co_ci_u32_e64 v7, null, 0, v10, s1
	v_add_co_u32 v4, s1, v4, s12
	v_add_co_ci_u32_e64 v5, null, s13, v5, s1
	s_waitcnt lgkmcnt(0)
	v_add_co_u32 v8, s1, s2, v6
	v_add_co_ci_u32_e64 v9, null, s3, v7, s1
	v_add_co_u32 v10, s1, v4, v2
	v_add_co_ci_u32_e64 v11, null, v5, v3, s1
	v_mov_b32_e32 v2, 0
	v_add_co_u32 v10, s1, s18, v10
	v_mov_b32_e32 v4, 0
	v_mov_b32_e32 v6, 0
	;; [unrolled: 1-line block ×5, first 2 shown]
	v_add_co_ci_u32_e64 v11, null, s19, v11, s1
	s_lshl_b64 s[2:3], s[6:7], 6
	s_branch .LBB337_6
.LBB337_5:                              ;   in Loop: Header=BB337_6 Depth=1
	s_or_b32 exec_lo, exec_lo, s1
	s_waitcnt vmcnt(0) lgkmcnt(0)
	ds_write_b64 v21, v[16:17]
	s_waitcnt lgkmcnt(0)
	s_barrier
	buffer_gl0_inv
	ds_read_b128 v[14:17], v23
	ds_read2_b64 v[24:27], v22 offset1:16
	ds_read_b128 v[28:31], v23 offset:1024
	ds_read_b128 v[32:35], v23 offset:16
	ds_read2_b64 v[36:39], v22 offset0:32 offset1:48
	ds_read_b128 v[40:43], v23 offset:1040
	v_add_co_u32 v8, s1, v8, 64
	v_add_co_ci_u32_e64 v9, null, 0, v9, s1
	v_add_co_u32 v10, s1, v10, s2
	v_add_co_ci_u32_e64 v11, null, s3, v11, s1
	s_add_i32 s9, s9, 8
	s_cmp_lt_i32 s9, s21
	s_waitcnt lgkmcnt(4)
	v_fma_f64 v[12:13], v[24:25], v[14:15], v[12:13]
	v_fma_f64 v[6:7], v[26:27], v[14:15], v[6:7]
	s_waitcnt lgkmcnt(3)
	v_fma_f64 v[14:15], v[24:25], v[28:29], v[4:5]
	v_fma_f64 v[24:25], v[26:27], v[28:29], v[2:3]
	ds_read2_b64 v[2:5], v22 offset0:64 offset1:80
	s_waitcnt lgkmcnt(2)
	v_fma_f64 v[26:27], v[36:37], v[16:17], v[12:13]
	v_fma_f64 v[6:7], v[38:39], v[16:17], v[6:7]
	;; [unrolled: 1-line block ×4, first 2 shown]
	ds_read2_b64 v[12:15], v22 offset0:96 offset1:112
	s_waitcnt lgkmcnt(1)
	v_fma_f64 v[28:29], v[2:3], v[32:33], v[26:27]
	v_fma_f64 v[6:7], v[4:5], v[32:33], v[6:7]
	;; [unrolled: 1-line block ×4, first 2 shown]
	ds_read_b128 v[2:5], v23 offset:32
	ds_read2_b64 v[24:27], v22 offset0:128 offset1:144
	s_waitcnt lgkmcnt(2)
	v_fma_f64 v[40:41], v[12:13], v[34:35], v[28:29]
	v_fma_f64 v[6:7], v[14:15], v[34:35], v[6:7]
	;; [unrolled: 1-line block ×4, first 2 shown]
	ds_read_b128 v[12:15], v23 offset:1056
	ds_read_b128 v[28:31], v23 offset:48
	ds_read2_b64 v[32:35], v22 offset0:160 offset1:176
	ds_read_b128 v[36:39], v23 offset:1072
	s_waitcnt lgkmcnt(4)
	v_fma_f64 v[40:41], v[24:25], v[2:3], v[40:41]
	v_fma_f64 v[2:3], v[26:27], v[2:3], v[6:7]
	s_waitcnt lgkmcnt(3)
	v_fma_f64 v[6:7], v[24:25], v[12:13], v[16:17]
	v_fma_f64 v[12:13], v[26:27], v[12:13], v[42:43]
	ds_read2_b64 v[24:27], v22 offset0:192 offset1:208
	s_waitcnt lgkmcnt(2)
	v_fma_f64 v[40:41], v[32:33], v[4:5], v[40:41]
	v_fma_f64 v[2:3], v[34:35], v[4:5], v[2:3]
	;; [unrolled: 1-line block ×4, first 2 shown]
	ds_read2_b64 v[14:17], v22 offset0:224 offset1:240
	s_waitcnt lgkmcnt(0)
	s_barrier
	buffer_gl0_inv
	v_fma_f64 v[12:13], v[24:25], v[28:29], v[40:41]
	v_fma_f64 v[2:3], v[26:27], v[28:29], v[2:3]
	;; [unrolled: 1-line block ×8, first 2 shown]
	s_cbranch_scc0 .LBB337_10
.LBB337_6:                              ; =>This Inner Loop Header: Depth=1
	v_add_nc_u32_e32 v14, s9, v19
	v_cmp_gt_i32_e64 s1, s21, v14
	v_mov_b32_e32 v14, 0
	v_mov_b32_e32 v15, 0
	s_and_b32 s6, vcc_lo, s1
	s_and_saveexec_b32 s1, s6
	s_cbranch_execz .LBB337_8
; %bb.7:                                ;   in Loop: Header=BB337_6 Depth=1
	flat_load_dwordx2 v[14:15], v[8:9]
.LBB337_8:                              ;   in Loop: Header=BB337_6 Depth=1
	s_or_b32 exec_lo, exec_lo, s1
	v_add_nc_u32_e32 v16, s9, v18
	s_waitcnt vmcnt(0) lgkmcnt(0)
	ds_write_b64 v20, v[14:15]
	v_cmp_gt_i32_e64 s1, s21, v16
	v_mov_b32_e32 v16, 0
	v_mov_b32_e32 v17, 0
	s_and_b32 s6, s1, s0
	s_and_saveexec_b32 s1, s6
	s_cbranch_execz .LBB337_5
; %bb.9:                                ;   in Loop: Header=BB337_6 Depth=1
	flat_load_dwordx2 v[16:17], v[10:11]
	s_branch .LBB337_5
.LBB337_10:
	s_clause 0x1
	s_load_dword s3, s[4:5], 0x50
	s_load_dwordx2 s[4:5], s[4:5], 0x58
	v_cmp_neq_f64_e64 s2, s[10:11], 0
	v_add_nc_u32_e32 v15, s26, v1
	v_add_nc_u32_e32 v0, s8, v0
	v_cmp_le_i32_e32 vcc_lo, v15, v0
	v_cmp_gt_i32_e64 s0, s20, v0
	v_ashrrev_i32_e32 v1, 31, v0
	s_waitcnt lgkmcnt(0)
	v_mad_i64_i32 v[8:9], null, v15, s3, 0
	s_lshl_b64 s[4:5], s[4:5], 3
	s_add_u32 s4, s22, s4
	s_addc_u32 s5, s23, s5
	v_cndmask_b32_e64 v14, 0, 1, s2
	s_and_b32 s6, vcc_lo, s0
	v_lshlrev_b64 v[8:9], 3, v[8:9]
	v_add_co_u32 v16, s1, s4, v8
	v_add_co_ci_u32_e64 v17, null, s5, v9, s1
	s_and_saveexec_b32 s1, s6
	s_cbranch_execz .LBB337_14
; %bb.11:
	v_mul_f64 v[8:9], s[14:15], v[12:13]
	v_lshlrev_b64 v[10:11], 3, v[0:1]
	v_add_co_u32 v10, vcc_lo, v16, v10
	v_add_co_ci_u32_e64 v11, null, v17, v11, vcc_lo
	s_andn2_b32 vcc_lo, exec_lo, s2
	s_cbranch_vccnz .LBB337_13
; %bb.12:
	flat_load_dwordx2 v[12:13], v[10:11]
	s_waitcnt vmcnt(0) lgkmcnt(0)
	v_fma_f64 v[8:9], s[10:11], v[12:13], v[8:9]
.LBB337_13:
	flat_store_dwordx2 v[10:11], v[8:9]
.LBB337_14:
	s_or_b32 exec_lo, exec_lo, s1
	v_add_nc_u32_e32 v8, 16, v0
	v_cmp_le_i32_e32 vcc_lo, v15, v8
	v_cmp_gt_i32_e64 s1, s20, v8
	v_ashrrev_i32_e32 v9, 31, v8
	s_and_b32 s2, vcc_lo, s1
	s_and_saveexec_b32 s6, s2
	s_cbranch_execz .LBB337_18
; %bb.15:
	v_mul_f64 v[6:7], s[14:15], v[6:7]
	v_lshlrev_b64 v[10:11], 3, v[8:9]
	v_cmp_ne_u32_e32 vcc_lo, 1, v14
	v_add_co_u32 v10, s2, v16, v10
	v_add_co_ci_u32_e64 v11, null, v17, v11, s2
	s_cbranch_vccnz .LBB337_17
; %bb.16:
	flat_load_dwordx2 v[12:13], v[10:11]
	s_waitcnt vmcnt(0) lgkmcnt(0)
	v_fma_f64 v[6:7], s[10:11], v[12:13], v[6:7]
.LBB337_17:
	flat_store_dwordx2 v[10:11], v[6:7]
.LBB337_18:
	s_or_b32 exec_lo, exec_lo, s6
	v_add_nc_u32_e32 v10, 16, v15
	v_mad_i64_i32 v[6:7], null, v10, s3, 0
	v_cmp_le_i32_e32 vcc_lo, v10, v0
	s_and_b32 s0, vcc_lo, s0
	v_lshlrev_b64 v[6:7], 3, v[6:7]
	v_add_co_u32 v6, s2, s4, v6
	v_add_co_ci_u32_e64 v7, null, s5, v7, s2
	s_and_saveexec_b32 s2, s0
	s_cbranch_execz .LBB337_22
; %bb.19:
	v_mul_f64 v[4:5], s[14:15], v[4:5]
	v_lshlrev_b64 v[0:1], 3, v[0:1]
	v_cmp_ne_u32_e32 vcc_lo, 1, v14
	v_add_co_u32 v0, s0, v6, v0
	v_add_co_ci_u32_e64 v1, null, v7, v1, s0
	s_cbranch_vccnz .LBB337_21
; %bb.20:
	flat_load_dwordx2 v[11:12], v[0:1]
	s_waitcnt vmcnt(0) lgkmcnt(0)
	v_fma_f64 v[4:5], s[10:11], v[11:12], v[4:5]
.LBB337_21:
	flat_store_dwordx2 v[0:1], v[4:5]
.LBB337_22:
	s_or_b32 exec_lo, exec_lo, s2
	v_cmp_le_i32_e32 vcc_lo, v10, v8
	s_and_b32 s0, vcc_lo, s1
	s_and_saveexec_b32 s1, s0
	s_cbranch_execz .LBB337_26
; %bb.23:
	v_mul_f64 v[0:1], s[14:15], v[2:3]
	v_lshlrev_b64 v[2:3], 3, v[8:9]
	v_cmp_ne_u32_e32 vcc_lo, 1, v14
	v_add_co_u32 v2, s0, v6, v2
	v_add_co_ci_u32_e64 v3, null, v7, v3, s0
	s_cbranch_vccnz .LBB337_25
; %bb.24:
	flat_load_dwordx2 v[4:5], v[2:3]
	s_waitcnt vmcnt(0) lgkmcnt(0)
	v_fma_f64 v[0:1], s[10:11], v[4:5], v[0:1]
.LBB337_25:
	flat_store_dwordx2 v[2:3], v[0:1]
.LBB337_26:
	s_endpgm
	.section	.rodata,"a",@progbits
	.p2align	6, 0x0
	.amdhsa_kernel _ZL29rocblas_internal_gemmt_kernelIiLi16ELi32ELi8ELc84ELc84ELc76ELb0ELb0EdPKdPKS1_PKPdEviT_T9_T10_S7_lS9_S7_lS8_T11_S7_li
		.amdhsa_group_segment_fixed_size 4096
		.amdhsa_private_segment_fixed_size 0
		.amdhsa_kernarg_size 100
		.amdhsa_user_sgpr_count 6
		.amdhsa_user_sgpr_private_segment_buffer 1
		.amdhsa_user_sgpr_dispatch_ptr 0
		.amdhsa_user_sgpr_queue_ptr 0
		.amdhsa_user_sgpr_kernarg_segment_ptr 1
		.amdhsa_user_sgpr_dispatch_id 0
		.amdhsa_user_sgpr_flat_scratch_init 0
		.amdhsa_user_sgpr_private_segment_size 0
		.amdhsa_wavefront_size32 1
		.amdhsa_uses_dynamic_stack 0
		.amdhsa_system_sgpr_private_segment_wavefront_offset 0
		.amdhsa_system_sgpr_workgroup_id_x 1
		.amdhsa_system_sgpr_workgroup_id_y 1
		.amdhsa_system_sgpr_workgroup_id_z 1
		.amdhsa_system_sgpr_workgroup_info 0
		.amdhsa_system_vgpr_workitem_id 1
		.amdhsa_next_free_vgpr 44
		.amdhsa_next_free_sgpr 27
		.amdhsa_reserve_vcc 1
		.amdhsa_reserve_flat_scratch 0
		.amdhsa_float_round_mode_32 0
		.amdhsa_float_round_mode_16_64 0
		.amdhsa_float_denorm_mode_32 3
		.amdhsa_float_denorm_mode_16_64 3
		.amdhsa_dx10_clamp 1
		.amdhsa_ieee_mode 1
		.amdhsa_fp16_overflow 0
		.amdhsa_workgroup_processor_mode 1
		.amdhsa_memory_ordered 1
		.amdhsa_forward_progress 1
		.amdhsa_shared_vgpr_count 0
		.amdhsa_exception_fp_ieee_invalid_op 0
		.amdhsa_exception_fp_denorm_src 0
		.amdhsa_exception_fp_ieee_div_zero 0
		.amdhsa_exception_fp_ieee_overflow 0
		.amdhsa_exception_fp_ieee_underflow 0
		.amdhsa_exception_fp_ieee_inexact 0
		.amdhsa_exception_int_div_zero 0
	.end_amdhsa_kernel
	.section	.text._ZL29rocblas_internal_gemmt_kernelIiLi16ELi32ELi8ELc84ELc84ELc76ELb0ELb0EdPKdPKS1_PKPdEviT_T9_T10_S7_lS9_S7_lS8_T11_S7_li,"axG",@progbits,_ZL29rocblas_internal_gemmt_kernelIiLi16ELi32ELi8ELc84ELc84ELc76ELb0ELb0EdPKdPKS1_PKPdEviT_T9_T10_S7_lS9_S7_lS8_T11_S7_li,comdat
.Lfunc_end337:
	.size	_ZL29rocblas_internal_gemmt_kernelIiLi16ELi32ELi8ELc84ELc84ELc76ELb0ELb0EdPKdPKS1_PKPdEviT_T9_T10_S7_lS9_S7_lS8_T11_S7_li, .Lfunc_end337-_ZL29rocblas_internal_gemmt_kernelIiLi16ELi32ELi8ELc84ELc84ELc76ELb0ELb0EdPKdPKS1_PKPdEviT_T9_T10_S7_lS9_S7_lS8_T11_S7_li
                                        ; -- End function
	.set _ZL29rocblas_internal_gemmt_kernelIiLi16ELi32ELi8ELc84ELc84ELc76ELb0ELb0EdPKdPKS1_PKPdEviT_T9_T10_S7_lS9_S7_lS8_T11_S7_li.num_vgpr, 44
	.set _ZL29rocblas_internal_gemmt_kernelIiLi16ELi32ELi8ELc84ELc84ELc76ELb0ELb0EdPKdPKS1_PKPdEviT_T9_T10_S7_lS9_S7_lS8_T11_S7_li.num_agpr, 0
	.set _ZL29rocblas_internal_gemmt_kernelIiLi16ELi32ELi8ELc84ELc84ELc76ELb0ELb0EdPKdPKS1_PKPdEviT_T9_T10_S7_lS9_S7_lS8_T11_S7_li.numbered_sgpr, 27
	.set _ZL29rocblas_internal_gemmt_kernelIiLi16ELi32ELi8ELc84ELc84ELc76ELb0ELb0EdPKdPKS1_PKPdEviT_T9_T10_S7_lS9_S7_lS8_T11_S7_li.num_named_barrier, 0
	.set _ZL29rocblas_internal_gemmt_kernelIiLi16ELi32ELi8ELc84ELc84ELc76ELb0ELb0EdPKdPKS1_PKPdEviT_T9_T10_S7_lS9_S7_lS8_T11_S7_li.private_seg_size, 0
	.set _ZL29rocblas_internal_gemmt_kernelIiLi16ELi32ELi8ELc84ELc84ELc76ELb0ELb0EdPKdPKS1_PKPdEviT_T9_T10_S7_lS9_S7_lS8_T11_S7_li.uses_vcc, 1
	.set _ZL29rocblas_internal_gemmt_kernelIiLi16ELi32ELi8ELc84ELc84ELc76ELb0ELb0EdPKdPKS1_PKPdEviT_T9_T10_S7_lS9_S7_lS8_T11_S7_li.uses_flat_scratch, 0
	.set _ZL29rocblas_internal_gemmt_kernelIiLi16ELi32ELi8ELc84ELc84ELc76ELb0ELb0EdPKdPKS1_PKPdEviT_T9_T10_S7_lS9_S7_lS8_T11_S7_li.has_dyn_sized_stack, 0
	.set _ZL29rocblas_internal_gemmt_kernelIiLi16ELi32ELi8ELc84ELc84ELc76ELb0ELb0EdPKdPKS1_PKPdEviT_T9_T10_S7_lS9_S7_lS8_T11_S7_li.has_recursion, 0
	.set _ZL29rocblas_internal_gemmt_kernelIiLi16ELi32ELi8ELc84ELc84ELc76ELb0ELb0EdPKdPKS1_PKPdEviT_T9_T10_S7_lS9_S7_lS8_T11_S7_li.has_indirect_call, 0
	.section	.AMDGPU.csdata,"",@progbits
; Kernel info:
; codeLenInByte = 1680
; TotalNumSgprs: 29
; NumVgprs: 44
; ScratchSize: 0
; MemoryBound: 0
; FloatMode: 240
; IeeeMode: 1
; LDSByteSize: 4096 bytes/workgroup (compile time only)
; SGPRBlocks: 0
; VGPRBlocks: 5
; NumSGPRsForWavesPerEU: 29
; NumVGPRsForWavesPerEU: 44
; Occupancy: 16
; WaveLimiterHint : 1
; COMPUTE_PGM_RSRC2:SCRATCH_EN: 0
; COMPUTE_PGM_RSRC2:USER_SGPR: 6
; COMPUTE_PGM_RSRC2:TRAP_HANDLER: 0
; COMPUTE_PGM_RSRC2:TGID_X_EN: 1
; COMPUTE_PGM_RSRC2:TGID_Y_EN: 1
; COMPUTE_PGM_RSRC2:TGID_Z_EN: 1
; COMPUTE_PGM_RSRC2:TIDIG_COMP_CNT: 1
	.section	.text._ZL29rocblas_internal_gemmt_kernelIiLi16ELi32ELi8ELc84ELc67ELc76ELb0ELb0EdPKdPKS1_PKPdEviT_T9_T10_S7_lS9_S7_lS8_T11_S7_li,"axG",@progbits,_ZL29rocblas_internal_gemmt_kernelIiLi16ELi32ELi8ELc84ELc67ELc76ELb0ELb0EdPKdPKS1_PKPdEviT_T9_T10_S7_lS9_S7_lS8_T11_S7_li,comdat
	.globl	_ZL29rocblas_internal_gemmt_kernelIiLi16ELi32ELi8ELc84ELc67ELc76ELb0ELb0EdPKdPKS1_PKPdEviT_T9_T10_S7_lS9_S7_lS8_T11_S7_li ; -- Begin function _ZL29rocblas_internal_gemmt_kernelIiLi16ELi32ELi8ELc84ELc67ELc76ELb0ELb0EdPKdPKS1_PKPdEviT_T9_T10_S7_lS9_S7_lS8_T11_S7_li
	.p2align	8
	.type	_ZL29rocblas_internal_gemmt_kernelIiLi16ELi32ELi8ELc84ELc67ELc76ELb0ELb0EdPKdPKS1_PKPdEviT_T9_T10_S7_lS9_S7_lS8_T11_S7_li,@function
_ZL29rocblas_internal_gemmt_kernelIiLi16ELi32ELi8ELc84ELc67ELc76ELb0ELb0EdPKdPKS1_PKPdEviT_T9_T10_S7_lS9_S7_lS8_T11_S7_li: ; @_ZL29rocblas_internal_gemmt_kernelIiLi16ELi32ELi8ELc84ELc67ELc76ELb0ELb0EdPKdPKS1_PKPdEviT_T9_T10_S7_lS9_S7_lS8_T11_S7_li
; %bb.0:
	s_load_dwordx4 s[12:15], s[4:5], 0x38
	s_waitcnt lgkmcnt(0)
	s_load_dwordx2 s[10:11], s[14:15], 0x0
	s_clause 0x1
	s_load_dwordx4 s[0:3], s[4:5], 0x8
	s_load_dwordx2 s[20:21], s[4:5], 0x0
	s_waitcnt lgkmcnt(0)
	s_load_dwordx2 s[14:15], s[0:1], 0x0
	v_cmp_neq_f64_e64 s9, s[10:11], 1.0
	s_and_b32 vcc_lo, exec_lo, s9
	s_cbranch_vccnz .LBB338_2
; %bb.1:
	s_waitcnt lgkmcnt(0)
	v_cmp_neq_f64_e64 s0, s[14:15], 0
	s_cmp_lg_u32 s21, 0
	s_cselect_b32 s1, -1, 0
	s_and_b32 s9, s1, s0
.LBB338_2:
	s_andn2_b32 vcc_lo, exec_lo, s9
	s_cbranch_vccnz .LBB338_26
; %bb.3:
	s_load_dwordx2 s[0:1], s[4:5], 0x48
	s_mov_b32 s9, 0
	s_waitcnt lgkmcnt(0)
	v_cmp_eq_f64_e64 s16, s[14:15], 0
	s_lshl_b64 s[24:25], s[8:9], 3
	v_mov_b32_e32 v12, 0
	v_mov_b32_e32 v6, 0
	;; [unrolled: 1-line block ×8, first 2 shown]
	s_add_u32 s0, s0, s24
	s_addc_u32 s1, s1, s25
	s_lshl_b32 s8, s6, 5
	s_load_dwordx2 s[22:23], s[0:1], 0x0
	s_lshl_b32 s26, s7, 5
	s_cmp_lt_i32 s21, 1
	s_cselect_b32 s0, -1, 0
	s_or_b32 s0, s16, s0
	s_and_b32 vcc_lo, exec_lo, s0
	s_cbranch_vccnz .LBB338_10
; %bb.4:
	s_clause 0x2
	s_load_dword s6, s[4:5], 0x30
	s_load_dword s1, s[4:5], 0x18
	s_load_dwordx4 s[16:19], s[4:5], 0x20
	v_lshl_add_u32 v2, v1, 4, v0
	v_and_b32_e32 v18, 7, v0
	v_mov_b32_e32 v12, 0
	v_lshlrev_b32_e32 v22, 3, v0
	v_lshl_add_u32 v23, v1, 6, 0x800
	v_and_b32_e32 v3, 31, v2
	v_lshrrev_b32_e32 v4, 3, v2
	v_lshlrev_b32_e32 v5, 3, v18
	v_lshrrev_b32_e32 v19, 5, v2
	v_mov_b32_e32 v13, 0
	v_or_b32_e32 v6, s8, v3
	v_lshlrev_b32_e32 v7, 3, v3
	v_add_nc_u32_e32 v2, s26, v4
	v_lshl_or_b32 v4, v4, 6, v5
	v_add_nc_u32_e32 v3, s8, v3
	v_cmp_gt_i32_e32 vcc_lo, s20, v6
	v_lshl_or_b32 v20, v19, 8, v7
	v_lshlrev_b32_e32 v8, 3, v19
	v_add_nc_u32_e32 v21, 0x800, v4
	s_waitcnt lgkmcnt(0)
	s_ashr_i32 s7, s6, 31
	v_mad_i64_i32 v[4:5], null, s1, v3, 0
	s_add_u32 s18, s18, s24
	s_addc_u32 s19, s19, s25
	s_add_u32 s2, s2, s24
	s_addc_u32 s3, s3, s25
	s_load_dwordx2 s[18:19], s[18:19], 0x0
	s_load_dwordx2 s[2:3], s[2:3], 0x0
	v_mad_i64_i32 v[6:7], null, s6, v18, 0
	v_lshlrev_b64 v[4:5], 3, v[4:5]
	s_lshl_b64 s[16:17], s[16:17], 3
	v_ashrrev_i32_e32 v3, 31, v2
	s_lshl_b64 s[12:13], s[12:13], 3
	v_cmp_gt_i32_e64 s0, s20, v2
	v_add_co_u32 v9, s1, v4, s16
	v_add_co_ci_u32_e64 v10, null, s17, v5, s1
	v_lshlrev_b64 v[4:5], 3, v[6:7]
	v_add_co_u32 v6, s1, v9, v8
	v_lshlrev_b64 v[2:3], 3, v[2:3]
	v_add_co_ci_u32_e64 v7, null, 0, v10, s1
	v_add_co_u32 v4, s1, v4, s12
	v_add_co_ci_u32_e64 v5, null, s13, v5, s1
	s_waitcnt lgkmcnt(0)
	v_add_co_u32 v8, s1, s2, v6
	v_add_co_ci_u32_e64 v9, null, s3, v7, s1
	v_add_co_u32 v10, s1, v4, v2
	v_add_co_ci_u32_e64 v11, null, v5, v3, s1
	v_mov_b32_e32 v2, 0
	v_add_co_u32 v10, s1, s18, v10
	v_mov_b32_e32 v4, 0
	v_mov_b32_e32 v6, 0
	;; [unrolled: 1-line block ×5, first 2 shown]
	v_add_co_ci_u32_e64 v11, null, s19, v11, s1
	s_lshl_b64 s[2:3], s[6:7], 6
	s_branch .LBB338_6
.LBB338_5:                              ;   in Loop: Header=BB338_6 Depth=1
	s_or_b32 exec_lo, exec_lo, s1
	s_waitcnt vmcnt(0) lgkmcnt(0)
	ds_write_b64 v21, v[16:17]
	s_waitcnt lgkmcnt(0)
	s_barrier
	buffer_gl0_inv
	ds_read_b128 v[14:17], v23
	ds_read2_b64 v[24:27], v22 offset1:16
	ds_read_b128 v[28:31], v23 offset:1024
	ds_read_b128 v[32:35], v23 offset:16
	ds_read2_b64 v[36:39], v22 offset0:32 offset1:48
	ds_read_b128 v[40:43], v23 offset:1040
	v_add_co_u32 v8, s1, v8, 64
	v_add_co_ci_u32_e64 v9, null, 0, v9, s1
	v_add_co_u32 v10, s1, v10, s2
	v_add_co_ci_u32_e64 v11, null, s3, v11, s1
	s_add_i32 s9, s9, 8
	s_cmp_lt_i32 s9, s21
	s_waitcnt lgkmcnt(4)
	v_fma_f64 v[12:13], v[24:25], v[14:15], v[12:13]
	v_fma_f64 v[6:7], v[26:27], v[14:15], v[6:7]
	s_waitcnt lgkmcnt(3)
	v_fma_f64 v[14:15], v[24:25], v[28:29], v[4:5]
	v_fma_f64 v[24:25], v[26:27], v[28:29], v[2:3]
	ds_read2_b64 v[2:5], v22 offset0:64 offset1:80
	s_waitcnt lgkmcnt(2)
	v_fma_f64 v[26:27], v[36:37], v[16:17], v[12:13]
	v_fma_f64 v[6:7], v[38:39], v[16:17], v[6:7]
	;; [unrolled: 1-line block ×4, first 2 shown]
	ds_read2_b64 v[12:15], v22 offset0:96 offset1:112
	s_waitcnt lgkmcnt(1)
	v_fma_f64 v[28:29], v[2:3], v[32:33], v[26:27]
	v_fma_f64 v[6:7], v[4:5], v[32:33], v[6:7]
	;; [unrolled: 1-line block ×4, first 2 shown]
	ds_read_b128 v[2:5], v23 offset:32
	ds_read2_b64 v[24:27], v22 offset0:128 offset1:144
	s_waitcnt lgkmcnt(2)
	v_fma_f64 v[40:41], v[12:13], v[34:35], v[28:29]
	v_fma_f64 v[6:7], v[14:15], v[34:35], v[6:7]
	;; [unrolled: 1-line block ×4, first 2 shown]
	ds_read_b128 v[12:15], v23 offset:1056
	ds_read_b128 v[28:31], v23 offset:48
	ds_read2_b64 v[32:35], v22 offset0:160 offset1:176
	ds_read_b128 v[36:39], v23 offset:1072
	s_waitcnt lgkmcnt(4)
	v_fma_f64 v[40:41], v[24:25], v[2:3], v[40:41]
	v_fma_f64 v[2:3], v[26:27], v[2:3], v[6:7]
	s_waitcnt lgkmcnt(3)
	v_fma_f64 v[6:7], v[24:25], v[12:13], v[16:17]
	v_fma_f64 v[12:13], v[26:27], v[12:13], v[42:43]
	ds_read2_b64 v[24:27], v22 offset0:192 offset1:208
	s_waitcnt lgkmcnt(2)
	v_fma_f64 v[40:41], v[32:33], v[4:5], v[40:41]
	v_fma_f64 v[2:3], v[34:35], v[4:5], v[2:3]
	;; [unrolled: 1-line block ×4, first 2 shown]
	ds_read2_b64 v[14:17], v22 offset0:224 offset1:240
	s_waitcnt lgkmcnt(0)
	s_barrier
	buffer_gl0_inv
	v_fma_f64 v[12:13], v[24:25], v[28:29], v[40:41]
	v_fma_f64 v[2:3], v[26:27], v[28:29], v[2:3]
	v_fma_f64 v[4:5], v[24:25], v[36:37], v[4:5]
	v_fma_f64 v[24:25], v[26:27], v[36:37], v[6:7]
	v_fma_f64 v[12:13], v[14:15], v[30:31], v[12:13]
	v_fma_f64 v[6:7], v[16:17], v[30:31], v[2:3]
	v_fma_f64 v[4:5], v[14:15], v[38:39], v[4:5]
	v_fma_f64 v[2:3], v[16:17], v[38:39], v[24:25]
	s_cbranch_scc0 .LBB338_10
.LBB338_6:                              ; =>This Inner Loop Header: Depth=1
	v_add_nc_u32_e32 v14, s9, v19
	v_cmp_gt_i32_e64 s1, s21, v14
	v_mov_b32_e32 v14, 0
	v_mov_b32_e32 v15, 0
	s_and_b32 s6, vcc_lo, s1
	s_and_saveexec_b32 s1, s6
	s_cbranch_execz .LBB338_8
; %bb.7:                                ;   in Loop: Header=BB338_6 Depth=1
	flat_load_dwordx2 v[14:15], v[8:9]
.LBB338_8:                              ;   in Loop: Header=BB338_6 Depth=1
	s_or_b32 exec_lo, exec_lo, s1
	v_add_nc_u32_e32 v16, s9, v18
	s_waitcnt vmcnt(0) lgkmcnt(0)
	ds_write_b64 v20, v[14:15]
	v_cmp_gt_i32_e64 s1, s21, v16
	v_mov_b32_e32 v16, 0
	v_mov_b32_e32 v17, 0
	s_and_b32 s6, s1, s0
	s_and_saveexec_b32 s1, s6
	s_cbranch_execz .LBB338_5
; %bb.9:                                ;   in Loop: Header=BB338_6 Depth=1
	flat_load_dwordx2 v[16:17], v[10:11]
	s_branch .LBB338_5
.LBB338_10:
	s_clause 0x1
	s_load_dword s3, s[4:5], 0x50
	s_load_dwordx2 s[4:5], s[4:5], 0x58
	v_cmp_neq_f64_e64 s2, s[10:11], 0
	v_add_nc_u32_e32 v15, s26, v1
	v_add_nc_u32_e32 v0, s8, v0
	v_cmp_le_i32_e32 vcc_lo, v15, v0
	v_cmp_gt_i32_e64 s0, s20, v0
	v_ashrrev_i32_e32 v1, 31, v0
	s_waitcnt lgkmcnt(0)
	v_mad_i64_i32 v[8:9], null, v15, s3, 0
	s_lshl_b64 s[4:5], s[4:5], 3
	s_add_u32 s4, s22, s4
	s_addc_u32 s5, s23, s5
	v_cndmask_b32_e64 v14, 0, 1, s2
	s_and_b32 s6, vcc_lo, s0
	v_lshlrev_b64 v[8:9], 3, v[8:9]
	v_add_co_u32 v16, s1, s4, v8
	v_add_co_ci_u32_e64 v17, null, s5, v9, s1
	s_and_saveexec_b32 s1, s6
	s_cbranch_execz .LBB338_14
; %bb.11:
	v_mul_f64 v[8:9], s[14:15], v[12:13]
	v_lshlrev_b64 v[10:11], 3, v[0:1]
	v_add_co_u32 v10, vcc_lo, v16, v10
	v_add_co_ci_u32_e64 v11, null, v17, v11, vcc_lo
	s_andn2_b32 vcc_lo, exec_lo, s2
	s_cbranch_vccnz .LBB338_13
; %bb.12:
	flat_load_dwordx2 v[12:13], v[10:11]
	s_waitcnt vmcnt(0) lgkmcnt(0)
	v_fma_f64 v[8:9], s[10:11], v[12:13], v[8:9]
.LBB338_13:
	flat_store_dwordx2 v[10:11], v[8:9]
.LBB338_14:
	s_or_b32 exec_lo, exec_lo, s1
	v_add_nc_u32_e32 v8, 16, v0
	v_cmp_le_i32_e32 vcc_lo, v15, v8
	v_cmp_gt_i32_e64 s1, s20, v8
	v_ashrrev_i32_e32 v9, 31, v8
	s_and_b32 s2, vcc_lo, s1
	s_and_saveexec_b32 s6, s2
	s_cbranch_execz .LBB338_18
; %bb.15:
	v_mul_f64 v[6:7], s[14:15], v[6:7]
	v_lshlrev_b64 v[10:11], 3, v[8:9]
	v_cmp_ne_u32_e32 vcc_lo, 1, v14
	v_add_co_u32 v10, s2, v16, v10
	v_add_co_ci_u32_e64 v11, null, v17, v11, s2
	s_cbranch_vccnz .LBB338_17
; %bb.16:
	flat_load_dwordx2 v[12:13], v[10:11]
	s_waitcnt vmcnt(0) lgkmcnt(0)
	v_fma_f64 v[6:7], s[10:11], v[12:13], v[6:7]
.LBB338_17:
	flat_store_dwordx2 v[10:11], v[6:7]
.LBB338_18:
	s_or_b32 exec_lo, exec_lo, s6
	v_add_nc_u32_e32 v10, 16, v15
	v_mad_i64_i32 v[6:7], null, v10, s3, 0
	v_cmp_le_i32_e32 vcc_lo, v10, v0
	s_and_b32 s0, vcc_lo, s0
	v_lshlrev_b64 v[6:7], 3, v[6:7]
	v_add_co_u32 v6, s2, s4, v6
	v_add_co_ci_u32_e64 v7, null, s5, v7, s2
	s_and_saveexec_b32 s2, s0
	s_cbranch_execz .LBB338_22
; %bb.19:
	v_mul_f64 v[4:5], s[14:15], v[4:5]
	v_lshlrev_b64 v[0:1], 3, v[0:1]
	v_cmp_ne_u32_e32 vcc_lo, 1, v14
	v_add_co_u32 v0, s0, v6, v0
	v_add_co_ci_u32_e64 v1, null, v7, v1, s0
	s_cbranch_vccnz .LBB338_21
; %bb.20:
	flat_load_dwordx2 v[11:12], v[0:1]
	s_waitcnt vmcnt(0) lgkmcnt(0)
	v_fma_f64 v[4:5], s[10:11], v[11:12], v[4:5]
.LBB338_21:
	flat_store_dwordx2 v[0:1], v[4:5]
.LBB338_22:
	s_or_b32 exec_lo, exec_lo, s2
	v_cmp_le_i32_e32 vcc_lo, v10, v8
	s_and_b32 s0, vcc_lo, s1
	s_and_saveexec_b32 s1, s0
	s_cbranch_execz .LBB338_26
; %bb.23:
	v_mul_f64 v[0:1], s[14:15], v[2:3]
	v_lshlrev_b64 v[2:3], 3, v[8:9]
	v_cmp_ne_u32_e32 vcc_lo, 1, v14
	v_add_co_u32 v2, s0, v6, v2
	v_add_co_ci_u32_e64 v3, null, v7, v3, s0
	s_cbranch_vccnz .LBB338_25
; %bb.24:
	flat_load_dwordx2 v[4:5], v[2:3]
	s_waitcnt vmcnt(0) lgkmcnt(0)
	v_fma_f64 v[0:1], s[10:11], v[4:5], v[0:1]
.LBB338_25:
	flat_store_dwordx2 v[2:3], v[0:1]
.LBB338_26:
	s_endpgm
	.section	.rodata,"a",@progbits
	.p2align	6, 0x0
	.amdhsa_kernel _ZL29rocblas_internal_gemmt_kernelIiLi16ELi32ELi8ELc84ELc67ELc76ELb0ELb0EdPKdPKS1_PKPdEviT_T9_T10_S7_lS9_S7_lS8_T11_S7_li
		.amdhsa_group_segment_fixed_size 4096
		.amdhsa_private_segment_fixed_size 0
		.amdhsa_kernarg_size 100
		.amdhsa_user_sgpr_count 6
		.amdhsa_user_sgpr_private_segment_buffer 1
		.amdhsa_user_sgpr_dispatch_ptr 0
		.amdhsa_user_sgpr_queue_ptr 0
		.amdhsa_user_sgpr_kernarg_segment_ptr 1
		.amdhsa_user_sgpr_dispatch_id 0
		.amdhsa_user_sgpr_flat_scratch_init 0
		.amdhsa_user_sgpr_private_segment_size 0
		.amdhsa_wavefront_size32 1
		.amdhsa_uses_dynamic_stack 0
		.amdhsa_system_sgpr_private_segment_wavefront_offset 0
		.amdhsa_system_sgpr_workgroup_id_x 1
		.amdhsa_system_sgpr_workgroup_id_y 1
		.amdhsa_system_sgpr_workgroup_id_z 1
		.amdhsa_system_sgpr_workgroup_info 0
		.amdhsa_system_vgpr_workitem_id 1
		.amdhsa_next_free_vgpr 44
		.amdhsa_next_free_sgpr 27
		.amdhsa_reserve_vcc 1
		.amdhsa_reserve_flat_scratch 0
		.amdhsa_float_round_mode_32 0
		.amdhsa_float_round_mode_16_64 0
		.amdhsa_float_denorm_mode_32 3
		.amdhsa_float_denorm_mode_16_64 3
		.amdhsa_dx10_clamp 1
		.amdhsa_ieee_mode 1
		.amdhsa_fp16_overflow 0
		.amdhsa_workgroup_processor_mode 1
		.amdhsa_memory_ordered 1
		.amdhsa_forward_progress 1
		.amdhsa_shared_vgpr_count 0
		.amdhsa_exception_fp_ieee_invalid_op 0
		.amdhsa_exception_fp_denorm_src 0
		.amdhsa_exception_fp_ieee_div_zero 0
		.amdhsa_exception_fp_ieee_overflow 0
		.amdhsa_exception_fp_ieee_underflow 0
		.amdhsa_exception_fp_ieee_inexact 0
		.amdhsa_exception_int_div_zero 0
	.end_amdhsa_kernel
	.section	.text._ZL29rocblas_internal_gemmt_kernelIiLi16ELi32ELi8ELc84ELc67ELc76ELb0ELb0EdPKdPKS1_PKPdEviT_T9_T10_S7_lS9_S7_lS8_T11_S7_li,"axG",@progbits,_ZL29rocblas_internal_gemmt_kernelIiLi16ELi32ELi8ELc84ELc67ELc76ELb0ELb0EdPKdPKS1_PKPdEviT_T9_T10_S7_lS9_S7_lS8_T11_S7_li,comdat
.Lfunc_end338:
	.size	_ZL29rocblas_internal_gemmt_kernelIiLi16ELi32ELi8ELc84ELc67ELc76ELb0ELb0EdPKdPKS1_PKPdEviT_T9_T10_S7_lS9_S7_lS8_T11_S7_li, .Lfunc_end338-_ZL29rocblas_internal_gemmt_kernelIiLi16ELi32ELi8ELc84ELc67ELc76ELb0ELb0EdPKdPKS1_PKPdEviT_T9_T10_S7_lS9_S7_lS8_T11_S7_li
                                        ; -- End function
	.set _ZL29rocblas_internal_gemmt_kernelIiLi16ELi32ELi8ELc84ELc67ELc76ELb0ELb0EdPKdPKS1_PKPdEviT_T9_T10_S7_lS9_S7_lS8_T11_S7_li.num_vgpr, 44
	.set _ZL29rocblas_internal_gemmt_kernelIiLi16ELi32ELi8ELc84ELc67ELc76ELb0ELb0EdPKdPKS1_PKPdEviT_T9_T10_S7_lS9_S7_lS8_T11_S7_li.num_agpr, 0
	.set _ZL29rocblas_internal_gemmt_kernelIiLi16ELi32ELi8ELc84ELc67ELc76ELb0ELb0EdPKdPKS1_PKPdEviT_T9_T10_S7_lS9_S7_lS8_T11_S7_li.numbered_sgpr, 27
	.set _ZL29rocblas_internal_gemmt_kernelIiLi16ELi32ELi8ELc84ELc67ELc76ELb0ELb0EdPKdPKS1_PKPdEviT_T9_T10_S7_lS9_S7_lS8_T11_S7_li.num_named_barrier, 0
	.set _ZL29rocblas_internal_gemmt_kernelIiLi16ELi32ELi8ELc84ELc67ELc76ELb0ELb0EdPKdPKS1_PKPdEviT_T9_T10_S7_lS9_S7_lS8_T11_S7_li.private_seg_size, 0
	.set _ZL29rocblas_internal_gemmt_kernelIiLi16ELi32ELi8ELc84ELc67ELc76ELb0ELb0EdPKdPKS1_PKPdEviT_T9_T10_S7_lS9_S7_lS8_T11_S7_li.uses_vcc, 1
	.set _ZL29rocblas_internal_gemmt_kernelIiLi16ELi32ELi8ELc84ELc67ELc76ELb0ELb0EdPKdPKS1_PKPdEviT_T9_T10_S7_lS9_S7_lS8_T11_S7_li.uses_flat_scratch, 0
	.set _ZL29rocblas_internal_gemmt_kernelIiLi16ELi32ELi8ELc84ELc67ELc76ELb0ELb0EdPKdPKS1_PKPdEviT_T9_T10_S7_lS9_S7_lS8_T11_S7_li.has_dyn_sized_stack, 0
	.set _ZL29rocblas_internal_gemmt_kernelIiLi16ELi32ELi8ELc84ELc67ELc76ELb0ELb0EdPKdPKS1_PKPdEviT_T9_T10_S7_lS9_S7_lS8_T11_S7_li.has_recursion, 0
	.set _ZL29rocblas_internal_gemmt_kernelIiLi16ELi32ELi8ELc84ELc67ELc76ELb0ELb0EdPKdPKS1_PKPdEviT_T9_T10_S7_lS9_S7_lS8_T11_S7_li.has_indirect_call, 0
	.section	.AMDGPU.csdata,"",@progbits
; Kernel info:
; codeLenInByte = 1680
; TotalNumSgprs: 29
; NumVgprs: 44
; ScratchSize: 0
; MemoryBound: 0
; FloatMode: 240
; IeeeMode: 1
; LDSByteSize: 4096 bytes/workgroup (compile time only)
; SGPRBlocks: 0
; VGPRBlocks: 5
; NumSGPRsForWavesPerEU: 29
; NumVGPRsForWavesPerEU: 44
; Occupancy: 16
; WaveLimiterHint : 1
; COMPUTE_PGM_RSRC2:SCRATCH_EN: 0
; COMPUTE_PGM_RSRC2:USER_SGPR: 6
; COMPUTE_PGM_RSRC2:TRAP_HANDLER: 0
; COMPUTE_PGM_RSRC2:TGID_X_EN: 1
; COMPUTE_PGM_RSRC2:TGID_Y_EN: 1
; COMPUTE_PGM_RSRC2:TGID_Z_EN: 1
; COMPUTE_PGM_RSRC2:TIDIG_COMP_CNT: 1
	.section	.text._ZL29rocblas_internal_gemmt_kernelIiLi16ELi32ELi8ELc67ELc78ELc76ELb0ELb0EdPKdPKS1_PKPdEviT_T9_T10_S7_lS9_S7_lS8_T11_S7_li,"axG",@progbits,_ZL29rocblas_internal_gemmt_kernelIiLi16ELi32ELi8ELc67ELc78ELc76ELb0ELb0EdPKdPKS1_PKPdEviT_T9_T10_S7_lS9_S7_lS8_T11_S7_li,comdat
	.globl	_ZL29rocblas_internal_gemmt_kernelIiLi16ELi32ELi8ELc67ELc78ELc76ELb0ELb0EdPKdPKS1_PKPdEviT_T9_T10_S7_lS9_S7_lS8_T11_S7_li ; -- Begin function _ZL29rocblas_internal_gemmt_kernelIiLi16ELi32ELi8ELc67ELc78ELc76ELb0ELb0EdPKdPKS1_PKPdEviT_T9_T10_S7_lS9_S7_lS8_T11_S7_li
	.p2align	8
	.type	_ZL29rocblas_internal_gemmt_kernelIiLi16ELi32ELi8ELc67ELc78ELc76ELb0ELb0EdPKdPKS1_PKPdEviT_T9_T10_S7_lS9_S7_lS8_T11_S7_li,@function
_ZL29rocblas_internal_gemmt_kernelIiLi16ELi32ELi8ELc67ELc78ELc76ELb0ELb0EdPKdPKS1_PKPdEviT_T9_T10_S7_lS9_S7_lS8_T11_S7_li: ; @_ZL29rocblas_internal_gemmt_kernelIiLi16ELi32ELi8ELc67ELc78ELc76ELb0ELb0EdPKdPKS1_PKPdEviT_T9_T10_S7_lS9_S7_lS8_T11_S7_li
; %bb.0:
	s_load_dwordx4 s[12:15], s[4:5], 0x38
	s_waitcnt lgkmcnt(0)
	s_load_dwordx2 s[10:11], s[14:15], 0x0
	s_clause 0x1
	s_load_dwordx4 s[0:3], s[4:5], 0x8
	s_load_dwordx2 s[20:21], s[4:5], 0x0
	s_waitcnt lgkmcnt(0)
	s_load_dwordx2 s[14:15], s[0:1], 0x0
	v_cmp_neq_f64_e64 s9, s[10:11], 1.0
	s_and_b32 vcc_lo, exec_lo, s9
	s_cbranch_vccnz .LBB339_2
; %bb.1:
	s_waitcnt lgkmcnt(0)
	v_cmp_neq_f64_e64 s0, s[14:15], 0
	s_cmp_lg_u32 s21, 0
	s_cselect_b32 s1, -1, 0
	s_and_b32 s9, s1, s0
.LBB339_2:
	s_andn2_b32 vcc_lo, exec_lo, s9
	s_cbranch_vccnz .LBB339_26
; %bb.3:
	s_load_dwordx2 s[16:17], s[4:5], 0x48
	s_mov_b32 s9, 0
	s_waitcnt lgkmcnt(0)
	v_cmp_eq_f64_e64 s18, s[14:15], 0
	s_lshl_b64 s[0:1], s[8:9], 3
	v_mov_b32_e32 v12, 0
	v_mov_b32_e32 v6, 0
	;; [unrolled: 1-line block ×8, first 2 shown]
	s_add_u32 s16, s16, s0
	s_addc_u32 s17, s17, s1
	s_lshl_b32 s6, s6, 5
	s_load_dwordx2 s[22:23], s[16:17], 0x0
	s_lshl_b32 s7, s7, 5
	s_cmp_lt_i32 s21, 1
	s_cselect_b32 s8, -1, 0
	s_or_b32 s8, s18, s8
	s_and_b32 vcc_lo, exec_lo, s8
	s_cbranch_vccnz .LBB339_10
; %bb.4:
	s_clause 0x2
	s_load_dword s8, s[4:5], 0x18
	s_load_dwordx4 s[16:19], s[4:5], 0x20
	s_load_dword s24, s[4:5], 0x30
	v_lshl_add_u32 v2, v1, 4, v0
	v_and_b32_e32 v18, 7, v0
	v_mov_b32_e32 v12, 0
	v_lshlrev_b32_e32 v19, 3, v0
	v_lshl_add_u32 v20, v1, 6, 0x800
	v_and_b32_e32 v4, 31, v2
	v_lshrrev_b32_e32 v3, 3, v2
	v_lshrrev_b32_e32 v21, 5, v2
	v_lshlrev_b32_e32 v6, 3, v18
	v_mov_b32_e32 v13, 0
	v_or_b32_e32 v2, s6, v4
	v_lshlrev_b32_e32 v7, 3, v4
	v_add_nc_u32_e32 v4, s6, v4
	v_add_nc_u32_e32 v5, s7, v3
	v_lshl_or_b32 v8, v3, 6, v6
	v_cmp_gt_i32_e32 vcc_lo, s20, v2
	v_lshl_or_b32 v22, v21, 8, v7
	s_waitcnt lgkmcnt(0)
	v_mad_i64_i32 v[2:3], null, s8, v4, 0
	s_add_u32 s18, s18, s0
	s_addc_u32 s19, s19, s1
	s_add_u32 s2, s2, s0
	s_addc_u32 s3, s3, s1
	v_cmp_gt_i32_e64 s0, s20, v5
	s_load_dwordx2 s[2:3], s[2:3], 0x0
	v_lshlrev_b64 v[2:3], 3, v[2:3]
	v_mad_i64_i32 v[4:5], null, s24, v5, 0
	s_load_dwordx2 s[18:19], s[18:19], 0x0
	s_lshl_b64 s[16:17], s[16:17], 3
	v_lshlrev_b32_e32 v9, 3, v21
	v_add_co_u32 v7, s1, v2, s16
	v_add_nc_u32_e32 v23, 0x800, v8
	v_add_co_ci_u32_e64 v8, null, s17, v3, s1
	v_lshlrev_b64 v[2:3], 3, v[4:5]
	v_add_co_u32 v4, s1, v7, v9
	s_lshl_b64 s[12:13], s[12:13], 3
	v_add_co_ci_u32_e64 v5, null, 0, v8, s1
	v_add_co_u32 v2, s1, v2, s12
	v_add_co_ci_u32_e64 v3, null, s13, v3, s1
	s_waitcnt lgkmcnt(0)
	v_add_co_u32 v8, s1, s2, v4
	v_add_co_ci_u32_e64 v9, null, s3, v5, s1
	v_add_co_u32 v10, s1, v2, v6
	v_add_co_ci_u32_e64 v11, null, 0, v3, s1
	v_mov_b32_e32 v2, 0
	v_add_co_u32 v10, s1, s18, v10
	v_mov_b32_e32 v4, 0
	v_mov_b32_e32 v6, 0
	v_mov_b32_e32 v3, 0
	v_mov_b32_e32 v5, 0
	v_mov_b32_e32 v7, 0
	v_add_co_ci_u32_e64 v11, null, s19, v11, s1
	s_branch .LBB339_6
.LBB339_5:                              ;   in Loop: Header=BB339_6 Depth=1
	s_or_b32 exec_lo, exec_lo, s1
	s_waitcnt vmcnt(0) lgkmcnt(0)
	ds_write_b64 v23, v[16:17]
	s_waitcnt lgkmcnt(0)
	s_barrier
	buffer_gl0_inv
	ds_read_b128 v[14:17], v20
	ds_read2_b64 v[24:27], v19 offset1:16
	ds_read_b128 v[28:31], v20 offset:1024
	ds_read_b128 v[32:35], v20 offset:16
	ds_read2_b64 v[36:39], v19 offset0:32 offset1:48
	ds_read_b128 v[40:43], v20 offset:1040
	v_add_co_u32 v8, s1, v8, 64
	v_add_co_ci_u32_e64 v9, null, 0, v9, s1
	v_add_co_u32 v10, s1, v10, 64
	v_add_co_ci_u32_e64 v11, null, 0, v11, s1
	s_add_i32 s9, s9, 8
	s_cmp_lt_i32 s9, s21
	s_waitcnt lgkmcnt(4)
	v_fma_f64 v[12:13], v[24:25], v[14:15], v[12:13]
	v_fma_f64 v[6:7], v[26:27], v[14:15], v[6:7]
	s_waitcnt lgkmcnt(3)
	v_fma_f64 v[14:15], v[24:25], v[28:29], v[4:5]
	v_fma_f64 v[24:25], v[26:27], v[28:29], v[2:3]
	ds_read2_b64 v[2:5], v19 offset0:64 offset1:80
	s_waitcnt lgkmcnt(2)
	v_fma_f64 v[26:27], v[36:37], v[16:17], v[12:13]
	v_fma_f64 v[6:7], v[38:39], v[16:17], v[6:7]
	;; [unrolled: 1-line block ×4, first 2 shown]
	ds_read2_b64 v[12:15], v19 offset0:96 offset1:112
	s_waitcnt lgkmcnt(1)
	v_fma_f64 v[28:29], v[2:3], v[32:33], v[26:27]
	v_fma_f64 v[6:7], v[4:5], v[32:33], v[6:7]
	;; [unrolled: 1-line block ×4, first 2 shown]
	ds_read_b128 v[2:5], v20 offset:32
	ds_read2_b64 v[24:27], v19 offset0:128 offset1:144
	s_waitcnt lgkmcnt(2)
	v_fma_f64 v[40:41], v[12:13], v[34:35], v[28:29]
	v_fma_f64 v[6:7], v[14:15], v[34:35], v[6:7]
	;; [unrolled: 1-line block ×4, first 2 shown]
	ds_read_b128 v[12:15], v20 offset:1056
	ds_read_b128 v[28:31], v20 offset:48
	ds_read2_b64 v[32:35], v19 offset0:160 offset1:176
	ds_read_b128 v[36:39], v20 offset:1072
	s_waitcnt lgkmcnt(4)
	v_fma_f64 v[40:41], v[24:25], v[2:3], v[40:41]
	v_fma_f64 v[2:3], v[26:27], v[2:3], v[6:7]
	s_waitcnt lgkmcnt(3)
	v_fma_f64 v[6:7], v[24:25], v[12:13], v[16:17]
	v_fma_f64 v[12:13], v[26:27], v[12:13], v[42:43]
	ds_read2_b64 v[24:27], v19 offset0:192 offset1:208
	s_waitcnt lgkmcnt(2)
	v_fma_f64 v[40:41], v[32:33], v[4:5], v[40:41]
	v_fma_f64 v[2:3], v[34:35], v[4:5], v[2:3]
	;; [unrolled: 1-line block ×4, first 2 shown]
	ds_read2_b64 v[14:17], v19 offset0:224 offset1:240
	s_waitcnt lgkmcnt(0)
	s_barrier
	buffer_gl0_inv
	v_fma_f64 v[12:13], v[24:25], v[28:29], v[40:41]
	v_fma_f64 v[2:3], v[26:27], v[28:29], v[2:3]
	;; [unrolled: 1-line block ×8, first 2 shown]
	s_cbranch_scc0 .LBB339_10
.LBB339_6:                              ; =>This Inner Loop Header: Depth=1
	v_add_nc_u32_e32 v14, s9, v21
	v_cmp_gt_i32_e64 s1, s21, v14
	v_mov_b32_e32 v14, 0
	v_mov_b32_e32 v15, 0
	s_and_b32 s2, vcc_lo, s1
	s_and_saveexec_b32 s1, s2
	s_cbranch_execz .LBB339_8
; %bb.7:                                ;   in Loop: Header=BB339_6 Depth=1
	flat_load_dwordx2 v[14:15], v[8:9]
.LBB339_8:                              ;   in Loop: Header=BB339_6 Depth=1
	s_or_b32 exec_lo, exec_lo, s1
	v_add_nc_u32_e32 v16, s9, v18
	s_waitcnt vmcnt(0) lgkmcnt(0)
	ds_write_b64 v22, v[14:15]
	v_cmp_gt_i32_e64 s1, s21, v16
	v_mov_b32_e32 v16, 0
	v_mov_b32_e32 v17, 0
	s_and_b32 s2, s1, s0
	s_and_saveexec_b32 s1, s2
	s_cbranch_execz .LBB339_5
; %bb.9:                                ;   in Loop: Header=BB339_6 Depth=1
	flat_load_dwordx2 v[16:17], v[10:11]
	s_branch .LBB339_5
.LBB339_10:
	s_clause 0x1
	s_load_dword s3, s[4:5], 0x50
	s_load_dwordx2 s[4:5], s[4:5], 0x58
	v_cmp_neq_f64_e64 s2, s[10:11], 0
	v_add_nc_u32_e32 v15, s7, v1
	v_add_nc_u32_e32 v0, s6, v0
	v_cmp_le_i32_e32 vcc_lo, v15, v0
	v_cmp_gt_i32_e64 s0, s20, v0
	v_ashrrev_i32_e32 v1, 31, v0
	s_waitcnt lgkmcnt(0)
	v_mad_i64_i32 v[8:9], null, v15, s3, 0
	s_lshl_b64 s[4:5], s[4:5], 3
	s_add_u32 s4, s22, s4
	s_addc_u32 s5, s23, s5
	v_cndmask_b32_e64 v14, 0, 1, s2
	s_and_b32 s6, vcc_lo, s0
	v_lshlrev_b64 v[8:9], 3, v[8:9]
	v_add_co_u32 v16, s1, s4, v8
	v_add_co_ci_u32_e64 v17, null, s5, v9, s1
	s_and_saveexec_b32 s1, s6
	s_cbranch_execz .LBB339_14
; %bb.11:
	v_mul_f64 v[8:9], s[14:15], v[12:13]
	v_lshlrev_b64 v[10:11], 3, v[0:1]
	v_add_co_u32 v10, vcc_lo, v16, v10
	v_add_co_ci_u32_e64 v11, null, v17, v11, vcc_lo
	s_andn2_b32 vcc_lo, exec_lo, s2
	s_cbranch_vccnz .LBB339_13
; %bb.12:
	flat_load_dwordx2 v[12:13], v[10:11]
	s_waitcnt vmcnt(0) lgkmcnt(0)
	v_fma_f64 v[8:9], s[10:11], v[12:13], v[8:9]
.LBB339_13:
	flat_store_dwordx2 v[10:11], v[8:9]
.LBB339_14:
	s_or_b32 exec_lo, exec_lo, s1
	v_add_nc_u32_e32 v8, 16, v0
	v_cmp_le_i32_e32 vcc_lo, v15, v8
	v_cmp_gt_i32_e64 s1, s20, v8
	v_ashrrev_i32_e32 v9, 31, v8
	s_and_b32 s2, vcc_lo, s1
	s_and_saveexec_b32 s6, s2
	s_cbranch_execz .LBB339_18
; %bb.15:
	v_mul_f64 v[6:7], s[14:15], v[6:7]
	v_lshlrev_b64 v[10:11], 3, v[8:9]
	v_cmp_ne_u32_e32 vcc_lo, 1, v14
	v_add_co_u32 v10, s2, v16, v10
	v_add_co_ci_u32_e64 v11, null, v17, v11, s2
	s_cbranch_vccnz .LBB339_17
; %bb.16:
	flat_load_dwordx2 v[12:13], v[10:11]
	s_waitcnt vmcnt(0) lgkmcnt(0)
	v_fma_f64 v[6:7], s[10:11], v[12:13], v[6:7]
.LBB339_17:
	flat_store_dwordx2 v[10:11], v[6:7]
.LBB339_18:
	s_or_b32 exec_lo, exec_lo, s6
	v_add_nc_u32_e32 v10, 16, v15
	v_mad_i64_i32 v[6:7], null, v10, s3, 0
	v_cmp_le_i32_e32 vcc_lo, v10, v0
	s_and_b32 s0, vcc_lo, s0
	v_lshlrev_b64 v[6:7], 3, v[6:7]
	v_add_co_u32 v6, s2, s4, v6
	v_add_co_ci_u32_e64 v7, null, s5, v7, s2
	s_and_saveexec_b32 s2, s0
	s_cbranch_execz .LBB339_22
; %bb.19:
	v_mul_f64 v[4:5], s[14:15], v[4:5]
	v_lshlrev_b64 v[0:1], 3, v[0:1]
	v_cmp_ne_u32_e32 vcc_lo, 1, v14
	v_add_co_u32 v0, s0, v6, v0
	v_add_co_ci_u32_e64 v1, null, v7, v1, s0
	s_cbranch_vccnz .LBB339_21
; %bb.20:
	flat_load_dwordx2 v[11:12], v[0:1]
	s_waitcnt vmcnt(0) lgkmcnt(0)
	v_fma_f64 v[4:5], s[10:11], v[11:12], v[4:5]
.LBB339_21:
	flat_store_dwordx2 v[0:1], v[4:5]
.LBB339_22:
	s_or_b32 exec_lo, exec_lo, s2
	v_cmp_le_i32_e32 vcc_lo, v10, v8
	s_and_b32 s0, vcc_lo, s1
	s_and_saveexec_b32 s1, s0
	s_cbranch_execz .LBB339_26
; %bb.23:
	v_mul_f64 v[0:1], s[14:15], v[2:3]
	v_lshlrev_b64 v[2:3], 3, v[8:9]
	v_cmp_ne_u32_e32 vcc_lo, 1, v14
	v_add_co_u32 v2, s0, v6, v2
	v_add_co_ci_u32_e64 v3, null, v7, v3, s0
	s_cbranch_vccnz .LBB339_25
; %bb.24:
	flat_load_dwordx2 v[4:5], v[2:3]
	s_waitcnt vmcnt(0) lgkmcnt(0)
	v_fma_f64 v[0:1], s[10:11], v[4:5], v[0:1]
.LBB339_25:
	flat_store_dwordx2 v[2:3], v[0:1]
.LBB339_26:
	s_endpgm
	.section	.rodata,"a",@progbits
	.p2align	6, 0x0
	.amdhsa_kernel _ZL29rocblas_internal_gemmt_kernelIiLi16ELi32ELi8ELc67ELc78ELc76ELb0ELb0EdPKdPKS1_PKPdEviT_T9_T10_S7_lS9_S7_lS8_T11_S7_li
		.amdhsa_group_segment_fixed_size 4096
		.amdhsa_private_segment_fixed_size 0
		.amdhsa_kernarg_size 100
		.amdhsa_user_sgpr_count 6
		.amdhsa_user_sgpr_private_segment_buffer 1
		.amdhsa_user_sgpr_dispatch_ptr 0
		.amdhsa_user_sgpr_queue_ptr 0
		.amdhsa_user_sgpr_kernarg_segment_ptr 1
		.amdhsa_user_sgpr_dispatch_id 0
		.amdhsa_user_sgpr_flat_scratch_init 0
		.amdhsa_user_sgpr_private_segment_size 0
		.amdhsa_wavefront_size32 1
		.amdhsa_uses_dynamic_stack 0
		.amdhsa_system_sgpr_private_segment_wavefront_offset 0
		.amdhsa_system_sgpr_workgroup_id_x 1
		.amdhsa_system_sgpr_workgroup_id_y 1
		.amdhsa_system_sgpr_workgroup_id_z 1
		.amdhsa_system_sgpr_workgroup_info 0
		.amdhsa_system_vgpr_workitem_id 1
		.amdhsa_next_free_vgpr 44
		.amdhsa_next_free_sgpr 25
		.amdhsa_reserve_vcc 1
		.amdhsa_reserve_flat_scratch 0
		.amdhsa_float_round_mode_32 0
		.amdhsa_float_round_mode_16_64 0
		.amdhsa_float_denorm_mode_32 3
		.amdhsa_float_denorm_mode_16_64 3
		.amdhsa_dx10_clamp 1
		.amdhsa_ieee_mode 1
		.amdhsa_fp16_overflow 0
		.amdhsa_workgroup_processor_mode 1
		.amdhsa_memory_ordered 1
		.amdhsa_forward_progress 1
		.amdhsa_shared_vgpr_count 0
		.amdhsa_exception_fp_ieee_invalid_op 0
		.amdhsa_exception_fp_denorm_src 0
		.amdhsa_exception_fp_ieee_div_zero 0
		.amdhsa_exception_fp_ieee_overflow 0
		.amdhsa_exception_fp_ieee_underflow 0
		.amdhsa_exception_fp_ieee_inexact 0
		.amdhsa_exception_int_div_zero 0
	.end_amdhsa_kernel
	.section	.text._ZL29rocblas_internal_gemmt_kernelIiLi16ELi32ELi8ELc67ELc78ELc76ELb0ELb0EdPKdPKS1_PKPdEviT_T9_T10_S7_lS9_S7_lS8_T11_S7_li,"axG",@progbits,_ZL29rocblas_internal_gemmt_kernelIiLi16ELi32ELi8ELc67ELc78ELc76ELb0ELb0EdPKdPKS1_PKPdEviT_T9_T10_S7_lS9_S7_lS8_T11_S7_li,comdat
.Lfunc_end339:
	.size	_ZL29rocblas_internal_gemmt_kernelIiLi16ELi32ELi8ELc67ELc78ELc76ELb0ELb0EdPKdPKS1_PKPdEviT_T9_T10_S7_lS9_S7_lS8_T11_S7_li, .Lfunc_end339-_ZL29rocblas_internal_gemmt_kernelIiLi16ELi32ELi8ELc67ELc78ELc76ELb0ELb0EdPKdPKS1_PKPdEviT_T9_T10_S7_lS9_S7_lS8_T11_S7_li
                                        ; -- End function
	.set _ZL29rocblas_internal_gemmt_kernelIiLi16ELi32ELi8ELc67ELc78ELc76ELb0ELb0EdPKdPKS1_PKPdEviT_T9_T10_S7_lS9_S7_lS8_T11_S7_li.num_vgpr, 44
	.set _ZL29rocblas_internal_gemmt_kernelIiLi16ELi32ELi8ELc67ELc78ELc76ELb0ELb0EdPKdPKS1_PKPdEviT_T9_T10_S7_lS9_S7_lS8_T11_S7_li.num_agpr, 0
	.set _ZL29rocblas_internal_gemmt_kernelIiLi16ELi32ELi8ELc67ELc78ELc76ELb0ELb0EdPKdPKS1_PKPdEviT_T9_T10_S7_lS9_S7_lS8_T11_S7_li.numbered_sgpr, 25
	.set _ZL29rocblas_internal_gemmt_kernelIiLi16ELi32ELi8ELc67ELc78ELc76ELb0ELb0EdPKdPKS1_PKPdEviT_T9_T10_S7_lS9_S7_lS8_T11_S7_li.num_named_barrier, 0
	.set _ZL29rocblas_internal_gemmt_kernelIiLi16ELi32ELi8ELc67ELc78ELc76ELb0ELb0EdPKdPKS1_PKPdEviT_T9_T10_S7_lS9_S7_lS8_T11_S7_li.private_seg_size, 0
	.set _ZL29rocblas_internal_gemmt_kernelIiLi16ELi32ELi8ELc67ELc78ELc76ELb0ELb0EdPKdPKS1_PKPdEviT_T9_T10_S7_lS9_S7_lS8_T11_S7_li.uses_vcc, 1
	.set _ZL29rocblas_internal_gemmt_kernelIiLi16ELi32ELi8ELc67ELc78ELc76ELb0ELb0EdPKdPKS1_PKPdEviT_T9_T10_S7_lS9_S7_lS8_T11_S7_li.uses_flat_scratch, 0
	.set _ZL29rocblas_internal_gemmt_kernelIiLi16ELi32ELi8ELc67ELc78ELc76ELb0ELb0EdPKdPKS1_PKPdEviT_T9_T10_S7_lS9_S7_lS8_T11_S7_li.has_dyn_sized_stack, 0
	.set _ZL29rocblas_internal_gemmt_kernelIiLi16ELi32ELi8ELc67ELc78ELc76ELb0ELb0EdPKdPKS1_PKPdEviT_T9_T10_S7_lS9_S7_lS8_T11_S7_li.has_recursion, 0
	.set _ZL29rocblas_internal_gemmt_kernelIiLi16ELi32ELi8ELc67ELc78ELc76ELb0ELb0EdPKdPKS1_PKPdEviT_T9_T10_S7_lS9_S7_lS8_T11_S7_li.has_indirect_call, 0
	.section	.AMDGPU.csdata,"",@progbits
; Kernel info:
; codeLenInByte = 1660
; TotalNumSgprs: 27
; NumVgprs: 44
; ScratchSize: 0
; MemoryBound: 0
; FloatMode: 240
; IeeeMode: 1
; LDSByteSize: 4096 bytes/workgroup (compile time only)
; SGPRBlocks: 0
; VGPRBlocks: 5
; NumSGPRsForWavesPerEU: 27
; NumVGPRsForWavesPerEU: 44
; Occupancy: 16
; WaveLimiterHint : 1
; COMPUTE_PGM_RSRC2:SCRATCH_EN: 0
; COMPUTE_PGM_RSRC2:USER_SGPR: 6
; COMPUTE_PGM_RSRC2:TRAP_HANDLER: 0
; COMPUTE_PGM_RSRC2:TGID_X_EN: 1
; COMPUTE_PGM_RSRC2:TGID_Y_EN: 1
; COMPUTE_PGM_RSRC2:TGID_Z_EN: 1
; COMPUTE_PGM_RSRC2:TIDIG_COMP_CNT: 1
	.section	.text._ZL29rocblas_internal_gemmt_kernelIiLi16ELi32ELi8ELc67ELc84ELc76ELb0ELb0EdPKdPKS1_PKPdEviT_T9_T10_S7_lS9_S7_lS8_T11_S7_li,"axG",@progbits,_ZL29rocblas_internal_gemmt_kernelIiLi16ELi32ELi8ELc67ELc84ELc76ELb0ELb0EdPKdPKS1_PKPdEviT_T9_T10_S7_lS9_S7_lS8_T11_S7_li,comdat
	.globl	_ZL29rocblas_internal_gemmt_kernelIiLi16ELi32ELi8ELc67ELc84ELc76ELb0ELb0EdPKdPKS1_PKPdEviT_T9_T10_S7_lS9_S7_lS8_T11_S7_li ; -- Begin function _ZL29rocblas_internal_gemmt_kernelIiLi16ELi32ELi8ELc67ELc84ELc76ELb0ELb0EdPKdPKS1_PKPdEviT_T9_T10_S7_lS9_S7_lS8_T11_S7_li
	.p2align	8
	.type	_ZL29rocblas_internal_gemmt_kernelIiLi16ELi32ELi8ELc67ELc84ELc76ELb0ELb0EdPKdPKS1_PKPdEviT_T9_T10_S7_lS9_S7_lS8_T11_S7_li,@function
_ZL29rocblas_internal_gemmt_kernelIiLi16ELi32ELi8ELc67ELc84ELc76ELb0ELb0EdPKdPKS1_PKPdEviT_T9_T10_S7_lS9_S7_lS8_T11_S7_li: ; @_ZL29rocblas_internal_gemmt_kernelIiLi16ELi32ELi8ELc67ELc84ELc76ELb0ELb0EdPKdPKS1_PKPdEviT_T9_T10_S7_lS9_S7_lS8_T11_S7_li
; %bb.0:
	s_load_dwordx4 s[12:15], s[4:5], 0x38
	s_waitcnt lgkmcnt(0)
	s_load_dwordx2 s[10:11], s[14:15], 0x0
	s_clause 0x1
	s_load_dwordx4 s[0:3], s[4:5], 0x8
	s_load_dwordx2 s[20:21], s[4:5], 0x0
	s_waitcnt lgkmcnt(0)
	s_load_dwordx2 s[14:15], s[0:1], 0x0
	v_cmp_neq_f64_e64 s9, s[10:11], 1.0
	s_and_b32 vcc_lo, exec_lo, s9
	s_cbranch_vccnz .LBB340_2
; %bb.1:
	s_waitcnt lgkmcnt(0)
	v_cmp_neq_f64_e64 s0, s[14:15], 0
	s_cmp_lg_u32 s21, 0
	s_cselect_b32 s1, -1, 0
	s_and_b32 s9, s1, s0
.LBB340_2:
	s_andn2_b32 vcc_lo, exec_lo, s9
	s_cbranch_vccnz .LBB340_26
; %bb.3:
	s_load_dwordx2 s[0:1], s[4:5], 0x48
	s_mov_b32 s9, 0
	s_waitcnt lgkmcnt(0)
	v_cmp_eq_f64_e64 s16, s[14:15], 0
	s_lshl_b64 s[24:25], s[8:9], 3
	v_mov_b32_e32 v12, 0
	v_mov_b32_e32 v6, 0
	;; [unrolled: 1-line block ×8, first 2 shown]
	s_add_u32 s0, s0, s24
	s_addc_u32 s1, s1, s25
	s_lshl_b32 s8, s6, 5
	s_load_dwordx2 s[22:23], s[0:1], 0x0
	s_lshl_b32 s26, s7, 5
	s_cmp_lt_i32 s21, 1
	s_cselect_b32 s0, -1, 0
	s_or_b32 s0, s16, s0
	s_and_b32 vcc_lo, exec_lo, s0
	s_cbranch_vccnz .LBB340_10
; %bb.4:
	s_clause 0x2
	s_load_dword s6, s[4:5], 0x30
	s_load_dword s1, s[4:5], 0x18
	s_load_dwordx4 s[16:19], s[4:5], 0x20
	v_lshl_add_u32 v2, v1, 4, v0
	v_and_b32_e32 v18, 7, v0
	v_mov_b32_e32 v12, 0
	v_lshlrev_b32_e32 v22, 3, v0
	v_lshl_add_u32 v23, v1, 6, 0x800
	v_and_b32_e32 v3, 31, v2
	v_lshrrev_b32_e32 v4, 3, v2
	v_lshlrev_b32_e32 v5, 3, v18
	v_lshrrev_b32_e32 v19, 5, v2
	v_mov_b32_e32 v13, 0
	v_or_b32_e32 v6, s8, v3
	v_lshlrev_b32_e32 v7, 3, v3
	v_add_nc_u32_e32 v2, s26, v4
	v_lshl_or_b32 v4, v4, 6, v5
	v_add_nc_u32_e32 v3, s8, v3
	v_cmp_gt_i32_e32 vcc_lo, s20, v6
	v_lshl_or_b32 v20, v19, 8, v7
	v_lshlrev_b32_e32 v8, 3, v19
	v_add_nc_u32_e32 v21, 0x800, v4
	s_waitcnt lgkmcnt(0)
	s_ashr_i32 s7, s6, 31
	v_mad_i64_i32 v[4:5], null, s1, v3, 0
	s_add_u32 s18, s18, s24
	s_addc_u32 s19, s19, s25
	s_add_u32 s2, s2, s24
	s_addc_u32 s3, s3, s25
	s_load_dwordx2 s[18:19], s[18:19], 0x0
	s_load_dwordx2 s[2:3], s[2:3], 0x0
	v_mad_i64_i32 v[6:7], null, s6, v18, 0
	v_lshlrev_b64 v[4:5], 3, v[4:5]
	s_lshl_b64 s[16:17], s[16:17], 3
	v_ashrrev_i32_e32 v3, 31, v2
	s_lshl_b64 s[12:13], s[12:13], 3
	v_cmp_gt_i32_e64 s0, s20, v2
	v_add_co_u32 v9, s1, v4, s16
	v_add_co_ci_u32_e64 v10, null, s17, v5, s1
	v_lshlrev_b64 v[4:5], 3, v[6:7]
	v_add_co_u32 v6, s1, v9, v8
	v_lshlrev_b64 v[2:3], 3, v[2:3]
	v_add_co_ci_u32_e64 v7, null, 0, v10, s1
	v_add_co_u32 v4, s1, v4, s12
	v_add_co_ci_u32_e64 v5, null, s13, v5, s1
	s_waitcnt lgkmcnt(0)
	v_add_co_u32 v8, s1, s2, v6
	v_add_co_ci_u32_e64 v9, null, s3, v7, s1
	v_add_co_u32 v10, s1, v4, v2
	v_add_co_ci_u32_e64 v11, null, v5, v3, s1
	v_mov_b32_e32 v2, 0
	v_add_co_u32 v10, s1, s18, v10
	v_mov_b32_e32 v4, 0
	v_mov_b32_e32 v6, 0
	;; [unrolled: 1-line block ×5, first 2 shown]
	v_add_co_ci_u32_e64 v11, null, s19, v11, s1
	s_lshl_b64 s[2:3], s[6:7], 6
	s_branch .LBB340_6
.LBB340_5:                              ;   in Loop: Header=BB340_6 Depth=1
	s_or_b32 exec_lo, exec_lo, s1
	s_waitcnt vmcnt(0) lgkmcnt(0)
	ds_write_b64 v21, v[16:17]
	s_waitcnt lgkmcnt(0)
	s_barrier
	buffer_gl0_inv
	ds_read_b128 v[14:17], v23
	ds_read2_b64 v[24:27], v22 offset1:16
	ds_read_b128 v[28:31], v23 offset:1024
	ds_read_b128 v[32:35], v23 offset:16
	ds_read2_b64 v[36:39], v22 offset0:32 offset1:48
	ds_read_b128 v[40:43], v23 offset:1040
	v_add_co_u32 v8, s1, v8, 64
	v_add_co_ci_u32_e64 v9, null, 0, v9, s1
	v_add_co_u32 v10, s1, v10, s2
	v_add_co_ci_u32_e64 v11, null, s3, v11, s1
	s_add_i32 s9, s9, 8
	s_cmp_lt_i32 s9, s21
	s_waitcnt lgkmcnt(4)
	v_fma_f64 v[12:13], v[24:25], v[14:15], v[12:13]
	v_fma_f64 v[6:7], v[26:27], v[14:15], v[6:7]
	s_waitcnt lgkmcnt(3)
	v_fma_f64 v[14:15], v[24:25], v[28:29], v[4:5]
	v_fma_f64 v[24:25], v[26:27], v[28:29], v[2:3]
	ds_read2_b64 v[2:5], v22 offset0:64 offset1:80
	s_waitcnt lgkmcnt(2)
	v_fma_f64 v[26:27], v[36:37], v[16:17], v[12:13]
	v_fma_f64 v[6:7], v[38:39], v[16:17], v[6:7]
	;; [unrolled: 1-line block ×4, first 2 shown]
	ds_read2_b64 v[12:15], v22 offset0:96 offset1:112
	s_waitcnt lgkmcnt(1)
	v_fma_f64 v[28:29], v[2:3], v[32:33], v[26:27]
	v_fma_f64 v[6:7], v[4:5], v[32:33], v[6:7]
	;; [unrolled: 1-line block ×4, first 2 shown]
	ds_read_b128 v[2:5], v23 offset:32
	ds_read2_b64 v[24:27], v22 offset0:128 offset1:144
	s_waitcnt lgkmcnt(2)
	v_fma_f64 v[40:41], v[12:13], v[34:35], v[28:29]
	v_fma_f64 v[6:7], v[14:15], v[34:35], v[6:7]
	v_fma_f64 v[16:17], v[12:13], v[42:43], v[16:17]
	v_fma_f64 v[42:43], v[14:15], v[42:43], v[30:31]
	ds_read_b128 v[12:15], v23 offset:1056
	ds_read_b128 v[28:31], v23 offset:48
	ds_read2_b64 v[32:35], v22 offset0:160 offset1:176
	ds_read_b128 v[36:39], v23 offset:1072
	s_waitcnt lgkmcnt(4)
	v_fma_f64 v[40:41], v[24:25], v[2:3], v[40:41]
	v_fma_f64 v[2:3], v[26:27], v[2:3], v[6:7]
	s_waitcnt lgkmcnt(3)
	v_fma_f64 v[6:7], v[24:25], v[12:13], v[16:17]
	v_fma_f64 v[12:13], v[26:27], v[12:13], v[42:43]
	ds_read2_b64 v[24:27], v22 offset0:192 offset1:208
	s_waitcnt lgkmcnt(2)
	v_fma_f64 v[40:41], v[32:33], v[4:5], v[40:41]
	v_fma_f64 v[2:3], v[34:35], v[4:5], v[2:3]
	;; [unrolled: 1-line block ×4, first 2 shown]
	ds_read2_b64 v[14:17], v22 offset0:224 offset1:240
	s_waitcnt lgkmcnt(0)
	s_barrier
	buffer_gl0_inv
	v_fma_f64 v[12:13], v[24:25], v[28:29], v[40:41]
	v_fma_f64 v[2:3], v[26:27], v[28:29], v[2:3]
	;; [unrolled: 1-line block ×8, first 2 shown]
	s_cbranch_scc0 .LBB340_10
.LBB340_6:                              ; =>This Inner Loop Header: Depth=1
	v_add_nc_u32_e32 v14, s9, v19
	v_cmp_gt_i32_e64 s1, s21, v14
	v_mov_b32_e32 v14, 0
	v_mov_b32_e32 v15, 0
	s_and_b32 s6, vcc_lo, s1
	s_and_saveexec_b32 s1, s6
	s_cbranch_execz .LBB340_8
; %bb.7:                                ;   in Loop: Header=BB340_6 Depth=1
	flat_load_dwordx2 v[14:15], v[8:9]
.LBB340_8:                              ;   in Loop: Header=BB340_6 Depth=1
	s_or_b32 exec_lo, exec_lo, s1
	v_add_nc_u32_e32 v16, s9, v18
	s_waitcnt vmcnt(0) lgkmcnt(0)
	ds_write_b64 v20, v[14:15]
	v_cmp_gt_i32_e64 s1, s21, v16
	v_mov_b32_e32 v16, 0
	v_mov_b32_e32 v17, 0
	s_and_b32 s6, s1, s0
	s_and_saveexec_b32 s1, s6
	s_cbranch_execz .LBB340_5
; %bb.9:                                ;   in Loop: Header=BB340_6 Depth=1
	flat_load_dwordx2 v[16:17], v[10:11]
	s_branch .LBB340_5
.LBB340_10:
	s_clause 0x1
	s_load_dword s3, s[4:5], 0x50
	s_load_dwordx2 s[4:5], s[4:5], 0x58
	v_cmp_neq_f64_e64 s2, s[10:11], 0
	v_add_nc_u32_e32 v15, s26, v1
	v_add_nc_u32_e32 v0, s8, v0
	v_cmp_le_i32_e32 vcc_lo, v15, v0
	v_cmp_gt_i32_e64 s0, s20, v0
	v_ashrrev_i32_e32 v1, 31, v0
	s_waitcnt lgkmcnt(0)
	v_mad_i64_i32 v[8:9], null, v15, s3, 0
	s_lshl_b64 s[4:5], s[4:5], 3
	s_add_u32 s4, s22, s4
	s_addc_u32 s5, s23, s5
	v_cndmask_b32_e64 v14, 0, 1, s2
	s_and_b32 s6, vcc_lo, s0
	v_lshlrev_b64 v[8:9], 3, v[8:9]
	v_add_co_u32 v16, s1, s4, v8
	v_add_co_ci_u32_e64 v17, null, s5, v9, s1
	s_and_saveexec_b32 s1, s6
	s_cbranch_execz .LBB340_14
; %bb.11:
	v_mul_f64 v[8:9], s[14:15], v[12:13]
	v_lshlrev_b64 v[10:11], 3, v[0:1]
	v_add_co_u32 v10, vcc_lo, v16, v10
	v_add_co_ci_u32_e64 v11, null, v17, v11, vcc_lo
	s_andn2_b32 vcc_lo, exec_lo, s2
	s_cbranch_vccnz .LBB340_13
; %bb.12:
	flat_load_dwordx2 v[12:13], v[10:11]
	s_waitcnt vmcnt(0) lgkmcnt(0)
	v_fma_f64 v[8:9], s[10:11], v[12:13], v[8:9]
.LBB340_13:
	flat_store_dwordx2 v[10:11], v[8:9]
.LBB340_14:
	s_or_b32 exec_lo, exec_lo, s1
	v_add_nc_u32_e32 v8, 16, v0
	v_cmp_le_i32_e32 vcc_lo, v15, v8
	v_cmp_gt_i32_e64 s1, s20, v8
	v_ashrrev_i32_e32 v9, 31, v8
	s_and_b32 s2, vcc_lo, s1
	s_and_saveexec_b32 s6, s2
	s_cbranch_execz .LBB340_18
; %bb.15:
	v_mul_f64 v[6:7], s[14:15], v[6:7]
	v_lshlrev_b64 v[10:11], 3, v[8:9]
	v_cmp_ne_u32_e32 vcc_lo, 1, v14
	v_add_co_u32 v10, s2, v16, v10
	v_add_co_ci_u32_e64 v11, null, v17, v11, s2
	s_cbranch_vccnz .LBB340_17
; %bb.16:
	flat_load_dwordx2 v[12:13], v[10:11]
	s_waitcnt vmcnt(0) lgkmcnt(0)
	v_fma_f64 v[6:7], s[10:11], v[12:13], v[6:7]
.LBB340_17:
	flat_store_dwordx2 v[10:11], v[6:7]
.LBB340_18:
	s_or_b32 exec_lo, exec_lo, s6
	v_add_nc_u32_e32 v10, 16, v15
	v_mad_i64_i32 v[6:7], null, v10, s3, 0
	v_cmp_le_i32_e32 vcc_lo, v10, v0
	s_and_b32 s0, vcc_lo, s0
	v_lshlrev_b64 v[6:7], 3, v[6:7]
	v_add_co_u32 v6, s2, s4, v6
	v_add_co_ci_u32_e64 v7, null, s5, v7, s2
	s_and_saveexec_b32 s2, s0
	s_cbranch_execz .LBB340_22
; %bb.19:
	v_mul_f64 v[4:5], s[14:15], v[4:5]
	v_lshlrev_b64 v[0:1], 3, v[0:1]
	v_cmp_ne_u32_e32 vcc_lo, 1, v14
	v_add_co_u32 v0, s0, v6, v0
	v_add_co_ci_u32_e64 v1, null, v7, v1, s0
	s_cbranch_vccnz .LBB340_21
; %bb.20:
	flat_load_dwordx2 v[11:12], v[0:1]
	s_waitcnt vmcnt(0) lgkmcnt(0)
	v_fma_f64 v[4:5], s[10:11], v[11:12], v[4:5]
.LBB340_21:
	flat_store_dwordx2 v[0:1], v[4:5]
.LBB340_22:
	s_or_b32 exec_lo, exec_lo, s2
	v_cmp_le_i32_e32 vcc_lo, v10, v8
	s_and_b32 s0, vcc_lo, s1
	s_and_saveexec_b32 s1, s0
	s_cbranch_execz .LBB340_26
; %bb.23:
	v_mul_f64 v[0:1], s[14:15], v[2:3]
	v_lshlrev_b64 v[2:3], 3, v[8:9]
	v_cmp_ne_u32_e32 vcc_lo, 1, v14
	v_add_co_u32 v2, s0, v6, v2
	v_add_co_ci_u32_e64 v3, null, v7, v3, s0
	s_cbranch_vccnz .LBB340_25
; %bb.24:
	flat_load_dwordx2 v[4:5], v[2:3]
	s_waitcnt vmcnt(0) lgkmcnt(0)
	v_fma_f64 v[0:1], s[10:11], v[4:5], v[0:1]
.LBB340_25:
	flat_store_dwordx2 v[2:3], v[0:1]
.LBB340_26:
	s_endpgm
	.section	.rodata,"a",@progbits
	.p2align	6, 0x0
	.amdhsa_kernel _ZL29rocblas_internal_gemmt_kernelIiLi16ELi32ELi8ELc67ELc84ELc76ELb0ELb0EdPKdPKS1_PKPdEviT_T9_T10_S7_lS9_S7_lS8_T11_S7_li
		.amdhsa_group_segment_fixed_size 4096
		.amdhsa_private_segment_fixed_size 0
		.amdhsa_kernarg_size 100
		.amdhsa_user_sgpr_count 6
		.amdhsa_user_sgpr_private_segment_buffer 1
		.amdhsa_user_sgpr_dispatch_ptr 0
		.amdhsa_user_sgpr_queue_ptr 0
		.amdhsa_user_sgpr_kernarg_segment_ptr 1
		.amdhsa_user_sgpr_dispatch_id 0
		.amdhsa_user_sgpr_flat_scratch_init 0
		.amdhsa_user_sgpr_private_segment_size 0
		.amdhsa_wavefront_size32 1
		.amdhsa_uses_dynamic_stack 0
		.amdhsa_system_sgpr_private_segment_wavefront_offset 0
		.amdhsa_system_sgpr_workgroup_id_x 1
		.amdhsa_system_sgpr_workgroup_id_y 1
		.amdhsa_system_sgpr_workgroup_id_z 1
		.amdhsa_system_sgpr_workgroup_info 0
		.amdhsa_system_vgpr_workitem_id 1
		.amdhsa_next_free_vgpr 44
		.amdhsa_next_free_sgpr 27
		.amdhsa_reserve_vcc 1
		.amdhsa_reserve_flat_scratch 0
		.amdhsa_float_round_mode_32 0
		.amdhsa_float_round_mode_16_64 0
		.amdhsa_float_denorm_mode_32 3
		.amdhsa_float_denorm_mode_16_64 3
		.amdhsa_dx10_clamp 1
		.amdhsa_ieee_mode 1
		.amdhsa_fp16_overflow 0
		.amdhsa_workgroup_processor_mode 1
		.amdhsa_memory_ordered 1
		.amdhsa_forward_progress 1
		.amdhsa_shared_vgpr_count 0
		.amdhsa_exception_fp_ieee_invalid_op 0
		.amdhsa_exception_fp_denorm_src 0
		.amdhsa_exception_fp_ieee_div_zero 0
		.amdhsa_exception_fp_ieee_overflow 0
		.amdhsa_exception_fp_ieee_underflow 0
		.amdhsa_exception_fp_ieee_inexact 0
		.amdhsa_exception_int_div_zero 0
	.end_amdhsa_kernel
	.section	.text._ZL29rocblas_internal_gemmt_kernelIiLi16ELi32ELi8ELc67ELc84ELc76ELb0ELb0EdPKdPKS1_PKPdEviT_T9_T10_S7_lS9_S7_lS8_T11_S7_li,"axG",@progbits,_ZL29rocblas_internal_gemmt_kernelIiLi16ELi32ELi8ELc67ELc84ELc76ELb0ELb0EdPKdPKS1_PKPdEviT_T9_T10_S7_lS9_S7_lS8_T11_S7_li,comdat
.Lfunc_end340:
	.size	_ZL29rocblas_internal_gemmt_kernelIiLi16ELi32ELi8ELc67ELc84ELc76ELb0ELb0EdPKdPKS1_PKPdEviT_T9_T10_S7_lS9_S7_lS8_T11_S7_li, .Lfunc_end340-_ZL29rocblas_internal_gemmt_kernelIiLi16ELi32ELi8ELc67ELc84ELc76ELb0ELb0EdPKdPKS1_PKPdEviT_T9_T10_S7_lS9_S7_lS8_T11_S7_li
                                        ; -- End function
	.set _ZL29rocblas_internal_gemmt_kernelIiLi16ELi32ELi8ELc67ELc84ELc76ELb0ELb0EdPKdPKS1_PKPdEviT_T9_T10_S7_lS9_S7_lS8_T11_S7_li.num_vgpr, 44
	.set _ZL29rocblas_internal_gemmt_kernelIiLi16ELi32ELi8ELc67ELc84ELc76ELb0ELb0EdPKdPKS1_PKPdEviT_T9_T10_S7_lS9_S7_lS8_T11_S7_li.num_agpr, 0
	.set _ZL29rocblas_internal_gemmt_kernelIiLi16ELi32ELi8ELc67ELc84ELc76ELb0ELb0EdPKdPKS1_PKPdEviT_T9_T10_S7_lS9_S7_lS8_T11_S7_li.numbered_sgpr, 27
	.set _ZL29rocblas_internal_gemmt_kernelIiLi16ELi32ELi8ELc67ELc84ELc76ELb0ELb0EdPKdPKS1_PKPdEviT_T9_T10_S7_lS9_S7_lS8_T11_S7_li.num_named_barrier, 0
	.set _ZL29rocblas_internal_gemmt_kernelIiLi16ELi32ELi8ELc67ELc84ELc76ELb0ELb0EdPKdPKS1_PKPdEviT_T9_T10_S7_lS9_S7_lS8_T11_S7_li.private_seg_size, 0
	.set _ZL29rocblas_internal_gemmt_kernelIiLi16ELi32ELi8ELc67ELc84ELc76ELb0ELb0EdPKdPKS1_PKPdEviT_T9_T10_S7_lS9_S7_lS8_T11_S7_li.uses_vcc, 1
	.set _ZL29rocblas_internal_gemmt_kernelIiLi16ELi32ELi8ELc67ELc84ELc76ELb0ELb0EdPKdPKS1_PKPdEviT_T9_T10_S7_lS9_S7_lS8_T11_S7_li.uses_flat_scratch, 0
	.set _ZL29rocblas_internal_gemmt_kernelIiLi16ELi32ELi8ELc67ELc84ELc76ELb0ELb0EdPKdPKS1_PKPdEviT_T9_T10_S7_lS9_S7_lS8_T11_S7_li.has_dyn_sized_stack, 0
	.set _ZL29rocblas_internal_gemmt_kernelIiLi16ELi32ELi8ELc67ELc84ELc76ELb0ELb0EdPKdPKS1_PKPdEviT_T9_T10_S7_lS9_S7_lS8_T11_S7_li.has_recursion, 0
	.set _ZL29rocblas_internal_gemmt_kernelIiLi16ELi32ELi8ELc67ELc84ELc76ELb0ELb0EdPKdPKS1_PKPdEviT_T9_T10_S7_lS9_S7_lS8_T11_S7_li.has_indirect_call, 0
	.section	.AMDGPU.csdata,"",@progbits
; Kernel info:
; codeLenInByte = 1680
; TotalNumSgprs: 29
; NumVgprs: 44
; ScratchSize: 0
; MemoryBound: 0
; FloatMode: 240
; IeeeMode: 1
; LDSByteSize: 4096 bytes/workgroup (compile time only)
; SGPRBlocks: 0
; VGPRBlocks: 5
; NumSGPRsForWavesPerEU: 29
; NumVGPRsForWavesPerEU: 44
; Occupancy: 16
; WaveLimiterHint : 1
; COMPUTE_PGM_RSRC2:SCRATCH_EN: 0
; COMPUTE_PGM_RSRC2:USER_SGPR: 6
; COMPUTE_PGM_RSRC2:TRAP_HANDLER: 0
; COMPUTE_PGM_RSRC2:TGID_X_EN: 1
; COMPUTE_PGM_RSRC2:TGID_Y_EN: 1
; COMPUTE_PGM_RSRC2:TGID_Z_EN: 1
; COMPUTE_PGM_RSRC2:TIDIG_COMP_CNT: 1
	.section	.text._ZL29rocblas_internal_gemmt_kernelIiLi16ELi32ELi8ELc67ELc67ELc76ELb0ELb0EdPKdPKS1_PKPdEviT_T9_T10_S7_lS9_S7_lS8_T11_S7_li,"axG",@progbits,_ZL29rocblas_internal_gemmt_kernelIiLi16ELi32ELi8ELc67ELc67ELc76ELb0ELb0EdPKdPKS1_PKPdEviT_T9_T10_S7_lS9_S7_lS8_T11_S7_li,comdat
	.globl	_ZL29rocblas_internal_gemmt_kernelIiLi16ELi32ELi8ELc67ELc67ELc76ELb0ELb0EdPKdPKS1_PKPdEviT_T9_T10_S7_lS9_S7_lS8_T11_S7_li ; -- Begin function _ZL29rocblas_internal_gemmt_kernelIiLi16ELi32ELi8ELc67ELc67ELc76ELb0ELb0EdPKdPKS1_PKPdEviT_T9_T10_S7_lS9_S7_lS8_T11_S7_li
	.p2align	8
	.type	_ZL29rocblas_internal_gemmt_kernelIiLi16ELi32ELi8ELc67ELc67ELc76ELb0ELb0EdPKdPKS1_PKPdEviT_T9_T10_S7_lS9_S7_lS8_T11_S7_li,@function
_ZL29rocblas_internal_gemmt_kernelIiLi16ELi32ELi8ELc67ELc67ELc76ELb0ELb0EdPKdPKS1_PKPdEviT_T9_T10_S7_lS9_S7_lS8_T11_S7_li: ; @_ZL29rocblas_internal_gemmt_kernelIiLi16ELi32ELi8ELc67ELc67ELc76ELb0ELb0EdPKdPKS1_PKPdEviT_T9_T10_S7_lS9_S7_lS8_T11_S7_li
; %bb.0:
	s_load_dwordx4 s[12:15], s[4:5], 0x38
	s_waitcnt lgkmcnt(0)
	s_load_dwordx2 s[10:11], s[14:15], 0x0
	s_clause 0x1
	s_load_dwordx4 s[0:3], s[4:5], 0x8
	s_load_dwordx2 s[20:21], s[4:5], 0x0
	s_waitcnt lgkmcnt(0)
	s_load_dwordx2 s[14:15], s[0:1], 0x0
	v_cmp_neq_f64_e64 s9, s[10:11], 1.0
	s_and_b32 vcc_lo, exec_lo, s9
	s_cbranch_vccnz .LBB341_2
; %bb.1:
	s_waitcnt lgkmcnt(0)
	v_cmp_neq_f64_e64 s0, s[14:15], 0
	s_cmp_lg_u32 s21, 0
	s_cselect_b32 s1, -1, 0
	s_and_b32 s9, s1, s0
.LBB341_2:
	s_andn2_b32 vcc_lo, exec_lo, s9
	s_cbranch_vccnz .LBB341_26
; %bb.3:
	s_load_dwordx2 s[0:1], s[4:5], 0x48
	s_mov_b32 s9, 0
	s_waitcnt lgkmcnt(0)
	v_cmp_eq_f64_e64 s16, s[14:15], 0
	s_lshl_b64 s[24:25], s[8:9], 3
	v_mov_b32_e32 v12, 0
	v_mov_b32_e32 v6, 0
	;; [unrolled: 1-line block ×8, first 2 shown]
	s_add_u32 s0, s0, s24
	s_addc_u32 s1, s1, s25
	s_lshl_b32 s8, s6, 5
	s_load_dwordx2 s[22:23], s[0:1], 0x0
	s_lshl_b32 s26, s7, 5
	s_cmp_lt_i32 s21, 1
	s_cselect_b32 s0, -1, 0
	s_or_b32 s0, s16, s0
	s_and_b32 vcc_lo, exec_lo, s0
	s_cbranch_vccnz .LBB341_10
; %bb.4:
	s_clause 0x2
	s_load_dword s6, s[4:5], 0x30
	s_load_dword s1, s[4:5], 0x18
	s_load_dwordx4 s[16:19], s[4:5], 0x20
	v_lshl_add_u32 v2, v1, 4, v0
	v_and_b32_e32 v18, 7, v0
	v_mov_b32_e32 v12, 0
	v_lshlrev_b32_e32 v22, 3, v0
	v_lshl_add_u32 v23, v1, 6, 0x800
	v_and_b32_e32 v3, 31, v2
	v_lshrrev_b32_e32 v4, 3, v2
	v_lshlrev_b32_e32 v5, 3, v18
	v_lshrrev_b32_e32 v19, 5, v2
	v_mov_b32_e32 v13, 0
	v_or_b32_e32 v6, s8, v3
	v_lshlrev_b32_e32 v7, 3, v3
	v_add_nc_u32_e32 v2, s26, v4
	v_lshl_or_b32 v4, v4, 6, v5
	v_add_nc_u32_e32 v3, s8, v3
	v_cmp_gt_i32_e32 vcc_lo, s20, v6
	v_lshl_or_b32 v20, v19, 8, v7
	v_lshlrev_b32_e32 v8, 3, v19
	v_add_nc_u32_e32 v21, 0x800, v4
	s_waitcnt lgkmcnt(0)
	s_ashr_i32 s7, s6, 31
	v_mad_i64_i32 v[4:5], null, s1, v3, 0
	s_add_u32 s18, s18, s24
	s_addc_u32 s19, s19, s25
	s_add_u32 s2, s2, s24
	s_addc_u32 s3, s3, s25
	s_load_dwordx2 s[18:19], s[18:19], 0x0
	s_load_dwordx2 s[2:3], s[2:3], 0x0
	v_mad_i64_i32 v[6:7], null, s6, v18, 0
	v_lshlrev_b64 v[4:5], 3, v[4:5]
	s_lshl_b64 s[16:17], s[16:17], 3
	v_ashrrev_i32_e32 v3, 31, v2
	s_lshl_b64 s[12:13], s[12:13], 3
	v_cmp_gt_i32_e64 s0, s20, v2
	v_add_co_u32 v9, s1, v4, s16
	v_add_co_ci_u32_e64 v10, null, s17, v5, s1
	v_lshlrev_b64 v[4:5], 3, v[6:7]
	v_add_co_u32 v6, s1, v9, v8
	v_lshlrev_b64 v[2:3], 3, v[2:3]
	v_add_co_ci_u32_e64 v7, null, 0, v10, s1
	v_add_co_u32 v4, s1, v4, s12
	v_add_co_ci_u32_e64 v5, null, s13, v5, s1
	s_waitcnt lgkmcnt(0)
	v_add_co_u32 v8, s1, s2, v6
	v_add_co_ci_u32_e64 v9, null, s3, v7, s1
	v_add_co_u32 v10, s1, v4, v2
	v_add_co_ci_u32_e64 v11, null, v5, v3, s1
	v_mov_b32_e32 v2, 0
	v_add_co_u32 v10, s1, s18, v10
	v_mov_b32_e32 v4, 0
	v_mov_b32_e32 v6, 0
	;; [unrolled: 1-line block ×5, first 2 shown]
	v_add_co_ci_u32_e64 v11, null, s19, v11, s1
	s_lshl_b64 s[2:3], s[6:7], 6
	s_branch .LBB341_6
.LBB341_5:                              ;   in Loop: Header=BB341_6 Depth=1
	s_or_b32 exec_lo, exec_lo, s1
	s_waitcnt vmcnt(0) lgkmcnt(0)
	ds_write_b64 v21, v[16:17]
	s_waitcnt lgkmcnt(0)
	s_barrier
	buffer_gl0_inv
	ds_read_b128 v[14:17], v23
	ds_read2_b64 v[24:27], v22 offset1:16
	ds_read_b128 v[28:31], v23 offset:1024
	ds_read_b128 v[32:35], v23 offset:16
	ds_read2_b64 v[36:39], v22 offset0:32 offset1:48
	ds_read_b128 v[40:43], v23 offset:1040
	v_add_co_u32 v8, s1, v8, 64
	v_add_co_ci_u32_e64 v9, null, 0, v9, s1
	v_add_co_u32 v10, s1, v10, s2
	v_add_co_ci_u32_e64 v11, null, s3, v11, s1
	s_add_i32 s9, s9, 8
	s_cmp_lt_i32 s9, s21
	s_waitcnt lgkmcnt(4)
	v_fma_f64 v[12:13], v[24:25], v[14:15], v[12:13]
	v_fma_f64 v[6:7], v[26:27], v[14:15], v[6:7]
	s_waitcnt lgkmcnt(3)
	v_fma_f64 v[14:15], v[24:25], v[28:29], v[4:5]
	v_fma_f64 v[24:25], v[26:27], v[28:29], v[2:3]
	ds_read2_b64 v[2:5], v22 offset0:64 offset1:80
	s_waitcnt lgkmcnt(2)
	v_fma_f64 v[26:27], v[36:37], v[16:17], v[12:13]
	v_fma_f64 v[6:7], v[38:39], v[16:17], v[6:7]
	;; [unrolled: 1-line block ×4, first 2 shown]
	ds_read2_b64 v[12:15], v22 offset0:96 offset1:112
	s_waitcnt lgkmcnt(1)
	v_fma_f64 v[28:29], v[2:3], v[32:33], v[26:27]
	v_fma_f64 v[6:7], v[4:5], v[32:33], v[6:7]
	v_fma_f64 v[16:17], v[2:3], v[40:41], v[16:17]
	v_fma_f64 v[30:31], v[4:5], v[40:41], v[24:25]
	ds_read_b128 v[2:5], v23 offset:32
	ds_read2_b64 v[24:27], v22 offset0:128 offset1:144
	s_waitcnt lgkmcnt(2)
	v_fma_f64 v[40:41], v[12:13], v[34:35], v[28:29]
	v_fma_f64 v[6:7], v[14:15], v[34:35], v[6:7]
	;; [unrolled: 1-line block ×4, first 2 shown]
	ds_read_b128 v[12:15], v23 offset:1056
	ds_read_b128 v[28:31], v23 offset:48
	ds_read2_b64 v[32:35], v22 offset0:160 offset1:176
	ds_read_b128 v[36:39], v23 offset:1072
	s_waitcnt lgkmcnt(4)
	v_fma_f64 v[40:41], v[24:25], v[2:3], v[40:41]
	v_fma_f64 v[2:3], v[26:27], v[2:3], v[6:7]
	s_waitcnt lgkmcnt(3)
	v_fma_f64 v[6:7], v[24:25], v[12:13], v[16:17]
	v_fma_f64 v[12:13], v[26:27], v[12:13], v[42:43]
	ds_read2_b64 v[24:27], v22 offset0:192 offset1:208
	s_waitcnt lgkmcnt(2)
	v_fma_f64 v[40:41], v[32:33], v[4:5], v[40:41]
	v_fma_f64 v[2:3], v[34:35], v[4:5], v[2:3]
	;; [unrolled: 1-line block ×4, first 2 shown]
	ds_read2_b64 v[14:17], v22 offset0:224 offset1:240
	s_waitcnt lgkmcnt(0)
	s_barrier
	buffer_gl0_inv
	v_fma_f64 v[12:13], v[24:25], v[28:29], v[40:41]
	v_fma_f64 v[2:3], v[26:27], v[28:29], v[2:3]
	v_fma_f64 v[4:5], v[24:25], v[36:37], v[4:5]
	v_fma_f64 v[24:25], v[26:27], v[36:37], v[6:7]
	v_fma_f64 v[12:13], v[14:15], v[30:31], v[12:13]
	v_fma_f64 v[6:7], v[16:17], v[30:31], v[2:3]
	v_fma_f64 v[4:5], v[14:15], v[38:39], v[4:5]
	v_fma_f64 v[2:3], v[16:17], v[38:39], v[24:25]
	s_cbranch_scc0 .LBB341_10
.LBB341_6:                              ; =>This Inner Loop Header: Depth=1
	v_add_nc_u32_e32 v14, s9, v19
	v_cmp_gt_i32_e64 s1, s21, v14
	v_mov_b32_e32 v14, 0
	v_mov_b32_e32 v15, 0
	s_and_b32 s6, vcc_lo, s1
	s_and_saveexec_b32 s1, s6
	s_cbranch_execz .LBB341_8
; %bb.7:                                ;   in Loop: Header=BB341_6 Depth=1
	flat_load_dwordx2 v[14:15], v[8:9]
.LBB341_8:                              ;   in Loop: Header=BB341_6 Depth=1
	s_or_b32 exec_lo, exec_lo, s1
	v_add_nc_u32_e32 v16, s9, v18
	s_waitcnt vmcnt(0) lgkmcnt(0)
	ds_write_b64 v20, v[14:15]
	v_cmp_gt_i32_e64 s1, s21, v16
	v_mov_b32_e32 v16, 0
	v_mov_b32_e32 v17, 0
	s_and_b32 s6, s1, s0
	s_and_saveexec_b32 s1, s6
	s_cbranch_execz .LBB341_5
; %bb.9:                                ;   in Loop: Header=BB341_6 Depth=1
	flat_load_dwordx2 v[16:17], v[10:11]
	s_branch .LBB341_5
.LBB341_10:
	s_clause 0x1
	s_load_dword s3, s[4:5], 0x50
	s_load_dwordx2 s[4:5], s[4:5], 0x58
	v_cmp_neq_f64_e64 s2, s[10:11], 0
	v_add_nc_u32_e32 v15, s26, v1
	v_add_nc_u32_e32 v0, s8, v0
	v_cmp_le_i32_e32 vcc_lo, v15, v0
	v_cmp_gt_i32_e64 s0, s20, v0
	v_ashrrev_i32_e32 v1, 31, v0
	s_waitcnt lgkmcnt(0)
	v_mad_i64_i32 v[8:9], null, v15, s3, 0
	s_lshl_b64 s[4:5], s[4:5], 3
	s_add_u32 s4, s22, s4
	s_addc_u32 s5, s23, s5
	v_cndmask_b32_e64 v14, 0, 1, s2
	s_and_b32 s6, vcc_lo, s0
	v_lshlrev_b64 v[8:9], 3, v[8:9]
	v_add_co_u32 v16, s1, s4, v8
	v_add_co_ci_u32_e64 v17, null, s5, v9, s1
	s_and_saveexec_b32 s1, s6
	s_cbranch_execz .LBB341_14
; %bb.11:
	v_mul_f64 v[8:9], s[14:15], v[12:13]
	v_lshlrev_b64 v[10:11], 3, v[0:1]
	v_add_co_u32 v10, vcc_lo, v16, v10
	v_add_co_ci_u32_e64 v11, null, v17, v11, vcc_lo
	s_andn2_b32 vcc_lo, exec_lo, s2
	s_cbranch_vccnz .LBB341_13
; %bb.12:
	flat_load_dwordx2 v[12:13], v[10:11]
	s_waitcnt vmcnt(0) lgkmcnt(0)
	v_fma_f64 v[8:9], s[10:11], v[12:13], v[8:9]
.LBB341_13:
	flat_store_dwordx2 v[10:11], v[8:9]
.LBB341_14:
	s_or_b32 exec_lo, exec_lo, s1
	v_add_nc_u32_e32 v8, 16, v0
	v_cmp_le_i32_e32 vcc_lo, v15, v8
	v_cmp_gt_i32_e64 s1, s20, v8
	v_ashrrev_i32_e32 v9, 31, v8
	s_and_b32 s2, vcc_lo, s1
	s_and_saveexec_b32 s6, s2
	s_cbranch_execz .LBB341_18
; %bb.15:
	v_mul_f64 v[6:7], s[14:15], v[6:7]
	v_lshlrev_b64 v[10:11], 3, v[8:9]
	v_cmp_ne_u32_e32 vcc_lo, 1, v14
	v_add_co_u32 v10, s2, v16, v10
	v_add_co_ci_u32_e64 v11, null, v17, v11, s2
	s_cbranch_vccnz .LBB341_17
; %bb.16:
	flat_load_dwordx2 v[12:13], v[10:11]
	s_waitcnt vmcnt(0) lgkmcnt(0)
	v_fma_f64 v[6:7], s[10:11], v[12:13], v[6:7]
.LBB341_17:
	flat_store_dwordx2 v[10:11], v[6:7]
.LBB341_18:
	s_or_b32 exec_lo, exec_lo, s6
	v_add_nc_u32_e32 v10, 16, v15
	v_mad_i64_i32 v[6:7], null, v10, s3, 0
	v_cmp_le_i32_e32 vcc_lo, v10, v0
	s_and_b32 s0, vcc_lo, s0
	v_lshlrev_b64 v[6:7], 3, v[6:7]
	v_add_co_u32 v6, s2, s4, v6
	v_add_co_ci_u32_e64 v7, null, s5, v7, s2
	s_and_saveexec_b32 s2, s0
	s_cbranch_execz .LBB341_22
; %bb.19:
	v_mul_f64 v[4:5], s[14:15], v[4:5]
	v_lshlrev_b64 v[0:1], 3, v[0:1]
	v_cmp_ne_u32_e32 vcc_lo, 1, v14
	v_add_co_u32 v0, s0, v6, v0
	v_add_co_ci_u32_e64 v1, null, v7, v1, s0
	s_cbranch_vccnz .LBB341_21
; %bb.20:
	flat_load_dwordx2 v[11:12], v[0:1]
	s_waitcnt vmcnt(0) lgkmcnt(0)
	v_fma_f64 v[4:5], s[10:11], v[11:12], v[4:5]
.LBB341_21:
	flat_store_dwordx2 v[0:1], v[4:5]
.LBB341_22:
	s_or_b32 exec_lo, exec_lo, s2
	v_cmp_le_i32_e32 vcc_lo, v10, v8
	s_and_b32 s0, vcc_lo, s1
	s_and_saveexec_b32 s1, s0
	s_cbranch_execz .LBB341_26
; %bb.23:
	v_mul_f64 v[0:1], s[14:15], v[2:3]
	v_lshlrev_b64 v[2:3], 3, v[8:9]
	v_cmp_ne_u32_e32 vcc_lo, 1, v14
	v_add_co_u32 v2, s0, v6, v2
	v_add_co_ci_u32_e64 v3, null, v7, v3, s0
	s_cbranch_vccnz .LBB341_25
; %bb.24:
	flat_load_dwordx2 v[4:5], v[2:3]
	s_waitcnt vmcnt(0) lgkmcnt(0)
	v_fma_f64 v[0:1], s[10:11], v[4:5], v[0:1]
.LBB341_25:
	flat_store_dwordx2 v[2:3], v[0:1]
.LBB341_26:
	s_endpgm
	.section	.rodata,"a",@progbits
	.p2align	6, 0x0
	.amdhsa_kernel _ZL29rocblas_internal_gemmt_kernelIiLi16ELi32ELi8ELc67ELc67ELc76ELb0ELb0EdPKdPKS1_PKPdEviT_T9_T10_S7_lS9_S7_lS8_T11_S7_li
		.amdhsa_group_segment_fixed_size 4096
		.amdhsa_private_segment_fixed_size 0
		.amdhsa_kernarg_size 100
		.amdhsa_user_sgpr_count 6
		.amdhsa_user_sgpr_private_segment_buffer 1
		.amdhsa_user_sgpr_dispatch_ptr 0
		.amdhsa_user_sgpr_queue_ptr 0
		.amdhsa_user_sgpr_kernarg_segment_ptr 1
		.amdhsa_user_sgpr_dispatch_id 0
		.amdhsa_user_sgpr_flat_scratch_init 0
		.amdhsa_user_sgpr_private_segment_size 0
		.amdhsa_wavefront_size32 1
		.amdhsa_uses_dynamic_stack 0
		.amdhsa_system_sgpr_private_segment_wavefront_offset 0
		.amdhsa_system_sgpr_workgroup_id_x 1
		.amdhsa_system_sgpr_workgroup_id_y 1
		.amdhsa_system_sgpr_workgroup_id_z 1
		.amdhsa_system_sgpr_workgroup_info 0
		.amdhsa_system_vgpr_workitem_id 1
		.amdhsa_next_free_vgpr 44
		.amdhsa_next_free_sgpr 27
		.amdhsa_reserve_vcc 1
		.amdhsa_reserve_flat_scratch 0
		.amdhsa_float_round_mode_32 0
		.amdhsa_float_round_mode_16_64 0
		.amdhsa_float_denorm_mode_32 3
		.amdhsa_float_denorm_mode_16_64 3
		.amdhsa_dx10_clamp 1
		.amdhsa_ieee_mode 1
		.amdhsa_fp16_overflow 0
		.amdhsa_workgroup_processor_mode 1
		.amdhsa_memory_ordered 1
		.amdhsa_forward_progress 1
		.amdhsa_shared_vgpr_count 0
		.amdhsa_exception_fp_ieee_invalid_op 0
		.amdhsa_exception_fp_denorm_src 0
		.amdhsa_exception_fp_ieee_div_zero 0
		.amdhsa_exception_fp_ieee_overflow 0
		.amdhsa_exception_fp_ieee_underflow 0
		.amdhsa_exception_fp_ieee_inexact 0
		.amdhsa_exception_int_div_zero 0
	.end_amdhsa_kernel
	.section	.text._ZL29rocblas_internal_gemmt_kernelIiLi16ELi32ELi8ELc67ELc67ELc76ELb0ELb0EdPKdPKS1_PKPdEviT_T9_T10_S7_lS9_S7_lS8_T11_S7_li,"axG",@progbits,_ZL29rocblas_internal_gemmt_kernelIiLi16ELi32ELi8ELc67ELc67ELc76ELb0ELb0EdPKdPKS1_PKPdEviT_T9_T10_S7_lS9_S7_lS8_T11_S7_li,comdat
.Lfunc_end341:
	.size	_ZL29rocblas_internal_gemmt_kernelIiLi16ELi32ELi8ELc67ELc67ELc76ELb0ELb0EdPKdPKS1_PKPdEviT_T9_T10_S7_lS9_S7_lS8_T11_S7_li, .Lfunc_end341-_ZL29rocblas_internal_gemmt_kernelIiLi16ELi32ELi8ELc67ELc67ELc76ELb0ELb0EdPKdPKS1_PKPdEviT_T9_T10_S7_lS9_S7_lS8_T11_S7_li
                                        ; -- End function
	.set _ZL29rocblas_internal_gemmt_kernelIiLi16ELi32ELi8ELc67ELc67ELc76ELb0ELb0EdPKdPKS1_PKPdEviT_T9_T10_S7_lS9_S7_lS8_T11_S7_li.num_vgpr, 44
	.set _ZL29rocblas_internal_gemmt_kernelIiLi16ELi32ELi8ELc67ELc67ELc76ELb0ELb0EdPKdPKS1_PKPdEviT_T9_T10_S7_lS9_S7_lS8_T11_S7_li.num_agpr, 0
	.set _ZL29rocblas_internal_gemmt_kernelIiLi16ELi32ELi8ELc67ELc67ELc76ELb0ELb0EdPKdPKS1_PKPdEviT_T9_T10_S7_lS9_S7_lS8_T11_S7_li.numbered_sgpr, 27
	.set _ZL29rocblas_internal_gemmt_kernelIiLi16ELi32ELi8ELc67ELc67ELc76ELb0ELb0EdPKdPKS1_PKPdEviT_T9_T10_S7_lS9_S7_lS8_T11_S7_li.num_named_barrier, 0
	.set _ZL29rocblas_internal_gemmt_kernelIiLi16ELi32ELi8ELc67ELc67ELc76ELb0ELb0EdPKdPKS1_PKPdEviT_T9_T10_S7_lS9_S7_lS8_T11_S7_li.private_seg_size, 0
	.set _ZL29rocblas_internal_gemmt_kernelIiLi16ELi32ELi8ELc67ELc67ELc76ELb0ELb0EdPKdPKS1_PKPdEviT_T9_T10_S7_lS9_S7_lS8_T11_S7_li.uses_vcc, 1
	.set _ZL29rocblas_internal_gemmt_kernelIiLi16ELi32ELi8ELc67ELc67ELc76ELb0ELb0EdPKdPKS1_PKPdEviT_T9_T10_S7_lS9_S7_lS8_T11_S7_li.uses_flat_scratch, 0
	.set _ZL29rocblas_internal_gemmt_kernelIiLi16ELi32ELi8ELc67ELc67ELc76ELb0ELb0EdPKdPKS1_PKPdEviT_T9_T10_S7_lS9_S7_lS8_T11_S7_li.has_dyn_sized_stack, 0
	.set _ZL29rocblas_internal_gemmt_kernelIiLi16ELi32ELi8ELc67ELc67ELc76ELb0ELb0EdPKdPKS1_PKPdEviT_T9_T10_S7_lS9_S7_lS8_T11_S7_li.has_recursion, 0
	.set _ZL29rocblas_internal_gemmt_kernelIiLi16ELi32ELi8ELc67ELc67ELc76ELb0ELb0EdPKdPKS1_PKPdEviT_T9_T10_S7_lS9_S7_lS8_T11_S7_li.has_indirect_call, 0
	.section	.AMDGPU.csdata,"",@progbits
; Kernel info:
; codeLenInByte = 1680
; TotalNumSgprs: 29
; NumVgprs: 44
; ScratchSize: 0
; MemoryBound: 0
; FloatMode: 240
; IeeeMode: 1
; LDSByteSize: 4096 bytes/workgroup (compile time only)
; SGPRBlocks: 0
; VGPRBlocks: 5
; NumSGPRsForWavesPerEU: 29
; NumVGPRsForWavesPerEU: 44
; Occupancy: 16
; WaveLimiterHint : 1
; COMPUTE_PGM_RSRC2:SCRATCH_EN: 0
; COMPUTE_PGM_RSRC2:USER_SGPR: 6
; COMPUTE_PGM_RSRC2:TRAP_HANDLER: 0
; COMPUTE_PGM_RSRC2:TGID_X_EN: 1
; COMPUTE_PGM_RSRC2:TGID_Y_EN: 1
; COMPUTE_PGM_RSRC2:TGID_Z_EN: 1
; COMPUTE_PGM_RSRC2:TIDIG_COMP_CNT: 1
	.section	.text._ZL29rocblas_internal_gemmt_kernelIiLi16ELi32ELi8ELc78ELc78ELc85ELb0ELb0EddPKPKdPKPdEviT_T9_T10_S7_lS9_S7_lS8_T11_S7_li,"axG",@progbits,_ZL29rocblas_internal_gemmt_kernelIiLi16ELi32ELi8ELc78ELc78ELc85ELb0ELb0EddPKPKdPKPdEviT_T9_T10_S7_lS9_S7_lS8_T11_S7_li,comdat
	.globl	_ZL29rocblas_internal_gemmt_kernelIiLi16ELi32ELi8ELc78ELc78ELc85ELb0ELb0EddPKPKdPKPdEviT_T9_T10_S7_lS9_S7_lS8_T11_S7_li ; -- Begin function _ZL29rocblas_internal_gemmt_kernelIiLi16ELi32ELi8ELc78ELc78ELc85ELb0ELb0EddPKPKdPKPdEviT_T9_T10_S7_lS9_S7_lS8_T11_S7_li
	.p2align	8
	.type	_ZL29rocblas_internal_gemmt_kernelIiLi16ELi32ELi8ELc78ELc78ELc85ELb0ELb0EddPKPKdPKPdEviT_T9_T10_S7_lS9_S7_lS8_T11_S7_li,@function
_ZL29rocblas_internal_gemmt_kernelIiLi16ELi32ELi8ELc78ELc78ELc85ELb0ELb0EddPKPKdPKPdEviT_T9_T10_S7_lS9_S7_lS8_T11_S7_li: ; @_ZL29rocblas_internal_gemmt_kernelIiLi16ELi32ELi8ELc78ELc78ELc85ELb0ELb0EddPKPKdPKPdEviT_T9_T10_S7_lS9_S7_lS8_T11_S7_li
; %bb.0:
	s_clause 0x2
	s_load_dwordx4 s[12:15], s[4:5], 0x38
	s_load_dwordx2 s[2:3], s[4:5], 0x0
	s_load_dwordx4 s[16:19], s[4:5], 0x8
	s_waitcnt lgkmcnt(0)
	v_cmp_neq_f64_e64 s0, s[14:15], 1.0
	s_and_b32 vcc_lo, exec_lo, s0
	s_cbranch_vccnz .LBB342_2
; %bb.1:
	v_cmp_neq_f64_e64 s0, s[16:17], 0
	s_cmp_lg_u32 s3, 0
	s_cselect_b32 s1, -1, 0
	s_and_b32 s0, s1, s0
.LBB342_2:
	s_andn2_b32 vcc_lo, exec_lo, s0
	s_cbranch_vccnz .LBB342_26
; %bb.3:
	s_load_dwordx2 s[0:1], s[4:5], 0x48
	s_mov_b32 s9, 0
	v_cmp_eq_f64_e64 s20, s[16:17], 0
	s_lshl_b64 s[24:25], s[8:9], 3
	v_mov_b32_e32 v12, 0
	v_mov_b32_e32 v6, 0
	;; [unrolled: 1-line block ×8, first 2 shown]
	s_waitcnt lgkmcnt(0)
	s_add_u32 s0, s0, s24
	s_addc_u32 s1, s1, s25
	s_lshl_b32 s8, s6, 5
	s_load_dwordx2 s[10:11], s[0:1], 0x0
	s_lshl_b32 s26, s7, 5
	s_cmp_lt_i32 s3, 1
	s_cselect_b32 s0, -1, 0
	s_or_b32 s0, s20, s0
	s_and_b32 vcc_lo, exec_lo, s0
	s_cbranch_vccnz .LBB342_10
; %bb.4:
	s_clause 0x1
	s_load_dword s6, s[4:5], 0x18
	s_load_dwordx4 s[20:23], s[4:5], 0x20
	v_lshl_add_u32 v2, v1, 4, v0
	v_and_b32_e32 v18, 7, v0
	s_load_dword s1, s[4:5], 0x30
	v_mov_b32_e32 v12, 0
	v_lshlrev_b32_e32 v19, 3, v0
	v_lshrrev_b32_e32 v4, 3, v2
	v_lshlrev_b32_e32 v10, 3, v18
	v_and_b32_e32 v3, 31, v2
	v_lshrrev_b32_e32 v20, 5, v2
	v_lshl_add_u32 v23, v1, 6, 0x800
	v_add_nc_u32_e32 v7, s26, v4
	v_lshl_or_b32 v4, v4, 6, v10
	v_or_b32_e32 v5, s8, v3
	v_lshlrev_b32_e32 v6, 3, v3
	v_add_nc_u32_e32 v2, s8, v3
	v_cmp_gt_i32_e64 s0, s2, v7
	v_add_nc_u32_e32 v22, 0x800, v4
	v_cmp_gt_i32_e32 vcc_lo, s2, v5
	s_waitcnt lgkmcnt(0)
	v_mad_i64_i32 v[3:4], null, v20, s6, 0
	s_ashr_i32 s7, s6, 31
	s_add_u32 s22, s22, s24
	s_addc_u32 s23, s23, s25
	s_add_u32 s18, s18, s24
	s_addc_u32 s19, s19, s25
	s_load_dwordx2 s[22:23], s[22:23], 0x0
	s_load_dwordx2 s[18:19], s[18:19], 0x0
	v_lshl_or_b32 v21, v20, 8, v6
	v_lshlrev_b64 v[4:5], 3, v[3:4]
	v_mad_i64_i32 v[6:7], null, s1, v7, 0
	v_ashrrev_i32_e32 v3, 31, v2
	s_lshl_b64 s[20:21], s[20:21], 3
	s_lshl_b64 s[12:13], s[12:13], 3
	v_add_co_u32 v8, s1, v4, s20
	v_lshlrev_b64 v[2:3], 3, v[2:3]
	v_add_co_ci_u32_e64 v9, null, s21, v5, s1
	v_lshlrev_b64 v[4:5], 3, v[6:7]
	v_mov_b32_e32 v6, 0
	v_mov_b32_e32 v7, 0
	v_add_co_u32 v2, s1, v8, v2
	v_add_co_ci_u32_e64 v3, null, v9, v3, s1
	v_add_co_u32 v4, s1, v4, s12
	v_add_co_ci_u32_e64 v5, null, s13, v5, s1
	s_waitcnt lgkmcnt(0)
	v_add_co_u32 v8, s1, s18, v2
	v_add_co_ci_u32_e64 v9, null, s19, v3, s1
	v_add_co_u32 v10, s1, v4, v10
	v_add_co_ci_u32_e64 v11, null, 0, v5, s1
	v_mov_b32_e32 v2, 0
	v_add_co_u32 v10, s1, s22, v10
	v_mov_b32_e32 v4, 0
	v_mov_b32_e32 v3, 0
	;; [unrolled: 1-line block ×4, first 2 shown]
	v_add_co_ci_u32_e64 v11, null, s23, v11, s1
	s_lshl_b64 s[6:7], s[6:7], 6
	s_branch .LBB342_6
.LBB342_5:                              ;   in Loop: Header=BB342_6 Depth=1
	s_or_b32 exec_lo, exec_lo, s1
	s_waitcnt vmcnt(0) lgkmcnt(0)
	ds_write_b64 v22, v[16:17]
	s_waitcnt lgkmcnt(0)
	s_barrier
	buffer_gl0_inv
	ds_read_b128 v[14:17], v23
	ds_read2_b64 v[24:27], v19 offset1:16
	ds_read_b128 v[28:31], v23 offset:1024
	ds_read_b128 v[32:35], v23 offset:16
	ds_read2_b64 v[36:39], v19 offset0:32 offset1:48
	ds_read_b128 v[40:43], v23 offset:1040
	v_add_co_u32 v8, s1, v8, s6
	v_add_co_ci_u32_e64 v9, null, s7, v9, s1
	v_add_co_u32 v10, s1, v10, 64
	v_add_co_ci_u32_e64 v11, null, 0, v11, s1
	s_add_i32 s9, s9, 8
	s_cmp_lt_i32 s9, s3
	s_waitcnt lgkmcnt(4)
	v_fma_f64 v[12:13], v[24:25], v[14:15], v[12:13]
	v_fma_f64 v[6:7], v[26:27], v[14:15], v[6:7]
	s_waitcnt lgkmcnt(3)
	v_fma_f64 v[14:15], v[24:25], v[28:29], v[4:5]
	v_fma_f64 v[24:25], v[26:27], v[28:29], v[2:3]
	ds_read2_b64 v[2:5], v19 offset0:64 offset1:80
	s_waitcnt lgkmcnt(2)
	v_fma_f64 v[26:27], v[36:37], v[16:17], v[12:13]
	v_fma_f64 v[6:7], v[38:39], v[16:17], v[6:7]
	;; [unrolled: 1-line block ×4, first 2 shown]
	ds_read2_b64 v[12:15], v19 offset0:96 offset1:112
	s_waitcnt lgkmcnt(1)
	v_fma_f64 v[28:29], v[2:3], v[32:33], v[26:27]
	v_fma_f64 v[6:7], v[4:5], v[32:33], v[6:7]
	;; [unrolled: 1-line block ×4, first 2 shown]
	ds_read_b128 v[2:5], v23 offset:32
	ds_read2_b64 v[24:27], v19 offset0:128 offset1:144
	s_waitcnt lgkmcnt(2)
	v_fma_f64 v[40:41], v[12:13], v[34:35], v[28:29]
	v_fma_f64 v[6:7], v[14:15], v[34:35], v[6:7]
	;; [unrolled: 1-line block ×4, first 2 shown]
	ds_read_b128 v[12:15], v23 offset:1056
	ds_read_b128 v[28:31], v23 offset:48
	ds_read2_b64 v[32:35], v19 offset0:160 offset1:176
	ds_read_b128 v[36:39], v23 offset:1072
	s_waitcnt lgkmcnt(4)
	v_fma_f64 v[40:41], v[24:25], v[2:3], v[40:41]
	v_fma_f64 v[2:3], v[26:27], v[2:3], v[6:7]
	s_waitcnt lgkmcnt(3)
	v_fma_f64 v[6:7], v[24:25], v[12:13], v[16:17]
	v_fma_f64 v[12:13], v[26:27], v[12:13], v[42:43]
	ds_read2_b64 v[24:27], v19 offset0:192 offset1:208
	s_waitcnt lgkmcnt(2)
	v_fma_f64 v[40:41], v[32:33], v[4:5], v[40:41]
	v_fma_f64 v[2:3], v[34:35], v[4:5], v[2:3]
	;; [unrolled: 1-line block ×4, first 2 shown]
	ds_read2_b64 v[14:17], v19 offset0:224 offset1:240
	s_waitcnt lgkmcnt(0)
	s_barrier
	buffer_gl0_inv
	v_fma_f64 v[12:13], v[24:25], v[28:29], v[40:41]
	v_fma_f64 v[2:3], v[26:27], v[28:29], v[2:3]
	v_fma_f64 v[4:5], v[24:25], v[36:37], v[4:5]
	v_fma_f64 v[24:25], v[26:27], v[36:37], v[6:7]
	v_fma_f64 v[12:13], v[14:15], v[30:31], v[12:13]
	v_fma_f64 v[6:7], v[16:17], v[30:31], v[2:3]
	v_fma_f64 v[4:5], v[14:15], v[38:39], v[4:5]
	v_fma_f64 v[2:3], v[16:17], v[38:39], v[24:25]
	s_cbranch_scc0 .LBB342_10
.LBB342_6:                              ; =>This Inner Loop Header: Depth=1
	v_add_nc_u32_e32 v14, s9, v20
	v_cmp_gt_i32_e64 s1, s3, v14
	v_mov_b32_e32 v14, 0
	v_mov_b32_e32 v15, 0
	s_and_b32 s12, vcc_lo, s1
	s_and_saveexec_b32 s1, s12
	s_cbranch_execz .LBB342_8
; %bb.7:                                ;   in Loop: Header=BB342_6 Depth=1
	flat_load_dwordx2 v[14:15], v[8:9]
.LBB342_8:                              ;   in Loop: Header=BB342_6 Depth=1
	s_or_b32 exec_lo, exec_lo, s1
	v_add_nc_u32_e32 v16, s9, v18
	s_waitcnt vmcnt(0) lgkmcnt(0)
	ds_write_b64 v21, v[14:15]
	v_cmp_gt_i32_e64 s1, s3, v16
	v_mov_b32_e32 v16, 0
	v_mov_b32_e32 v17, 0
	s_and_b32 s12, s1, s0
	s_and_saveexec_b32 s1, s12
	s_cbranch_execz .LBB342_5
; %bb.9:                                ;   in Loop: Header=BB342_6 Depth=1
	flat_load_dwordx2 v[16:17], v[10:11]
	s_branch .LBB342_5
.LBB342_10:
	s_clause 0x1
	s_load_dword s3, s[4:5], 0x50
	s_load_dwordx2 s[4:5], s[4:5], 0x58
	v_cmp_neq_f64_e64 s6, s[14:15], 0
	v_add_nc_u32_e32 v15, s26, v1
	v_add_nc_u32_e32 v0, s8, v0
	v_cmp_gt_i32_e64 s0, s2, v15
	v_cmp_le_i32_e32 vcc_lo, v0, v15
	v_ashrrev_i32_e32 v1, 31, v0
	s_waitcnt lgkmcnt(0)
	v_mad_i64_i32 v[8:9], null, v15, s3, 0
	s_lshl_b64 s[4:5], s[4:5], 3
	s_add_u32 s4, s10, s4
	s_addc_u32 s5, s11, s5
	v_cndmask_b32_e64 v14, 0, 1, s6
	s_and_b32 s7, s0, vcc_lo
	v_lshlrev_b64 v[8:9], 3, v[8:9]
	v_add_co_u32 v16, s1, s4, v8
	v_add_co_ci_u32_e64 v17, null, s5, v9, s1
	s_and_saveexec_b32 s1, s7
	s_cbranch_execz .LBB342_14
; %bb.11:
	v_mul_f64 v[8:9], s[16:17], v[12:13]
	v_lshlrev_b64 v[10:11], 3, v[0:1]
	v_add_co_u32 v10, vcc_lo, v16, v10
	v_add_co_ci_u32_e64 v11, null, v17, v11, vcc_lo
	s_andn2_b32 vcc_lo, exec_lo, s6
	s_cbranch_vccnz .LBB342_13
; %bb.12:
	flat_load_dwordx2 v[12:13], v[10:11]
	s_waitcnt vmcnt(0) lgkmcnt(0)
	v_fma_f64 v[8:9], s[14:15], v[12:13], v[8:9]
.LBB342_13:
	flat_store_dwordx2 v[10:11], v[8:9]
.LBB342_14:
	s_or_b32 exec_lo, exec_lo, s1
	v_add_nc_u32_e32 v8, 16, v0
	v_cmp_le_i32_e32 vcc_lo, v8, v15
	v_ashrrev_i32_e32 v9, 31, v8
	s_and_b32 s0, s0, vcc_lo
	s_and_saveexec_b32 s1, s0
	s_cbranch_execz .LBB342_18
; %bb.15:
	v_mul_f64 v[6:7], s[16:17], v[6:7]
	v_lshlrev_b64 v[10:11], 3, v[8:9]
	v_cmp_ne_u32_e32 vcc_lo, 1, v14
	v_add_co_u32 v10, s0, v16, v10
	v_add_co_ci_u32_e64 v11, null, v17, v11, s0
	s_cbranch_vccnz .LBB342_17
; %bb.16:
	flat_load_dwordx2 v[12:13], v[10:11]
	s_waitcnt vmcnt(0) lgkmcnt(0)
	v_fma_f64 v[6:7], s[14:15], v[12:13], v[6:7]
.LBB342_17:
	flat_store_dwordx2 v[10:11], v[6:7]
.LBB342_18:
	s_or_b32 exec_lo, exec_lo, s1
	v_add_nc_u32_e32 v10, 16, v15
	v_mad_i64_i32 v[6:7], null, v10, s3, 0
	v_cmp_gt_i32_e64 s0, s2, v10
	v_cmp_le_i32_e32 vcc_lo, v0, v10
	v_lshlrev_b64 v[6:7], 3, v[6:7]
	v_add_co_u32 v6, s1, s4, v6
	v_add_co_ci_u32_e64 v7, null, s5, v7, s1
	s_and_b32 s1, s0, vcc_lo
	s_and_saveexec_b32 s2, s1
	s_cbranch_execz .LBB342_22
; %bb.19:
	v_mul_f64 v[4:5], s[16:17], v[4:5]
	v_lshlrev_b64 v[0:1], 3, v[0:1]
	v_cmp_ne_u32_e32 vcc_lo, 1, v14
	v_add_co_u32 v0, s1, v6, v0
	v_add_co_ci_u32_e64 v1, null, v7, v1, s1
	s_cbranch_vccnz .LBB342_21
; %bb.20:
	flat_load_dwordx2 v[11:12], v[0:1]
	s_waitcnt vmcnt(0) lgkmcnt(0)
	v_fma_f64 v[4:5], s[14:15], v[11:12], v[4:5]
.LBB342_21:
	flat_store_dwordx2 v[0:1], v[4:5]
.LBB342_22:
	s_or_b32 exec_lo, exec_lo, s2
	v_cmp_le_i32_e32 vcc_lo, v8, v10
	s_and_b32 s0, s0, vcc_lo
	s_and_saveexec_b32 s1, s0
	s_cbranch_execz .LBB342_26
; %bb.23:
	v_mul_f64 v[0:1], s[16:17], v[2:3]
	v_lshlrev_b64 v[2:3], 3, v[8:9]
	v_cmp_ne_u32_e32 vcc_lo, 1, v14
	v_add_co_u32 v2, s0, v6, v2
	v_add_co_ci_u32_e64 v3, null, v7, v3, s0
	s_cbranch_vccnz .LBB342_25
; %bb.24:
	flat_load_dwordx2 v[4:5], v[2:3]
	s_waitcnt vmcnt(0) lgkmcnt(0)
	v_fma_f64 v[0:1], s[14:15], v[4:5], v[0:1]
.LBB342_25:
	flat_store_dwordx2 v[2:3], v[0:1]
.LBB342_26:
	s_endpgm
	.section	.rodata,"a",@progbits
	.p2align	6, 0x0
	.amdhsa_kernel _ZL29rocblas_internal_gemmt_kernelIiLi16ELi32ELi8ELc78ELc78ELc85ELb0ELb0EddPKPKdPKPdEviT_T9_T10_S7_lS9_S7_lS8_T11_S7_li
		.amdhsa_group_segment_fixed_size 4096
		.amdhsa_private_segment_fixed_size 0
		.amdhsa_kernarg_size 100
		.amdhsa_user_sgpr_count 6
		.amdhsa_user_sgpr_private_segment_buffer 1
		.amdhsa_user_sgpr_dispatch_ptr 0
		.amdhsa_user_sgpr_queue_ptr 0
		.amdhsa_user_sgpr_kernarg_segment_ptr 1
		.amdhsa_user_sgpr_dispatch_id 0
		.amdhsa_user_sgpr_flat_scratch_init 0
		.amdhsa_user_sgpr_private_segment_size 0
		.amdhsa_wavefront_size32 1
		.amdhsa_uses_dynamic_stack 0
		.amdhsa_system_sgpr_private_segment_wavefront_offset 0
		.amdhsa_system_sgpr_workgroup_id_x 1
		.amdhsa_system_sgpr_workgroup_id_y 1
		.amdhsa_system_sgpr_workgroup_id_z 1
		.amdhsa_system_sgpr_workgroup_info 0
		.amdhsa_system_vgpr_workitem_id 1
		.amdhsa_next_free_vgpr 44
		.amdhsa_next_free_sgpr 27
		.amdhsa_reserve_vcc 1
		.amdhsa_reserve_flat_scratch 0
		.amdhsa_float_round_mode_32 0
		.amdhsa_float_round_mode_16_64 0
		.amdhsa_float_denorm_mode_32 3
		.amdhsa_float_denorm_mode_16_64 3
		.amdhsa_dx10_clamp 1
		.amdhsa_ieee_mode 1
		.amdhsa_fp16_overflow 0
		.amdhsa_workgroup_processor_mode 1
		.amdhsa_memory_ordered 1
		.amdhsa_forward_progress 1
		.amdhsa_shared_vgpr_count 0
		.amdhsa_exception_fp_ieee_invalid_op 0
		.amdhsa_exception_fp_denorm_src 0
		.amdhsa_exception_fp_ieee_div_zero 0
		.amdhsa_exception_fp_ieee_overflow 0
		.amdhsa_exception_fp_ieee_underflow 0
		.amdhsa_exception_fp_ieee_inexact 0
		.amdhsa_exception_int_div_zero 0
	.end_amdhsa_kernel
	.section	.text._ZL29rocblas_internal_gemmt_kernelIiLi16ELi32ELi8ELc78ELc78ELc85ELb0ELb0EddPKPKdPKPdEviT_T9_T10_S7_lS9_S7_lS8_T11_S7_li,"axG",@progbits,_ZL29rocblas_internal_gemmt_kernelIiLi16ELi32ELi8ELc78ELc78ELc85ELb0ELb0EddPKPKdPKPdEviT_T9_T10_S7_lS9_S7_lS8_T11_S7_li,comdat
.Lfunc_end342:
	.size	_ZL29rocblas_internal_gemmt_kernelIiLi16ELi32ELi8ELc78ELc78ELc85ELb0ELb0EddPKPKdPKPdEviT_T9_T10_S7_lS9_S7_lS8_T11_S7_li, .Lfunc_end342-_ZL29rocblas_internal_gemmt_kernelIiLi16ELi32ELi8ELc78ELc78ELc85ELb0ELb0EddPKPKdPKPdEviT_T9_T10_S7_lS9_S7_lS8_T11_S7_li
                                        ; -- End function
	.set _ZL29rocblas_internal_gemmt_kernelIiLi16ELi32ELi8ELc78ELc78ELc85ELb0ELb0EddPKPKdPKPdEviT_T9_T10_S7_lS9_S7_lS8_T11_S7_li.num_vgpr, 44
	.set _ZL29rocblas_internal_gemmt_kernelIiLi16ELi32ELi8ELc78ELc78ELc85ELb0ELb0EddPKPKdPKPdEviT_T9_T10_S7_lS9_S7_lS8_T11_S7_li.num_agpr, 0
	.set _ZL29rocblas_internal_gemmt_kernelIiLi16ELi32ELi8ELc78ELc78ELc85ELb0ELb0EddPKPKdPKPdEviT_T9_T10_S7_lS9_S7_lS8_T11_S7_li.numbered_sgpr, 27
	.set _ZL29rocblas_internal_gemmt_kernelIiLi16ELi32ELi8ELc78ELc78ELc85ELb0ELb0EddPKPKdPKPdEviT_T9_T10_S7_lS9_S7_lS8_T11_S7_li.num_named_barrier, 0
	.set _ZL29rocblas_internal_gemmt_kernelIiLi16ELi32ELi8ELc78ELc78ELc85ELb0ELb0EddPKPKdPKPdEviT_T9_T10_S7_lS9_S7_lS8_T11_S7_li.private_seg_size, 0
	.set _ZL29rocblas_internal_gemmt_kernelIiLi16ELi32ELi8ELc78ELc78ELc85ELb0ELb0EddPKPKdPKPdEviT_T9_T10_S7_lS9_S7_lS8_T11_S7_li.uses_vcc, 1
	.set _ZL29rocblas_internal_gemmt_kernelIiLi16ELi32ELi8ELc78ELc78ELc85ELb0ELb0EddPKPKdPKPdEviT_T9_T10_S7_lS9_S7_lS8_T11_S7_li.uses_flat_scratch, 0
	.set _ZL29rocblas_internal_gemmt_kernelIiLi16ELi32ELi8ELc78ELc78ELc85ELb0ELb0EddPKPKdPKPdEviT_T9_T10_S7_lS9_S7_lS8_T11_S7_li.has_dyn_sized_stack, 0
	.set _ZL29rocblas_internal_gemmt_kernelIiLi16ELi32ELi8ELc78ELc78ELc85ELb0ELb0EddPKPKdPKPdEviT_T9_T10_S7_lS9_S7_lS8_T11_S7_li.has_recursion, 0
	.set _ZL29rocblas_internal_gemmt_kernelIiLi16ELi32ELi8ELc78ELc78ELc85ELb0ELb0EddPKPKdPKPdEviT_T9_T10_S7_lS9_S7_lS8_T11_S7_li.has_indirect_call, 0
	.section	.AMDGPU.csdata,"",@progbits
; Kernel info:
; codeLenInByte = 1652
; TotalNumSgprs: 29
; NumVgprs: 44
; ScratchSize: 0
; MemoryBound: 0
; FloatMode: 240
; IeeeMode: 1
; LDSByteSize: 4096 bytes/workgroup (compile time only)
; SGPRBlocks: 0
; VGPRBlocks: 5
; NumSGPRsForWavesPerEU: 29
; NumVGPRsForWavesPerEU: 44
; Occupancy: 16
; WaveLimiterHint : 1
; COMPUTE_PGM_RSRC2:SCRATCH_EN: 0
; COMPUTE_PGM_RSRC2:USER_SGPR: 6
; COMPUTE_PGM_RSRC2:TRAP_HANDLER: 0
; COMPUTE_PGM_RSRC2:TGID_X_EN: 1
; COMPUTE_PGM_RSRC2:TGID_Y_EN: 1
; COMPUTE_PGM_RSRC2:TGID_Z_EN: 1
; COMPUTE_PGM_RSRC2:TIDIG_COMP_CNT: 1
	.section	.text._ZL29rocblas_internal_gemmt_kernelIiLi16ELi32ELi8ELc78ELc84ELc85ELb0ELb0EddPKPKdPKPdEviT_T9_T10_S7_lS9_S7_lS8_T11_S7_li,"axG",@progbits,_ZL29rocblas_internal_gemmt_kernelIiLi16ELi32ELi8ELc78ELc84ELc85ELb0ELb0EddPKPKdPKPdEviT_T9_T10_S7_lS9_S7_lS8_T11_S7_li,comdat
	.globl	_ZL29rocblas_internal_gemmt_kernelIiLi16ELi32ELi8ELc78ELc84ELc85ELb0ELb0EddPKPKdPKPdEviT_T9_T10_S7_lS9_S7_lS8_T11_S7_li ; -- Begin function _ZL29rocblas_internal_gemmt_kernelIiLi16ELi32ELi8ELc78ELc84ELc85ELb0ELb0EddPKPKdPKPdEviT_T9_T10_S7_lS9_S7_lS8_T11_S7_li
	.p2align	8
	.type	_ZL29rocblas_internal_gemmt_kernelIiLi16ELi32ELi8ELc78ELc84ELc85ELb0ELb0EddPKPKdPKPdEviT_T9_T10_S7_lS9_S7_lS8_T11_S7_li,@function
_ZL29rocblas_internal_gemmt_kernelIiLi16ELi32ELi8ELc78ELc84ELc85ELb0ELb0EddPKPKdPKPdEviT_T9_T10_S7_lS9_S7_lS8_T11_S7_li: ; @_ZL29rocblas_internal_gemmt_kernelIiLi16ELi32ELi8ELc78ELc84ELc85ELb0ELb0EddPKPKdPKPdEviT_T9_T10_S7_lS9_S7_lS8_T11_S7_li
; %bb.0:
	s_clause 0x2
	s_load_dwordx4 s[12:15], s[4:5], 0x38
	s_load_dwordx2 s[2:3], s[4:5], 0x0
	s_load_dwordx4 s[16:19], s[4:5], 0x8
	s_waitcnt lgkmcnt(0)
	v_cmp_neq_f64_e64 s0, s[14:15], 1.0
	s_and_b32 vcc_lo, exec_lo, s0
	s_cbranch_vccnz .LBB343_2
; %bb.1:
	v_cmp_neq_f64_e64 s0, s[16:17], 0
	s_cmp_lg_u32 s3, 0
	s_cselect_b32 s1, -1, 0
	s_and_b32 s0, s1, s0
.LBB343_2:
	s_andn2_b32 vcc_lo, exec_lo, s0
	s_cbranch_vccnz .LBB343_26
; %bb.3:
	s_load_dwordx2 s[0:1], s[4:5], 0x48
	s_mov_b32 s9, 0
	v_cmp_eq_f64_e64 s20, s[16:17], 0
	s_lshl_b64 s[26:27], s[8:9], 3
	v_mov_b32_e32 v12, 0
	v_mov_b32_e32 v6, 0
	;; [unrolled: 1-line block ×8, first 2 shown]
	s_waitcnt lgkmcnt(0)
	s_add_u32 s0, s0, s26
	s_addc_u32 s1, s1, s27
	s_lshl_b32 s8, s6, 5
	s_load_dwordx2 s[10:11], s[0:1], 0x0
	s_lshl_b32 s28, s7, 5
	s_cmp_lt_i32 s3, 1
	s_cselect_b32 s0, -1, 0
	s_or_b32 s0, s20, s0
	s_and_b32 vcc_lo, exec_lo, s0
	s_cbranch_vccnz .LBB343_10
; %bb.4:
	s_clause 0x2
	s_load_dword s6, s[4:5], 0x18
	s_load_dword s24, s[4:5], 0x30
	s_load_dwordx4 s[20:23], s[4:5], 0x20
	v_lshl_add_u32 v2, v1, 4, v0
	v_and_b32_e32 v18, 7, v0
	v_mov_b32_e32 v12, 0
	v_lshlrev_b32_e32 v22, 3, v0
	v_lshl_add_u32 v23, v1, 6, 0x800
	v_and_b32_e32 v3, 31, v2
	v_lshrrev_b32_e32 v4, 3, v2
	v_lshlrev_b32_e32 v5, 3, v18
	v_lshrrev_b32_e32 v19, 5, v2
	v_mov_b32_e32 v13, 0
	v_or_b32_e32 v6, s8, v3
	v_lshlrev_b32_e32 v7, 3, v3
	v_lshl_or_b32 v8, v4, 6, v5
	v_add_nc_u32_e32 v2, s28, v4
	v_add_nc_u32_e32 v4, s8, v3
	v_cmp_gt_i32_e32 vcc_lo, s2, v6
	v_lshl_or_b32 v20, v19, 8, v7
	s_waitcnt lgkmcnt(0)
	s_ashr_i32 s7, s6, 31
	s_ashr_i32 s25, s24, 31
	v_mad_i64_i32 v[5:6], null, v19, s6, 0
	s_add_u32 s22, s22, s26
	s_addc_u32 s23, s23, s27
	s_add_u32 s18, s18, s26
	s_addc_u32 s19, s19, s27
	s_load_dwordx2 s[22:23], s[22:23], 0x0
	s_load_dwordx2 s[18:19], s[18:19], 0x0
	v_add_nc_u32_e32 v21, 0x800, v8
	v_lshlrev_b64 v[6:7], 3, v[5:6]
	v_mad_i64_i32 v[8:9], null, s24, v18, 0
	v_ashrrev_i32_e32 v5, 31, v4
	s_lshl_b64 s[20:21], s[20:21], 3
	v_ashrrev_i32_e32 v3, 31, v2
	v_add_co_u32 v10, s1, v6, s20
	v_lshlrev_b64 v[4:5], 3, v[4:5]
	v_add_co_ci_u32_e64 v11, null, s21, v7, s1
	v_lshlrev_b64 v[6:7], 3, v[8:9]
	s_lshl_b64 s[12:13], s[12:13], 3
	v_cmp_gt_i32_e64 s0, s2, v2
	v_add_co_u32 v4, s1, v10, v4
	v_lshlrev_b64 v[2:3], 3, v[2:3]
	v_add_co_ci_u32_e64 v5, null, v11, v5, s1
	v_add_co_u32 v6, s1, v6, s12
	v_add_co_ci_u32_e64 v7, null, s13, v7, s1
	s_waitcnt lgkmcnt(0)
	v_add_co_u32 v8, s1, s18, v4
	v_add_co_ci_u32_e64 v9, null, s19, v5, s1
	v_add_co_u32 v10, s1, v6, v2
	v_add_co_ci_u32_e64 v11, null, v7, v3, s1
	v_mov_b32_e32 v2, 0
	v_add_co_u32 v10, s1, s22, v10
	v_mov_b32_e32 v4, 0
	v_mov_b32_e32 v6, 0
	;; [unrolled: 1-line block ×5, first 2 shown]
	v_add_co_ci_u32_e64 v11, null, s23, v11, s1
	s_lshl_b64 s[6:7], s[6:7], 6
	s_lshl_b64 s[12:13], s[24:25], 6
	s_branch .LBB343_6
.LBB343_5:                              ;   in Loop: Header=BB343_6 Depth=1
	s_or_b32 exec_lo, exec_lo, s1
	s_waitcnt vmcnt(0) lgkmcnt(0)
	ds_write_b64 v21, v[16:17]
	s_waitcnt lgkmcnt(0)
	s_barrier
	buffer_gl0_inv
	ds_read_b128 v[14:17], v23
	ds_read2_b64 v[24:27], v22 offset1:16
	ds_read_b128 v[28:31], v23 offset:1024
	ds_read_b128 v[32:35], v23 offset:16
	ds_read2_b64 v[36:39], v22 offset0:32 offset1:48
	ds_read_b128 v[40:43], v23 offset:1040
	v_add_co_u32 v8, s1, v8, s6
	v_add_co_ci_u32_e64 v9, null, s7, v9, s1
	v_add_co_u32 v10, s1, v10, s12
	v_add_co_ci_u32_e64 v11, null, s13, v11, s1
	s_add_i32 s9, s9, 8
	s_cmp_lt_i32 s9, s3
	s_waitcnt lgkmcnt(4)
	v_fma_f64 v[12:13], v[24:25], v[14:15], v[12:13]
	v_fma_f64 v[6:7], v[26:27], v[14:15], v[6:7]
	s_waitcnt lgkmcnt(3)
	v_fma_f64 v[14:15], v[24:25], v[28:29], v[4:5]
	v_fma_f64 v[24:25], v[26:27], v[28:29], v[2:3]
	ds_read2_b64 v[2:5], v22 offset0:64 offset1:80
	s_waitcnt lgkmcnt(2)
	v_fma_f64 v[26:27], v[36:37], v[16:17], v[12:13]
	v_fma_f64 v[6:7], v[38:39], v[16:17], v[6:7]
	;; [unrolled: 1-line block ×4, first 2 shown]
	ds_read2_b64 v[12:15], v22 offset0:96 offset1:112
	s_waitcnt lgkmcnt(1)
	v_fma_f64 v[28:29], v[2:3], v[32:33], v[26:27]
	v_fma_f64 v[6:7], v[4:5], v[32:33], v[6:7]
	;; [unrolled: 1-line block ×4, first 2 shown]
	ds_read_b128 v[2:5], v23 offset:32
	ds_read2_b64 v[24:27], v22 offset0:128 offset1:144
	s_waitcnt lgkmcnt(2)
	v_fma_f64 v[40:41], v[12:13], v[34:35], v[28:29]
	v_fma_f64 v[6:7], v[14:15], v[34:35], v[6:7]
	;; [unrolled: 1-line block ×4, first 2 shown]
	ds_read_b128 v[12:15], v23 offset:1056
	ds_read_b128 v[28:31], v23 offset:48
	ds_read2_b64 v[32:35], v22 offset0:160 offset1:176
	ds_read_b128 v[36:39], v23 offset:1072
	s_waitcnt lgkmcnt(4)
	v_fma_f64 v[40:41], v[24:25], v[2:3], v[40:41]
	v_fma_f64 v[2:3], v[26:27], v[2:3], v[6:7]
	s_waitcnt lgkmcnt(3)
	v_fma_f64 v[6:7], v[24:25], v[12:13], v[16:17]
	v_fma_f64 v[12:13], v[26:27], v[12:13], v[42:43]
	ds_read2_b64 v[24:27], v22 offset0:192 offset1:208
	s_waitcnt lgkmcnt(2)
	v_fma_f64 v[40:41], v[32:33], v[4:5], v[40:41]
	v_fma_f64 v[2:3], v[34:35], v[4:5], v[2:3]
	;; [unrolled: 1-line block ×4, first 2 shown]
	ds_read2_b64 v[14:17], v22 offset0:224 offset1:240
	s_waitcnt lgkmcnt(0)
	s_barrier
	buffer_gl0_inv
	v_fma_f64 v[12:13], v[24:25], v[28:29], v[40:41]
	v_fma_f64 v[2:3], v[26:27], v[28:29], v[2:3]
	;; [unrolled: 1-line block ×8, first 2 shown]
	s_cbranch_scc0 .LBB343_10
.LBB343_6:                              ; =>This Inner Loop Header: Depth=1
	v_add_nc_u32_e32 v14, s9, v19
	v_cmp_gt_i32_e64 s1, s3, v14
	v_mov_b32_e32 v14, 0
	v_mov_b32_e32 v15, 0
	s_and_b32 s18, vcc_lo, s1
	s_and_saveexec_b32 s1, s18
	s_cbranch_execz .LBB343_8
; %bb.7:                                ;   in Loop: Header=BB343_6 Depth=1
	flat_load_dwordx2 v[14:15], v[8:9]
.LBB343_8:                              ;   in Loop: Header=BB343_6 Depth=1
	s_or_b32 exec_lo, exec_lo, s1
	v_add_nc_u32_e32 v16, s9, v18
	s_waitcnt vmcnt(0) lgkmcnt(0)
	ds_write_b64 v20, v[14:15]
	v_cmp_gt_i32_e64 s1, s3, v16
	v_mov_b32_e32 v16, 0
	v_mov_b32_e32 v17, 0
	s_and_b32 s18, s1, s0
	s_and_saveexec_b32 s1, s18
	s_cbranch_execz .LBB343_5
; %bb.9:                                ;   in Loop: Header=BB343_6 Depth=1
	flat_load_dwordx2 v[16:17], v[10:11]
	s_branch .LBB343_5
.LBB343_10:
	s_clause 0x1
	s_load_dword s3, s[4:5], 0x50
	s_load_dwordx2 s[4:5], s[4:5], 0x58
	v_cmp_neq_f64_e64 s6, s[14:15], 0
	v_add_nc_u32_e32 v15, s28, v1
	v_add_nc_u32_e32 v0, s8, v0
	v_cmp_gt_i32_e64 s0, s2, v15
	v_cmp_le_i32_e32 vcc_lo, v0, v15
	v_ashrrev_i32_e32 v1, 31, v0
	s_waitcnt lgkmcnt(0)
	v_mad_i64_i32 v[8:9], null, v15, s3, 0
	s_lshl_b64 s[4:5], s[4:5], 3
	s_add_u32 s4, s10, s4
	s_addc_u32 s5, s11, s5
	v_cndmask_b32_e64 v14, 0, 1, s6
	s_and_b32 s7, s0, vcc_lo
	v_lshlrev_b64 v[8:9], 3, v[8:9]
	v_add_co_u32 v16, s1, s4, v8
	v_add_co_ci_u32_e64 v17, null, s5, v9, s1
	s_and_saveexec_b32 s1, s7
	s_cbranch_execz .LBB343_14
; %bb.11:
	v_mul_f64 v[8:9], s[16:17], v[12:13]
	v_lshlrev_b64 v[10:11], 3, v[0:1]
	v_add_co_u32 v10, vcc_lo, v16, v10
	v_add_co_ci_u32_e64 v11, null, v17, v11, vcc_lo
	s_andn2_b32 vcc_lo, exec_lo, s6
	s_cbranch_vccnz .LBB343_13
; %bb.12:
	flat_load_dwordx2 v[12:13], v[10:11]
	s_waitcnt vmcnt(0) lgkmcnt(0)
	v_fma_f64 v[8:9], s[14:15], v[12:13], v[8:9]
.LBB343_13:
	flat_store_dwordx2 v[10:11], v[8:9]
.LBB343_14:
	s_or_b32 exec_lo, exec_lo, s1
	v_add_nc_u32_e32 v8, 16, v0
	v_cmp_le_i32_e32 vcc_lo, v8, v15
	v_ashrrev_i32_e32 v9, 31, v8
	s_and_b32 s0, s0, vcc_lo
	s_and_saveexec_b32 s1, s0
	s_cbranch_execz .LBB343_18
; %bb.15:
	v_mul_f64 v[6:7], s[16:17], v[6:7]
	v_lshlrev_b64 v[10:11], 3, v[8:9]
	v_cmp_ne_u32_e32 vcc_lo, 1, v14
	v_add_co_u32 v10, s0, v16, v10
	v_add_co_ci_u32_e64 v11, null, v17, v11, s0
	s_cbranch_vccnz .LBB343_17
; %bb.16:
	flat_load_dwordx2 v[12:13], v[10:11]
	s_waitcnt vmcnt(0) lgkmcnt(0)
	v_fma_f64 v[6:7], s[14:15], v[12:13], v[6:7]
.LBB343_17:
	flat_store_dwordx2 v[10:11], v[6:7]
.LBB343_18:
	s_or_b32 exec_lo, exec_lo, s1
	v_add_nc_u32_e32 v10, 16, v15
	v_mad_i64_i32 v[6:7], null, v10, s3, 0
	v_cmp_gt_i32_e64 s0, s2, v10
	v_cmp_le_i32_e32 vcc_lo, v0, v10
	v_lshlrev_b64 v[6:7], 3, v[6:7]
	v_add_co_u32 v6, s1, s4, v6
	v_add_co_ci_u32_e64 v7, null, s5, v7, s1
	s_and_b32 s1, s0, vcc_lo
	s_and_saveexec_b32 s2, s1
	s_cbranch_execz .LBB343_22
; %bb.19:
	v_mul_f64 v[4:5], s[16:17], v[4:5]
	v_lshlrev_b64 v[0:1], 3, v[0:1]
	v_cmp_ne_u32_e32 vcc_lo, 1, v14
	v_add_co_u32 v0, s1, v6, v0
	v_add_co_ci_u32_e64 v1, null, v7, v1, s1
	s_cbranch_vccnz .LBB343_21
; %bb.20:
	flat_load_dwordx2 v[11:12], v[0:1]
	s_waitcnt vmcnt(0) lgkmcnt(0)
	v_fma_f64 v[4:5], s[14:15], v[11:12], v[4:5]
.LBB343_21:
	flat_store_dwordx2 v[0:1], v[4:5]
.LBB343_22:
	s_or_b32 exec_lo, exec_lo, s2
	v_cmp_le_i32_e32 vcc_lo, v8, v10
	s_and_b32 s0, s0, vcc_lo
	s_and_saveexec_b32 s1, s0
	s_cbranch_execz .LBB343_26
; %bb.23:
	v_mul_f64 v[0:1], s[16:17], v[2:3]
	v_lshlrev_b64 v[2:3], 3, v[8:9]
	v_cmp_ne_u32_e32 vcc_lo, 1, v14
	v_add_co_u32 v2, s0, v6, v2
	v_add_co_ci_u32_e64 v3, null, v7, v3, s0
	s_cbranch_vccnz .LBB343_25
; %bb.24:
	flat_load_dwordx2 v[4:5], v[2:3]
	s_waitcnt vmcnt(0) lgkmcnt(0)
	v_fma_f64 v[0:1], s[14:15], v[4:5], v[0:1]
.LBB343_25:
	flat_store_dwordx2 v[2:3], v[0:1]
.LBB343_26:
	s_endpgm
	.section	.rodata,"a",@progbits
	.p2align	6, 0x0
	.amdhsa_kernel _ZL29rocblas_internal_gemmt_kernelIiLi16ELi32ELi8ELc78ELc84ELc85ELb0ELb0EddPKPKdPKPdEviT_T9_T10_S7_lS9_S7_lS8_T11_S7_li
		.amdhsa_group_segment_fixed_size 4096
		.amdhsa_private_segment_fixed_size 0
		.amdhsa_kernarg_size 100
		.amdhsa_user_sgpr_count 6
		.amdhsa_user_sgpr_private_segment_buffer 1
		.amdhsa_user_sgpr_dispatch_ptr 0
		.amdhsa_user_sgpr_queue_ptr 0
		.amdhsa_user_sgpr_kernarg_segment_ptr 1
		.amdhsa_user_sgpr_dispatch_id 0
		.amdhsa_user_sgpr_flat_scratch_init 0
		.amdhsa_user_sgpr_private_segment_size 0
		.amdhsa_wavefront_size32 1
		.amdhsa_uses_dynamic_stack 0
		.amdhsa_system_sgpr_private_segment_wavefront_offset 0
		.amdhsa_system_sgpr_workgroup_id_x 1
		.amdhsa_system_sgpr_workgroup_id_y 1
		.amdhsa_system_sgpr_workgroup_id_z 1
		.amdhsa_system_sgpr_workgroup_info 0
		.amdhsa_system_vgpr_workitem_id 1
		.amdhsa_next_free_vgpr 44
		.amdhsa_next_free_sgpr 29
		.amdhsa_reserve_vcc 1
		.amdhsa_reserve_flat_scratch 0
		.amdhsa_float_round_mode_32 0
		.amdhsa_float_round_mode_16_64 0
		.amdhsa_float_denorm_mode_32 3
		.amdhsa_float_denorm_mode_16_64 3
		.amdhsa_dx10_clamp 1
		.amdhsa_ieee_mode 1
		.amdhsa_fp16_overflow 0
		.amdhsa_workgroup_processor_mode 1
		.amdhsa_memory_ordered 1
		.amdhsa_forward_progress 1
		.amdhsa_shared_vgpr_count 0
		.amdhsa_exception_fp_ieee_invalid_op 0
		.amdhsa_exception_fp_denorm_src 0
		.amdhsa_exception_fp_ieee_div_zero 0
		.amdhsa_exception_fp_ieee_overflow 0
		.amdhsa_exception_fp_ieee_underflow 0
		.amdhsa_exception_fp_ieee_inexact 0
		.amdhsa_exception_int_div_zero 0
	.end_amdhsa_kernel
	.section	.text._ZL29rocblas_internal_gemmt_kernelIiLi16ELi32ELi8ELc78ELc84ELc85ELb0ELb0EddPKPKdPKPdEviT_T9_T10_S7_lS9_S7_lS8_T11_S7_li,"axG",@progbits,_ZL29rocblas_internal_gemmt_kernelIiLi16ELi32ELi8ELc78ELc84ELc85ELb0ELb0EddPKPKdPKPdEviT_T9_T10_S7_lS9_S7_lS8_T11_S7_li,comdat
.Lfunc_end343:
	.size	_ZL29rocblas_internal_gemmt_kernelIiLi16ELi32ELi8ELc78ELc84ELc85ELb0ELb0EddPKPKdPKPdEviT_T9_T10_S7_lS9_S7_lS8_T11_S7_li, .Lfunc_end343-_ZL29rocblas_internal_gemmt_kernelIiLi16ELi32ELi8ELc78ELc84ELc85ELb0ELb0EddPKPKdPKPdEviT_T9_T10_S7_lS9_S7_lS8_T11_S7_li
                                        ; -- End function
	.set _ZL29rocblas_internal_gemmt_kernelIiLi16ELi32ELi8ELc78ELc84ELc85ELb0ELb0EddPKPKdPKPdEviT_T9_T10_S7_lS9_S7_lS8_T11_S7_li.num_vgpr, 44
	.set _ZL29rocblas_internal_gemmt_kernelIiLi16ELi32ELi8ELc78ELc84ELc85ELb0ELb0EddPKPKdPKPdEviT_T9_T10_S7_lS9_S7_lS8_T11_S7_li.num_agpr, 0
	.set _ZL29rocblas_internal_gemmt_kernelIiLi16ELi32ELi8ELc78ELc84ELc85ELb0ELb0EddPKPKdPKPdEviT_T9_T10_S7_lS9_S7_lS8_T11_S7_li.numbered_sgpr, 29
	.set _ZL29rocblas_internal_gemmt_kernelIiLi16ELi32ELi8ELc78ELc84ELc85ELb0ELb0EddPKPKdPKPdEviT_T9_T10_S7_lS9_S7_lS8_T11_S7_li.num_named_barrier, 0
	.set _ZL29rocblas_internal_gemmt_kernelIiLi16ELi32ELi8ELc78ELc84ELc85ELb0ELb0EddPKPKdPKPdEviT_T9_T10_S7_lS9_S7_lS8_T11_S7_li.private_seg_size, 0
	.set _ZL29rocblas_internal_gemmt_kernelIiLi16ELi32ELi8ELc78ELc84ELc85ELb0ELb0EddPKPKdPKPdEviT_T9_T10_S7_lS9_S7_lS8_T11_S7_li.uses_vcc, 1
	.set _ZL29rocblas_internal_gemmt_kernelIiLi16ELi32ELi8ELc78ELc84ELc85ELb0ELb0EddPKPKdPKPdEviT_T9_T10_S7_lS9_S7_lS8_T11_S7_li.uses_flat_scratch, 0
	.set _ZL29rocblas_internal_gemmt_kernelIiLi16ELi32ELi8ELc78ELc84ELc85ELb0ELb0EddPKPKdPKPdEviT_T9_T10_S7_lS9_S7_lS8_T11_S7_li.has_dyn_sized_stack, 0
	.set _ZL29rocblas_internal_gemmt_kernelIiLi16ELi32ELi8ELc78ELc84ELc85ELb0ELb0EddPKPKdPKPdEviT_T9_T10_S7_lS9_S7_lS8_T11_S7_li.has_recursion, 0
	.set _ZL29rocblas_internal_gemmt_kernelIiLi16ELi32ELi8ELc78ELc84ELc85ELb0ELb0EddPKPKdPKPdEviT_T9_T10_S7_lS9_S7_lS8_T11_S7_li.has_indirect_call, 0
	.section	.AMDGPU.csdata,"",@progbits
; Kernel info:
; codeLenInByte = 1672
; TotalNumSgprs: 31
; NumVgprs: 44
; ScratchSize: 0
; MemoryBound: 0
; FloatMode: 240
; IeeeMode: 1
; LDSByteSize: 4096 bytes/workgroup (compile time only)
; SGPRBlocks: 0
; VGPRBlocks: 5
; NumSGPRsForWavesPerEU: 31
; NumVGPRsForWavesPerEU: 44
; Occupancy: 16
; WaveLimiterHint : 1
; COMPUTE_PGM_RSRC2:SCRATCH_EN: 0
; COMPUTE_PGM_RSRC2:USER_SGPR: 6
; COMPUTE_PGM_RSRC2:TRAP_HANDLER: 0
; COMPUTE_PGM_RSRC2:TGID_X_EN: 1
; COMPUTE_PGM_RSRC2:TGID_Y_EN: 1
; COMPUTE_PGM_RSRC2:TGID_Z_EN: 1
; COMPUTE_PGM_RSRC2:TIDIG_COMP_CNT: 1
	.section	.text._ZL29rocblas_internal_gemmt_kernelIiLi16ELi32ELi8ELc78ELc67ELc85ELb0ELb0EddPKPKdPKPdEviT_T9_T10_S7_lS9_S7_lS8_T11_S7_li,"axG",@progbits,_ZL29rocblas_internal_gemmt_kernelIiLi16ELi32ELi8ELc78ELc67ELc85ELb0ELb0EddPKPKdPKPdEviT_T9_T10_S7_lS9_S7_lS8_T11_S7_li,comdat
	.globl	_ZL29rocblas_internal_gemmt_kernelIiLi16ELi32ELi8ELc78ELc67ELc85ELb0ELb0EddPKPKdPKPdEviT_T9_T10_S7_lS9_S7_lS8_T11_S7_li ; -- Begin function _ZL29rocblas_internal_gemmt_kernelIiLi16ELi32ELi8ELc78ELc67ELc85ELb0ELb0EddPKPKdPKPdEviT_T9_T10_S7_lS9_S7_lS8_T11_S7_li
	.p2align	8
	.type	_ZL29rocblas_internal_gemmt_kernelIiLi16ELi32ELi8ELc78ELc67ELc85ELb0ELb0EddPKPKdPKPdEviT_T9_T10_S7_lS9_S7_lS8_T11_S7_li,@function
_ZL29rocblas_internal_gemmt_kernelIiLi16ELi32ELi8ELc78ELc67ELc85ELb0ELb0EddPKPKdPKPdEviT_T9_T10_S7_lS9_S7_lS8_T11_S7_li: ; @_ZL29rocblas_internal_gemmt_kernelIiLi16ELi32ELi8ELc78ELc67ELc85ELb0ELb0EddPKPKdPKPdEviT_T9_T10_S7_lS9_S7_lS8_T11_S7_li
; %bb.0:
	s_clause 0x2
	s_load_dwordx4 s[12:15], s[4:5], 0x38
	s_load_dwordx2 s[2:3], s[4:5], 0x0
	s_load_dwordx4 s[16:19], s[4:5], 0x8
	s_waitcnt lgkmcnt(0)
	v_cmp_neq_f64_e64 s0, s[14:15], 1.0
	s_and_b32 vcc_lo, exec_lo, s0
	s_cbranch_vccnz .LBB344_2
; %bb.1:
	v_cmp_neq_f64_e64 s0, s[16:17], 0
	s_cmp_lg_u32 s3, 0
	s_cselect_b32 s1, -1, 0
	s_and_b32 s0, s1, s0
.LBB344_2:
	s_andn2_b32 vcc_lo, exec_lo, s0
	s_cbranch_vccnz .LBB344_26
; %bb.3:
	s_load_dwordx2 s[0:1], s[4:5], 0x48
	s_mov_b32 s9, 0
	v_cmp_eq_f64_e64 s20, s[16:17], 0
	s_lshl_b64 s[26:27], s[8:9], 3
	v_mov_b32_e32 v12, 0
	v_mov_b32_e32 v6, 0
	;; [unrolled: 1-line block ×8, first 2 shown]
	s_waitcnt lgkmcnt(0)
	s_add_u32 s0, s0, s26
	s_addc_u32 s1, s1, s27
	s_lshl_b32 s8, s6, 5
	s_load_dwordx2 s[10:11], s[0:1], 0x0
	s_lshl_b32 s28, s7, 5
	s_cmp_lt_i32 s3, 1
	s_cselect_b32 s0, -1, 0
	s_or_b32 s0, s20, s0
	s_and_b32 vcc_lo, exec_lo, s0
	s_cbranch_vccnz .LBB344_10
; %bb.4:
	s_clause 0x2
	s_load_dword s6, s[4:5], 0x18
	s_load_dword s24, s[4:5], 0x30
	s_load_dwordx4 s[20:23], s[4:5], 0x20
	v_lshl_add_u32 v2, v1, 4, v0
	v_and_b32_e32 v18, 7, v0
	v_mov_b32_e32 v12, 0
	v_lshlrev_b32_e32 v22, 3, v0
	v_lshl_add_u32 v23, v1, 6, 0x800
	v_and_b32_e32 v3, 31, v2
	v_lshrrev_b32_e32 v4, 3, v2
	v_lshlrev_b32_e32 v5, 3, v18
	v_lshrrev_b32_e32 v19, 5, v2
	v_mov_b32_e32 v13, 0
	v_or_b32_e32 v6, s8, v3
	v_lshlrev_b32_e32 v7, 3, v3
	v_lshl_or_b32 v8, v4, 6, v5
	v_add_nc_u32_e32 v2, s28, v4
	v_add_nc_u32_e32 v4, s8, v3
	v_cmp_gt_i32_e32 vcc_lo, s2, v6
	v_lshl_or_b32 v20, v19, 8, v7
	s_waitcnt lgkmcnt(0)
	s_ashr_i32 s7, s6, 31
	s_ashr_i32 s25, s24, 31
	v_mad_i64_i32 v[5:6], null, v19, s6, 0
	s_add_u32 s22, s22, s26
	s_addc_u32 s23, s23, s27
	s_add_u32 s18, s18, s26
	s_addc_u32 s19, s19, s27
	s_load_dwordx2 s[22:23], s[22:23], 0x0
	s_load_dwordx2 s[18:19], s[18:19], 0x0
	v_add_nc_u32_e32 v21, 0x800, v8
	v_lshlrev_b64 v[6:7], 3, v[5:6]
	v_mad_i64_i32 v[8:9], null, s24, v18, 0
	v_ashrrev_i32_e32 v5, 31, v4
	s_lshl_b64 s[20:21], s[20:21], 3
	v_ashrrev_i32_e32 v3, 31, v2
	v_add_co_u32 v10, s1, v6, s20
	v_lshlrev_b64 v[4:5], 3, v[4:5]
	v_add_co_ci_u32_e64 v11, null, s21, v7, s1
	v_lshlrev_b64 v[6:7], 3, v[8:9]
	s_lshl_b64 s[12:13], s[12:13], 3
	v_cmp_gt_i32_e64 s0, s2, v2
	v_add_co_u32 v4, s1, v10, v4
	v_lshlrev_b64 v[2:3], 3, v[2:3]
	v_add_co_ci_u32_e64 v5, null, v11, v5, s1
	v_add_co_u32 v6, s1, v6, s12
	v_add_co_ci_u32_e64 v7, null, s13, v7, s1
	s_waitcnt lgkmcnt(0)
	v_add_co_u32 v8, s1, s18, v4
	v_add_co_ci_u32_e64 v9, null, s19, v5, s1
	v_add_co_u32 v10, s1, v6, v2
	v_add_co_ci_u32_e64 v11, null, v7, v3, s1
	v_mov_b32_e32 v2, 0
	v_add_co_u32 v10, s1, s22, v10
	v_mov_b32_e32 v4, 0
	v_mov_b32_e32 v6, 0
	;; [unrolled: 1-line block ×5, first 2 shown]
	v_add_co_ci_u32_e64 v11, null, s23, v11, s1
	s_lshl_b64 s[6:7], s[6:7], 6
	s_lshl_b64 s[12:13], s[24:25], 6
	s_branch .LBB344_6
.LBB344_5:                              ;   in Loop: Header=BB344_6 Depth=1
	s_or_b32 exec_lo, exec_lo, s1
	s_waitcnt vmcnt(0) lgkmcnt(0)
	ds_write_b64 v21, v[16:17]
	s_waitcnt lgkmcnt(0)
	s_barrier
	buffer_gl0_inv
	ds_read_b128 v[14:17], v23
	ds_read2_b64 v[24:27], v22 offset1:16
	ds_read_b128 v[28:31], v23 offset:1024
	ds_read_b128 v[32:35], v23 offset:16
	ds_read2_b64 v[36:39], v22 offset0:32 offset1:48
	ds_read_b128 v[40:43], v23 offset:1040
	v_add_co_u32 v8, s1, v8, s6
	v_add_co_ci_u32_e64 v9, null, s7, v9, s1
	v_add_co_u32 v10, s1, v10, s12
	v_add_co_ci_u32_e64 v11, null, s13, v11, s1
	s_add_i32 s9, s9, 8
	s_cmp_lt_i32 s9, s3
	s_waitcnt lgkmcnt(4)
	v_fma_f64 v[12:13], v[24:25], v[14:15], v[12:13]
	v_fma_f64 v[6:7], v[26:27], v[14:15], v[6:7]
	s_waitcnt lgkmcnt(3)
	v_fma_f64 v[14:15], v[24:25], v[28:29], v[4:5]
	v_fma_f64 v[24:25], v[26:27], v[28:29], v[2:3]
	ds_read2_b64 v[2:5], v22 offset0:64 offset1:80
	s_waitcnt lgkmcnt(2)
	v_fma_f64 v[26:27], v[36:37], v[16:17], v[12:13]
	v_fma_f64 v[6:7], v[38:39], v[16:17], v[6:7]
	;; [unrolled: 1-line block ×4, first 2 shown]
	ds_read2_b64 v[12:15], v22 offset0:96 offset1:112
	s_waitcnt lgkmcnt(1)
	v_fma_f64 v[28:29], v[2:3], v[32:33], v[26:27]
	v_fma_f64 v[6:7], v[4:5], v[32:33], v[6:7]
	;; [unrolled: 1-line block ×4, first 2 shown]
	ds_read_b128 v[2:5], v23 offset:32
	ds_read2_b64 v[24:27], v22 offset0:128 offset1:144
	s_waitcnt lgkmcnt(2)
	v_fma_f64 v[40:41], v[12:13], v[34:35], v[28:29]
	v_fma_f64 v[6:7], v[14:15], v[34:35], v[6:7]
	;; [unrolled: 1-line block ×4, first 2 shown]
	ds_read_b128 v[12:15], v23 offset:1056
	ds_read_b128 v[28:31], v23 offset:48
	ds_read2_b64 v[32:35], v22 offset0:160 offset1:176
	ds_read_b128 v[36:39], v23 offset:1072
	s_waitcnt lgkmcnt(4)
	v_fma_f64 v[40:41], v[24:25], v[2:3], v[40:41]
	v_fma_f64 v[2:3], v[26:27], v[2:3], v[6:7]
	s_waitcnt lgkmcnt(3)
	v_fma_f64 v[6:7], v[24:25], v[12:13], v[16:17]
	v_fma_f64 v[12:13], v[26:27], v[12:13], v[42:43]
	ds_read2_b64 v[24:27], v22 offset0:192 offset1:208
	s_waitcnt lgkmcnt(2)
	v_fma_f64 v[40:41], v[32:33], v[4:5], v[40:41]
	v_fma_f64 v[2:3], v[34:35], v[4:5], v[2:3]
	;; [unrolled: 1-line block ×4, first 2 shown]
	ds_read2_b64 v[14:17], v22 offset0:224 offset1:240
	s_waitcnt lgkmcnt(0)
	s_barrier
	buffer_gl0_inv
	v_fma_f64 v[12:13], v[24:25], v[28:29], v[40:41]
	v_fma_f64 v[2:3], v[26:27], v[28:29], v[2:3]
	;; [unrolled: 1-line block ×8, first 2 shown]
	s_cbranch_scc0 .LBB344_10
.LBB344_6:                              ; =>This Inner Loop Header: Depth=1
	v_add_nc_u32_e32 v14, s9, v19
	v_cmp_gt_i32_e64 s1, s3, v14
	v_mov_b32_e32 v14, 0
	v_mov_b32_e32 v15, 0
	s_and_b32 s18, vcc_lo, s1
	s_and_saveexec_b32 s1, s18
	s_cbranch_execz .LBB344_8
; %bb.7:                                ;   in Loop: Header=BB344_6 Depth=1
	flat_load_dwordx2 v[14:15], v[8:9]
.LBB344_8:                              ;   in Loop: Header=BB344_6 Depth=1
	s_or_b32 exec_lo, exec_lo, s1
	v_add_nc_u32_e32 v16, s9, v18
	s_waitcnt vmcnt(0) lgkmcnt(0)
	ds_write_b64 v20, v[14:15]
	v_cmp_gt_i32_e64 s1, s3, v16
	v_mov_b32_e32 v16, 0
	v_mov_b32_e32 v17, 0
	s_and_b32 s18, s1, s0
	s_and_saveexec_b32 s1, s18
	s_cbranch_execz .LBB344_5
; %bb.9:                                ;   in Loop: Header=BB344_6 Depth=1
	flat_load_dwordx2 v[16:17], v[10:11]
	s_branch .LBB344_5
.LBB344_10:
	s_clause 0x1
	s_load_dword s3, s[4:5], 0x50
	s_load_dwordx2 s[4:5], s[4:5], 0x58
	v_cmp_neq_f64_e64 s6, s[14:15], 0
	v_add_nc_u32_e32 v15, s28, v1
	v_add_nc_u32_e32 v0, s8, v0
	v_cmp_gt_i32_e64 s0, s2, v15
	v_cmp_le_i32_e32 vcc_lo, v0, v15
	v_ashrrev_i32_e32 v1, 31, v0
	s_waitcnt lgkmcnt(0)
	v_mad_i64_i32 v[8:9], null, v15, s3, 0
	s_lshl_b64 s[4:5], s[4:5], 3
	s_add_u32 s4, s10, s4
	s_addc_u32 s5, s11, s5
	v_cndmask_b32_e64 v14, 0, 1, s6
	s_and_b32 s7, s0, vcc_lo
	v_lshlrev_b64 v[8:9], 3, v[8:9]
	v_add_co_u32 v16, s1, s4, v8
	v_add_co_ci_u32_e64 v17, null, s5, v9, s1
	s_and_saveexec_b32 s1, s7
	s_cbranch_execz .LBB344_14
; %bb.11:
	v_mul_f64 v[8:9], s[16:17], v[12:13]
	v_lshlrev_b64 v[10:11], 3, v[0:1]
	v_add_co_u32 v10, vcc_lo, v16, v10
	v_add_co_ci_u32_e64 v11, null, v17, v11, vcc_lo
	s_andn2_b32 vcc_lo, exec_lo, s6
	s_cbranch_vccnz .LBB344_13
; %bb.12:
	flat_load_dwordx2 v[12:13], v[10:11]
	s_waitcnt vmcnt(0) lgkmcnt(0)
	v_fma_f64 v[8:9], s[14:15], v[12:13], v[8:9]
.LBB344_13:
	flat_store_dwordx2 v[10:11], v[8:9]
.LBB344_14:
	s_or_b32 exec_lo, exec_lo, s1
	v_add_nc_u32_e32 v8, 16, v0
	v_cmp_le_i32_e32 vcc_lo, v8, v15
	v_ashrrev_i32_e32 v9, 31, v8
	s_and_b32 s0, s0, vcc_lo
	s_and_saveexec_b32 s1, s0
	s_cbranch_execz .LBB344_18
; %bb.15:
	v_mul_f64 v[6:7], s[16:17], v[6:7]
	v_lshlrev_b64 v[10:11], 3, v[8:9]
	v_cmp_ne_u32_e32 vcc_lo, 1, v14
	v_add_co_u32 v10, s0, v16, v10
	v_add_co_ci_u32_e64 v11, null, v17, v11, s0
	s_cbranch_vccnz .LBB344_17
; %bb.16:
	flat_load_dwordx2 v[12:13], v[10:11]
	s_waitcnt vmcnt(0) lgkmcnt(0)
	v_fma_f64 v[6:7], s[14:15], v[12:13], v[6:7]
.LBB344_17:
	flat_store_dwordx2 v[10:11], v[6:7]
.LBB344_18:
	s_or_b32 exec_lo, exec_lo, s1
	v_add_nc_u32_e32 v10, 16, v15
	v_mad_i64_i32 v[6:7], null, v10, s3, 0
	v_cmp_gt_i32_e64 s0, s2, v10
	v_cmp_le_i32_e32 vcc_lo, v0, v10
	v_lshlrev_b64 v[6:7], 3, v[6:7]
	v_add_co_u32 v6, s1, s4, v6
	v_add_co_ci_u32_e64 v7, null, s5, v7, s1
	s_and_b32 s1, s0, vcc_lo
	s_and_saveexec_b32 s2, s1
	s_cbranch_execz .LBB344_22
; %bb.19:
	v_mul_f64 v[4:5], s[16:17], v[4:5]
	v_lshlrev_b64 v[0:1], 3, v[0:1]
	v_cmp_ne_u32_e32 vcc_lo, 1, v14
	v_add_co_u32 v0, s1, v6, v0
	v_add_co_ci_u32_e64 v1, null, v7, v1, s1
	s_cbranch_vccnz .LBB344_21
; %bb.20:
	flat_load_dwordx2 v[11:12], v[0:1]
	s_waitcnt vmcnt(0) lgkmcnt(0)
	v_fma_f64 v[4:5], s[14:15], v[11:12], v[4:5]
.LBB344_21:
	flat_store_dwordx2 v[0:1], v[4:5]
.LBB344_22:
	s_or_b32 exec_lo, exec_lo, s2
	v_cmp_le_i32_e32 vcc_lo, v8, v10
	s_and_b32 s0, s0, vcc_lo
	s_and_saveexec_b32 s1, s0
	s_cbranch_execz .LBB344_26
; %bb.23:
	v_mul_f64 v[0:1], s[16:17], v[2:3]
	v_lshlrev_b64 v[2:3], 3, v[8:9]
	v_cmp_ne_u32_e32 vcc_lo, 1, v14
	v_add_co_u32 v2, s0, v6, v2
	v_add_co_ci_u32_e64 v3, null, v7, v3, s0
	s_cbranch_vccnz .LBB344_25
; %bb.24:
	flat_load_dwordx2 v[4:5], v[2:3]
	s_waitcnt vmcnt(0) lgkmcnt(0)
	v_fma_f64 v[0:1], s[14:15], v[4:5], v[0:1]
.LBB344_25:
	flat_store_dwordx2 v[2:3], v[0:1]
.LBB344_26:
	s_endpgm
	.section	.rodata,"a",@progbits
	.p2align	6, 0x0
	.amdhsa_kernel _ZL29rocblas_internal_gemmt_kernelIiLi16ELi32ELi8ELc78ELc67ELc85ELb0ELb0EddPKPKdPKPdEviT_T9_T10_S7_lS9_S7_lS8_T11_S7_li
		.amdhsa_group_segment_fixed_size 4096
		.amdhsa_private_segment_fixed_size 0
		.amdhsa_kernarg_size 100
		.amdhsa_user_sgpr_count 6
		.amdhsa_user_sgpr_private_segment_buffer 1
		.amdhsa_user_sgpr_dispatch_ptr 0
		.amdhsa_user_sgpr_queue_ptr 0
		.amdhsa_user_sgpr_kernarg_segment_ptr 1
		.amdhsa_user_sgpr_dispatch_id 0
		.amdhsa_user_sgpr_flat_scratch_init 0
		.amdhsa_user_sgpr_private_segment_size 0
		.amdhsa_wavefront_size32 1
		.amdhsa_uses_dynamic_stack 0
		.amdhsa_system_sgpr_private_segment_wavefront_offset 0
		.amdhsa_system_sgpr_workgroup_id_x 1
		.amdhsa_system_sgpr_workgroup_id_y 1
		.amdhsa_system_sgpr_workgroup_id_z 1
		.amdhsa_system_sgpr_workgroup_info 0
		.amdhsa_system_vgpr_workitem_id 1
		.amdhsa_next_free_vgpr 44
		.amdhsa_next_free_sgpr 29
		.amdhsa_reserve_vcc 1
		.amdhsa_reserve_flat_scratch 0
		.amdhsa_float_round_mode_32 0
		.amdhsa_float_round_mode_16_64 0
		.amdhsa_float_denorm_mode_32 3
		.amdhsa_float_denorm_mode_16_64 3
		.amdhsa_dx10_clamp 1
		.amdhsa_ieee_mode 1
		.amdhsa_fp16_overflow 0
		.amdhsa_workgroup_processor_mode 1
		.amdhsa_memory_ordered 1
		.amdhsa_forward_progress 1
		.amdhsa_shared_vgpr_count 0
		.amdhsa_exception_fp_ieee_invalid_op 0
		.amdhsa_exception_fp_denorm_src 0
		.amdhsa_exception_fp_ieee_div_zero 0
		.amdhsa_exception_fp_ieee_overflow 0
		.amdhsa_exception_fp_ieee_underflow 0
		.amdhsa_exception_fp_ieee_inexact 0
		.amdhsa_exception_int_div_zero 0
	.end_amdhsa_kernel
	.section	.text._ZL29rocblas_internal_gemmt_kernelIiLi16ELi32ELi8ELc78ELc67ELc85ELb0ELb0EddPKPKdPKPdEviT_T9_T10_S7_lS9_S7_lS8_T11_S7_li,"axG",@progbits,_ZL29rocblas_internal_gemmt_kernelIiLi16ELi32ELi8ELc78ELc67ELc85ELb0ELb0EddPKPKdPKPdEviT_T9_T10_S7_lS9_S7_lS8_T11_S7_li,comdat
.Lfunc_end344:
	.size	_ZL29rocblas_internal_gemmt_kernelIiLi16ELi32ELi8ELc78ELc67ELc85ELb0ELb0EddPKPKdPKPdEviT_T9_T10_S7_lS9_S7_lS8_T11_S7_li, .Lfunc_end344-_ZL29rocblas_internal_gemmt_kernelIiLi16ELi32ELi8ELc78ELc67ELc85ELb0ELb0EddPKPKdPKPdEviT_T9_T10_S7_lS9_S7_lS8_T11_S7_li
                                        ; -- End function
	.set _ZL29rocblas_internal_gemmt_kernelIiLi16ELi32ELi8ELc78ELc67ELc85ELb0ELb0EddPKPKdPKPdEviT_T9_T10_S7_lS9_S7_lS8_T11_S7_li.num_vgpr, 44
	.set _ZL29rocblas_internal_gemmt_kernelIiLi16ELi32ELi8ELc78ELc67ELc85ELb0ELb0EddPKPKdPKPdEviT_T9_T10_S7_lS9_S7_lS8_T11_S7_li.num_agpr, 0
	.set _ZL29rocblas_internal_gemmt_kernelIiLi16ELi32ELi8ELc78ELc67ELc85ELb0ELb0EddPKPKdPKPdEviT_T9_T10_S7_lS9_S7_lS8_T11_S7_li.numbered_sgpr, 29
	.set _ZL29rocblas_internal_gemmt_kernelIiLi16ELi32ELi8ELc78ELc67ELc85ELb0ELb0EddPKPKdPKPdEviT_T9_T10_S7_lS9_S7_lS8_T11_S7_li.num_named_barrier, 0
	.set _ZL29rocblas_internal_gemmt_kernelIiLi16ELi32ELi8ELc78ELc67ELc85ELb0ELb0EddPKPKdPKPdEviT_T9_T10_S7_lS9_S7_lS8_T11_S7_li.private_seg_size, 0
	.set _ZL29rocblas_internal_gemmt_kernelIiLi16ELi32ELi8ELc78ELc67ELc85ELb0ELb0EddPKPKdPKPdEviT_T9_T10_S7_lS9_S7_lS8_T11_S7_li.uses_vcc, 1
	.set _ZL29rocblas_internal_gemmt_kernelIiLi16ELi32ELi8ELc78ELc67ELc85ELb0ELb0EddPKPKdPKPdEviT_T9_T10_S7_lS9_S7_lS8_T11_S7_li.uses_flat_scratch, 0
	.set _ZL29rocblas_internal_gemmt_kernelIiLi16ELi32ELi8ELc78ELc67ELc85ELb0ELb0EddPKPKdPKPdEviT_T9_T10_S7_lS9_S7_lS8_T11_S7_li.has_dyn_sized_stack, 0
	.set _ZL29rocblas_internal_gemmt_kernelIiLi16ELi32ELi8ELc78ELc67ELc85ELb0ELb0EddPKPKdPKPdEviT_T9_T10_S7_lS9_S7_lS8_T11_S7_li.has_recursion, 0
	.set _ZL29rocblas_internal_gemmt_kernelIiLi16ELi32ELi8ELc78ELc67ELc85ELb0ELb0EddPKPKdPKPdEviT_T9_T10_S7_lS9_S7_lS8_T11_S7_li.has_indirect_call, 0
	.section	.AMDGPU.csdata,"",@progbits
; Kernel info:
; codeLenInByte = 1672
; TotalNumSgprs: 31
; NumVgprs: 44
; ScratchSize: 0
; MemoryBound: 0
; FloatMode: 240
; IeeeMode: 1
; LDSByteSize: 4096 bytes/workgroup (compile time only)
; SGPRBlocks: 0
; VGPRBlocks: 5
; NumSGPRsForWavesPerEU: 31
; NumVGPRsForWavesPerEU: 44
; Occupancy: 16
; WaveLimiterHint : 1
; COMPUTE_PGM_RSRC2:SCRATCH_EN: 0
; COMPUTE_PGM_RSRC2:USER_SGPR: 6
; COMPUTE_PGM_RSRC2:TRAP_HANDLER: 0
; COMPUTE_PGM_RSRC2:TGID_X_EN: 1
; COMPUTE_PGM_RSRC2:TGID_Y_EN: 1
; COMPUTE_PGM_RSRC2:TGID_Z_EN: 1
; COMPUTE_PGM_RSRC2:TIDIG_COMP_CNT: 1
	.section	.text._ZL29rocblas_internal_gemmt_kernelIiLi16ELi32ELi8ELc84ELc78ELc85ELb0ELb0EddPKPKdPKPdEviT_T9_T10_S7_lS9_S7_lS8_T11_S7_li,"axG",@progbits,_ZL29rocblas_internal_gemmt_kernelIiLi16ELi32ELi8ELc84ELc78ELc85ELb0ELb0EddPKPKdPKPdEviT_T9_T10_S7_lS9_S7_lS8_T11_S7_li,comdat
	.globl	_ZL29rocblas_internal_gemmt_kernelIiLi16ELi32ELi8ELc84ELc78ELc85ELb0ELb0EddPKPKdPKPdEviT_T9_T10_S7_lS9_S7_lS8_T11_S7_li ; -- Begin function _ZL29rocblas_internal_gemmt_kernelIiLi16ELi32ELi8ELc84ELc78ELc85ELb0ELb0EddPKPKdPKPdEviT_T9_T10_S7_lS9_S7_lS8_T11_S7_li
	.p2align	8
	.type	_ZL29rocblas_internal_gemmt_kernelIiLi16ELi32ELi8ELc84ELc78ELc85ELb0ELb0EddPKPKdPKPdEviT_T9_T10_S7_lS9_S7_lS8_T11_S7_li,@function
_ZL29rocblas_internal_gemmt_kernelIiLi16ELi32ELi8ELc84ELc78ELc85ELb0ELb0EddPKPKdPKPdEviT_T9_T10_S7_lS9_S7_lS8_T11_S7_li: ; @_ZL29rocblas_internal_gemmt_kernelIiLi16ELi32ELi8ELc84ELc78ELc85ELb0ELb0EddPKPKdPKPdEviT_T9_T10_S7_lS9_S7_lS8_T11_S7_li
; %bb.0:
	s_clause 0x2
	s_load_dwordx4 s[12:15], s[4:5], 0x38
	s_load_dwordx2 s[2:3], s[4:5], 0x0
	s_load_dwordx4 s[16:19], s[4:5], 0x8
	s_waitcnt lgkmcnt(0)
	v_cmp_neq_f64_e64 s0, s[14:15], 1.0
	s_and_b32 vcc_lo, exec_lo, s0
	s_cbranch_vccnz .LBB345_2
; %bb.1:
	v_cmp_neq_f64_e64 s0, s[16:17], 0
	s_cmp_lg_u32 s3, 0
	s_cselect_b32 s1, -1, 0
	s_and_b32 s0, s1, s0
.LBB345_2:
	s_andn2_b32 vcc_lo, exec_lo, s0
	s_cbranch_vccnz .LBB345_26
; %bb.3:
	s_load_dwordx2 s[10:11], s[4:5], 0x48
	s_mov_b32 s9, 0
	v_cmp_eq_f64_e64 s20, s[16:17], 0
	s_lshl_b64 s[0:1], s[8:9], 3
	v_mov_b32_e32 v12, 0
	v_mov_b32_e32 v6, 0
	v_mov_b32_e32 v4, 0
	v_mov_b32_e32 v2, 0
	v_mov_b32_e32 v13, 0
	v_mov_b32_e32 v7, 0
	v_mov_b32_e32 v5, 0
	v_mov_b32_e32 v3, 0
	s_waitcnt lgkmcnt(0)
	s_add_u32 s10, s10, s0
	s_addc_u32 s11, s11, s1
	s_lshl_b32 s6, s6, 5
	s_load_dwordx2 s[10:11], s[10:11], 0x0
	s_lshl_b32 s7, s7, 5
	s_cmp_lt_i32 s3, 1
	s_cselect_b32 s8, -1, 0
	s_or_b32 s8, s20, s8
	s_and_b32 vcc_lo, exec_lo, s8
	s_cbranch_vccnz .LBB345_10
; %bb.4:
	s_clause 0x2
	s_load_dword s8, s[4:5], 0x18
	s_load_dwordx4 s[20:23], s[4:5], 0x20
	s_load_dword s24, s[4:5], 0x30
	v_lshl_add_u32 v2, v1, 4, v0
	v_and_b32_e32 v18, 7, v0
	v_mov_b32_e32 v12, 0
	v_lshlrev_b32_e32 v19, 3, v0
	v_lshl_add_u32 v20, v1, 6, 0x800
	v_and_b32_e32 v4, 31, v2
	v_lshrrev_b32_e32 v3, 3, v2
	v_lshrrev_b32_e32 v21, 5, v2
	v_lshlrev_b32_e32 v6, 3, v18
	v_mov_b32_e32 v13, 0
	v_or_b32_e32 v2, s6, v4
	v_lshlrev_b32_e32 v7, 3, v4
	v_add_nc_u32_e32 v4, s6, v4
	v_add_nc_u32_e32 v5, s7, v3
	v_lshl_or_b32 v8, v3, 6, v6
	v_cmp_gt_i32_e32 vcc_lo, s2, v2
	v_lshl_or_b32 v22, v21, 8, v7
	s_waitcnt lgkmcnt(0)
	v_mad_i64_i32 v[2:3], null, s8, v4, 0
	s_add_u32 s22, s22, s0
	s_addc_u32 s23, s23, s1
	s_add_u32 s18, s18, s0
	s_addc_u32 s19, s19, s1
	v_cmp_gt_i32_e64 s0, s2, v5
	s_load_dwordx2 s[18:19], s[18:19], 0x0
	v_lshlrev_b64 v[2:3], 3, v[2:3]
	v_mad_i64_i32 v[4:5], null, s24, v5, 0
	s_load_dwordx2 s[22:23], s[22:23], 0x0
	s_lshl_b64 s[20:21], s[20:21], 3
	v_lshlrev_b32_e32 v9, 3, v21
	v_add_co_u32 v7, s1, v2, s20
	v_add_nc_u32_e32 v23, 0x800, v8
	v_add_co_ci_u32_e64 v8, null, s21, v3, s1
	v_lshlrev_b64 v[2:3], 3, v[4:5]
	v_add_co_u32 v4, s1, v7, v9
	s_lshl_b64 s[12:13], s[12:13], 3
	v_add_co_ci_u32_e64 v5, null, 0, v8, s1
	v_add_co_u32 v2, s1, v2, s12
	v_add_co_ci_u32_e64 v3, null, s13, v3, s1
	s_waitcnt lgkmcnt(0)
	v_add_co_u32 v8, s1, s18, v4
	v_add_co_ci_u32_e64 v9, null, s19, v5, s1
	v_add_co_u32 v10, s1, v2, v6
	v_add_co_ci_u32_e64 v11, null, 0, v3, s1
	v_mov_b32_e32 v2, 0
	v_add_co_u32 v10, s1, s22, v10
	v_mov_b32_e32 v4, 0
	v_mov_b32_e32 v6, 0
	;; [unrolled: 1-line block ×5, first 2 shown]
	v_add_co_ci_u32_e64 v11, null, s23, v11, s1
	s_branch .LBB345_6
.LBB345_5:                              ;   in Loop: Header=BB345_6 Depth=1
	s_or_b32 exec_lo, exec_lo, s1
	s_waitcnt vmcnt(0) lgkmcnt(0)
	ds_write_b64 v23, v[16:17]
	s_waitcnt lgkmcnt(0)
	s_barrier
	buffer_gl0_inv
	ds_read_b128 v[14:17], v20
	ds_read2_b64 v[24:27], v19 offset1:16
	ds_read_b128 v[28:31], v20 offset:1024
	ds_read_b128 v[32:35], v20 offset:16
	ds_read2_b64 v[36:39], v19 offset0:32 offset1:48
	ds_read_b128 v[40:43], v20 offset:1040
	v_add_co_u32 v8, s1, v8, 64
	v_add_co_ci_u32_e64 v9, null, 0, v9, s1
	v_add_co_u32 v10, s1, v10, 64
	v_add_co_ci_u32_e64 v11, null, 0, v11, s1
	s_add_i32 s9, s9, 8
	s_cmp_lt_i32 s9, s3
	s_waitcnt lgkmcnt(4)
	v_fma_f64 v[12:13], v[24:25], v[14:15], v[12:13]
	v_fma_f64 v[6:7], v[26:27], v[14:15], v[6:7]
	s_waitcnt lgkmcnt(3)
	v_fma_f64 v[14:15], v[24:25], v[28:29], v[4:5]
	v_fma_f64 v[24:25], v[26:27], v[28:29], v[2:3]
	ds_read2_b64 v[2:5], v19 offset0:64 offset1:80
	s_waitcnt lgkmcnt(2)
	v_fma_f64 v[26:27], v[36:37], v[16:17], v[12:13]
	v_fma_f64 v[6:7], v[38:39], v[16:17], v[6:7]
	;; [unrolled: 1-line block ×4, first 2 shown]
	ds_read2_b64 v[12:15], v19 offset0:96 offset1:112
	s_waitcnt lgkmcnt(1)
	v_fma_f64 v[28:29], v[2:3], v[32:33], v[26:27]
	v_fma_f64 v[6:7], v[4:5], v[32:33], v[6:7]
	;; [unrolled: 1-line block ×4, first 2 shown]
	ds_read_b128 v[2:5], v20 offset:32
	ds_read2_b64 v[24:27], v19 offset0:128 offset1:144
	s_waitcnt lgkmcnt(2)
	v_fma_f64 v[40:41], v[12:13], v[34:35], v[28:29]
	v_fma_f64 v[6:7], v[14:15], v[34:35], v[6:7]
	;; [unrolled: 1-line block ×4, first 2 shown]
	ds_read_b128 v[12:15], v20 offset:1056
	ds_read_b128 v[28:31], v20 offset:48
	ds_read2_b64 v[32:35], v19 offset0:160 offset1:176
	ds_read_b128 v[36:39], v20 offset:1072
	s_waitcnt lgkmcnt(4)
	v_fma_f64 v[40:41], v[24:25], v[2:3], v[40:41]
	v_fma_f64 v[2:3], v[26:27], v[2:3], v[6:7]
	s_waitcnt lgkmcnt(3)
	v_fma_f64 v[6:7], v[24:25], v[12:13], v[16:17]
	v_fma_f64 v[12:13], v[26:27], v[12:13], v[42:43]
	ds_read2_b64 v[24:27], v19 offset0:192 offset1:208
	s_waitcnt lgkmcnt(2)
	v_fma_f64 v[40:41], v[32:33], v[4:5], v[40:41]
	v_fma_f64 v[2:3], v[34:35], v[4:5], v[2:3]
	;; [unrolled: 1-line block ×4, first 2 shown]
	ds_read2_b64 v[14:17], v19 offset0:224 offset1:240
	s_waitcnt lgkmcnt(0)
	s_barrier
	buffer_gl0_inv
	v_fma_f64 v[12:13], v[24:25], v[28:29], v[40:41]
	v_fma_f64 v[2:3], v[26:27], v[28:29], v[2:3]
	;; [unrolled: 1-line block ×8, first 2 shown]
	s_cbranch_scc0 .LBB345_10
.LBB345_6:                              ; =>This Inner Loop Header: Depth=1
	v_add_nc_u32_e32 v14, s9, v21
	v_cmp_gt_i32_e64 s1, s3, v14
	v_mov_b32_e32 v14, 0
	v_mov_b32_e32 v15, 0
	s_and_b32 s8, vcc_lo, s1
	s_and_saveexec_b32 s1, s8
	s_cbranch_execz .LBB345_8
; %bb.7:                                ;   in Loop: Header=BB345_6 Depth=1
	flat_load_dwordx2 v[14:15], v[8:9]
.LBB345_8:                              ;   in Loop: Header=BB345_6 Depth=1
	s_or_b32 exec_lo, exec_lo, s1
	v_add_nc_u32_e32 v16, s9, v18
	s_waitcnt vmcnt(0) lgkmcnt(0)
	ds_write_b64 v22, v[14:15]
	v_cmp_gt_i32_e64 s1, s3, v16
	v_mov_b32_e32 v16, 0
	v_mov_b32_e32 v17, 0
	s_and_b32 s8, s1, s0
	s_and_saveexec_b32 s1, s8
	s_cbranch_execz .LBB345_5
; %bb.9:                                ;   in Loop: Header=BB345_6 Depth=1
	flat_load_dwordx2 v[16:17], v[10:11]
	s_branch .LBB345_5
.LBB345_10:
	s_clause 0x1
	s_load_dword s3, s[4:5], 0x50
	s_load_dwordx2 s[4:5], s[4:5], 0x58
	v_add_nc_u32_e32 v0, s6, v0
	v_cmp_neq_f64_e64 s6, s[14:15], 0
	v_add_nc_u32_e32 v15, s7, v1
	v_ashrrev_i32_e32 v1, 31, v0
	v_cmp_gt_i32_e64 s0, s2, v15
	v_cmp_le_i32_e32 vcc_lo, v0, v15
	s_waitcnt lgkmcnt(0)
	v_mad_i64_i32 v[8:9], null, v15, s3, 0
	s_lshl_b64 s[4:5], s[4:5], 3
	s_add_u32 s4, s10, s4
	s_addc_u32 s5, s11, s5
	v_cndmask_b32_e64 v14, 0, 1, s6
	s_and_b32 s7, s0, vcc_lo
	v_lshlrev_b64 v[8:9], 3, v[8:9]
	v_add_co_u32 v16, s1, s4, v8
	v_add_co_ci_u32_e64 v17, null, s5, v9, s1
	s_and_saveexec_b32 s1, s7
	s_cbranch_execz .LBB345_14
; %bb.11:
	v_mul_f64 v[8:9], s[16:17], v[12:13]
	v_lshlrev_b64 v[10:11], 3, v[0:1]
	v_add_co_u32 v10, vcc_lo, v16, v10
	v_add_co_ci_u32_e64 v11, null, v17, v11, vcc_lo
	s_andn2_b32 vcc_lo, exec_lo, s6
	s_cbranch_vccnz .LBB345_13
; %bb.12:
	flat_load_dwordx2 v[12:13], v[10:11]
	s_waitcnt vmcnt(0) lgkmcnt(0)
	v_fma_f64 v[8:9], s[14:15], v[12:13], v[8:9]
.LBB345_13:
	flat_store_dwordx2 v[10:11], v[8:9]
.LBB345_14:
	s_or_b32 exec_lo, exec_lo, s1
	v_add_nc_u32_e32 v8, 16, v0
	v_cmp_le_i32_e32 vcc_lo, v8, v15
	v_ashrrev_i32_e32 v9, 31, v8
	s_and_b32 s0, s0, vcc_lo
	s_and_saveexec_b32 s1, s0
	s_cbranch_execz .LBB345_18
; %bb.15:
	v_mul_f64 v[6:7], s[16:17], v[6:7]
	v_lshlrev_b64 v[10:11], 3, v[8:9]
	v_cmp_ne_u32_e32 vcc_lo, 1, v14
	v_add_co_u32 v10, s0, v16, v10
	v_add_co_ci_u32_e64 v11, null, v17, v11, s0
	s_cbranch_vccnz .LBB345_17
; %bb.16:
	flat_load_dwordx2 v[12:13], v[10:11]
	s_waitcnt vmcnt(0) lgkmcnt(0)
	v_fma_f64 v[6:7], s[14:15], v[12:13], v[6:7]
.LBB345_17:
	flat_store_dwordx2 v[10:11], v[6:7]
.LBB345_18:
	s_or_b32 exec_lo, exec_lo, s1
	v_add_nc_u32_e32 v10, 16, v15
	v_mad_i64_i32 v[6:7], null, v10, s3, 0
	v_cmp_gt_i32_e64 s0, s2, v10
	v_cmp_le_i32_e32 vcc_lo, v0, v10
	v_lshlrev_b64 v[6:7], 3, v[6:7]
	v_add_co_u32 v6, s1, s4, v6
	v_add_co_ci_u32_e64 v7, null, s5, v7, s1
	s_and_b32 s1, s0, vcc_lo
	s_and_saveexec_b32 s2, s1
	s_cbranch_execz .LBB345_22
; %bb.19:
	v_mul_f64 v[4:5], s[16:17], v[4:5]
	v_lshlrev_b64 v[0:1], 3, v[0:1]
	v_cmp_ne_u32_e32 vcc_lo, 1, v14
	v_add_co_u32 v0, s1, v6, v0
	v_add_co_ci_u32_e64 v1, null, v7, v1, s1
	s_cbranch_vccnz .LBB345_21
; %bb.20:
	flat_load_dwordx2 v[11:12], v[0:1]
	s_waitcnt vmcnt(0) lgkmcnt(0)
	v_fma_f64 v[4:5], s[14:15], v[11:12], v[4:5]
.LBB345_21:
	flat_store_dwordx2 v[0:1], v[4:5]
.LBB345_22:
	s_or_b32 exec_lo, exec_lo, s2
	v_cmp_le_i32_e32 vcc_lo, v8, v10
	s_and_b32 s0, s0, vcc_lo
	s_and_saveexec_b32 s1, s0
	s_cbranch_execz .LBB345_26
; %bb.23:
	v_mul_f64 v[0:1], s[16:17], v[2:3]
	v_lshlrev_b64 v[2:3], 3, v[8:9]
	v_cmp_ne_u32_e32 vcc_lo, 1, v14
	v_add_co_u32 v2, s0, v6, v2
	v_add_co_ci_u32_e64 v3, null, v7, v3, s0
	s_cbranch_vccnz .LBB345_25
; %bb.24:
	flat_load_dwordx2 v[4:5], v[2:3]
	s_waitcnt vmcnt(0) lgkmcnt(0)
	v_fma_f64 v[0:1], s[14:15], v[4:5], v[0:1]
.LBB345_25:
	flat_store_dwordx2 v[2:3], v[0:1]
.LBB345_26:
	s_endpgm
	.section	.rodata,"a",@progbits
	.p2align	6, 0x0
	.amdhsa_kernel _ZL29rocblas_internal_gemmt_kernelIiLi16ELi32ELi8ELc84ELc78ELc85ELb0ELb0EddPKPKdPKPdEviT_T9_T10_S7_lS9_S7_lS8_T11_S7_li
		.amdhsa_group_segment_fixed_size 4096
		.amdhsa_private_segment_fixed_size 0
		.amdhsa_kernarg_size 100
		.amdhsa_user_sgpr_count 6
		.amdhsa_user_sgpr_private_segment_buffer 1
		.amdhsa_user_sgpr_dispatch_ptr 0
		.amdhsa_user_sgpr_queue_ptr 0
		.amdhsa_user_sgpr_kernarg_segment_ptr 1
		.amdhsa_user_sgpr_dispatch_id 0
		.amdhsa_user_sgpr_flat_scratch_init 0
		.amdhsa_user_sgpr_private_segment_size 0
		.amdhsa_wavefront_size32 1
		.amdhsa_uses_dynamic_stack 0
		.amdhsa_system_sgpr_private_segment_wavefront_offset 0
		.amdhsa_system_sgpr_workgroup_id_x 1
		.amdhsa_system_sgpr_workgroup_id_y 1
		.amdhsa_system_sgpr_workgroup_id_z 1
		.amdhsa_system_sgpr_workgroup_info 0
		.amdhsa_system_vgpr_workitem_id 1
		.amdhsa_next_free_vgpr 44
		.amdhsa_next_free_sgpr 25
		.amdhsa_reserve_vcc 1
		.amdhsa_reserve_flat_scratch 0
		.amdhsa_float_round_mode_32 0
		.amdhsa_float_round_mode_16_64 0
		.amdhsa_float_denorm_mode_32 3
		.amdhsa_float_denorm_mode_16_64 3
		.amdhsa_dx10_clamp 1
		.amdhsa_ieee_mode 1
		.amdhsa_fp16_overflow 0
		.amdhsa_workgroup_processor_mode 1
		.amdhsa_memory_ordered 1
		.amdhsa_forward_progress 1
		.amdhsa_shared_vgpr_count 0
		.amdhsa_exception_fp_ieee_invalid_op 0
		.amdhsa_exception_fp_denorm_src 0
		.amdhsa_exception_fp_ieee_div_zero 0
		.amdhsa_exception_fp_ieee_overflow 0
		.amdhsa_exception_fp_ieee_underflow 0
		.amdhsa_exception_fp_ieee_inexact 0
		.amdhsa_exception_int_div_zero 0
	.end_amdhsa_kernel
	.section	.text._ZL29rocblas_internal_gemmt_kernelIiLi16ELi32ELi8ELc84ELc78ELc85ELb0ELb0EddPKPKdPKPdEviT_T9_T10_S7_lS9_S7_lS8_T11_S7_li,"axG",@progbits,_ZL29rocblas_internal_gemmt_kernelIiLi16ELi32ELi8ELc84ELc78ELc85ELb0ELb0EddPKPKdPKPdEviT_T9_T10_S7_lS9_S7_lS8_T11_S7_li,comdat
.Lfunc_end345:
	.size	_ZL29rocblas_internal_gemmt_kernelIiLi16ELi32ELi8ELc84ELc78ELc85ELb0ELb0EddPKPKdPKPdEviT_T9_T10_S7_lS9_S7_lS8_T11_S7_li, .Lfunc_end345-_ZL29rocblas_internal_gemmt_kernelIiLi16ELi32ELi8ELc84ELc78ELc85ELb0ELb0EddPKPKdPKPdEviT_T9_T10_S7_lS9_S7_lS8_T11_S7_li
                                        ; -- End function
	.set _ZL29rocblas_internal_gemmt_kernelIiLi16ELi32ELi8ELc84ELc78ELc85ELb0ELb0EddPKPKdPKPdEviT_T9_T10_S7_lS9_S7_lS8_T11_S7_li.num_vgpr, 44
	.set _ZL29rocblas_internal_gemmt_kernelIiLi16ELi32ELi8ELc84ELc78ELc85ELb0ELb0EddPKPKdPKPdEviT_T9_T10_S7_lS9_S7_lS8_T11_S7_li.num_agpr, 0
	.set _ZL29rocblas_internal_gemmt_kernelIiLi16ELi32ELi8ELc84ELc78ELc85ELb0ELb0EddPKPKdPKPdEviT_T9_T10_S7_lS9_S7_lS8_T11_S7_li.numbered_sgpr, 25
	.set _ZL29rocblas_internal_gemmt_kernelIiLi16ELi32ELi8ELc84ELc78ELc85ELb0ELb0EddPKPKdPKPdEviT_T9_T10_S7_lS9_S7_lS8_T11_S7_li.num_named_barrier, 0
	.set _ZL29rocblas_internal_gemmt_kernelIiLi16ELi32ELi8ELc84ELc78ELc85ELb0ELb0EddPKPKdPKPdEviT_T9_T10_S7_lS9_S7_lS8_T11_S7_li.private_seg_size, 0
	.set _ZL29rocblas_internal_gemmt_kernelIiLi16ELi32ELi8ELc84ELc78ELc85ELb0ELb0EddPKPKdPKPdEviT_T9_T10_S7_lS9_S7_lS8_T11_S7_li.uses_vcc, 1
	.set _ZL29rocblas_internal_gemmt_kernelIiLi16ELi32ELi8ELc84ELc78ELc85ELb0ELb0EddPKPKdPKPdEviT_T9_T10_S7_lS9_S7_lS8_T11_S7_li.uses_flat_scratch, 0
	.set _ZL29rocblas_internal_gemmt_kernelIiLi16ELi32ELi8ELc84ELc78ELc85ELb0ELb0EddPKPKdPKPdEviT_T9_T10_S7_lS9_S7_lS8_T11_S7_li.has_dyn_sized_stack, 0
	.set _ZL29rocblas_internal_gemmt_kernelIiLi16ELi32ELi8ELc84ELc78ELc85ELb0ELb0EddPKPKdPKPdEviT_T9_T10_S7_lS9_S7_lS8_T11_S7_li.has_recursion, 0
	.set _ZL29rocblas_internal_gemmt_kernelIiLi16ELi32ELi8ELc84ELc78ELc85ELb0ELb0EddPKPKdPKPdEviT_T9_T10_S7_lS9_S7_lS8_T11_S7_li.has_indirect_call, 0
	.section	.AMDGPU.csdata,"",@progbits
; Kernel info:
; codeLenInByte = 1636
; TotalNumSgprs: 27
; NumVgprs: 44
; ScratchSize: 0
; MemoryBound: 0
; FloatMode: 240
; IeeeMode: 1
; LDSByteSize: 4096 bytes/workgroup (compile time only)
; SGPRBlocks: 0
; VGPRBlocks: 5
; NumSGPRsForWavesPerEU: 27
; NumVGPRsForWavesPerEU: 44
; Occupancy: 16
; WaveLimiterHint : 1
; COMPUTE_PGM_RSRC2:SCRATCH_EN: 0
; COMPUTE_PGM_RSRC2:USER_SGPR: 6
; COMPUTE_PGM_RSRC2:TRAP_HANDLER: 0
; COMPUTE_PGM_RSRC2:TGID_X_EN: 1
; COMPUTE_PGM_RSRC2:TGID_Y_EN: 1
; COMPUTE_PGM_RSRC2:TGID_Z_EN: 1
; COMPUTE_PGM_RSRC2:TIDIG_COMP_CNT: 1
	.section	.text._ZL29rocblas_internal_gemmt_kernelIiLi16ELi32ELi8ELc84ELc84ELc85ELb0ELb0EddPKPKdPKPdEviT_T9_T10_S7_lS9_S7_lS8_T11_S7_li,"axG",@progbits,_ZL29rocblas_internal_gemmt_kernelIiLi16ELi32ELi8ELc84ELc84ELc85ELb0ELb0EddPKPKdPKPdEviT_T9_T10_S7_lS9_S7_lS8_T11_S7_li,comdat
	.globl	_ZL29rocblas_internal_gemmt_kernelIiLi16ELi32ELi8ELc84ELc84ELc85ELb0ELb0EddPKPKdPKPdEviT_T9_T10_S7_lS9_S7_lS8_T11_S7_li ; -- Begin function _ZL29rocblas_internal_gemmt_kernelIiLi16ELi32ELi8ELc84ELc84ELc85ELb0ELb0EddPKPKdPKPdEviT_T9_T10_S7_lS9_S7_lS8_T11_S7_li
	.p2align	8
	.type	_ZL29rocblas_internal_gemmt_kernelIiLi16ELi32ELi8ELc84ELc84ELc85ELb0ELb0EddPKPKdPKPdEviT_T9_T10_S7_lS9_S7_lS8_T11_S7_li,@function
_ZL29rocblas_internal_gemmt_kernelIiLi16ELi32ELi8ELc84ELc84ELc85ELb0ELb0EddPKPKdPKPdEviT_T9_T10_S7_lS9_S7_lS8_T11_S7_li: ; @_ZL29rocblas_internal_gemmt_kernelIiLi16ELi32ELi8ELc84ELc84ELc85ELb0ELb0EddPKPKdPKPdEviT_T9_T10_S7_lS9_S7_lS8_T11_S7_li
; %bb.0:
	s_clause 0x2
	s_load_dwordx4 s[12:15], s[4:5], 0x38
	s_load_dwordx2 s[2:3], s[4:5], 0x0
	s_load_dwordx4 s[16:19], s[4:5], 0x8
	s_waitcnt lgkmcnt(0)
	v_cmp_neq_f64_e64 s0, s[14:15], 1.0
	s_and_b32 vcc_lo, exec_lo, s0
	s_cbranch_vccnz .LBB346_2
; %bb.1:
	v_cmp_neq_f64_e64 s0, s[16:17], 0
	s_cmp_lg_u32 s3, 0
	s_cselect_b32 s1, -1, 0
	s_and_b32 s0, s1, s0
.LBB346_2:
	s_andn2_b32 vcc_lo, exec_lo, s0
	s_cbranch_vccnz .LBB346_26
; %bb.3:
	s_load_dwordx2 s[0:1], s[4:5], 0x48
	s_mov_b32 s9, 0
	v_cmp_eq_f64_e64 s20, s[16:17], 0
	s_lshl_b64 s[24:25], s[8:9], 3
	v_mov_b32_e32 v12, 0
	v_mov_b32_e32 v6, 0
	v_mov_b32_e32 v4, 0
	v_mov_b32_e32 v2, 0
	v_mov_b32_e32 v13, 0
	v_mov_b32_e32 v7, 0
	v_mov_b32_e32 v5, 0
	v_mov_b32_e32 v3, 0
	s_waitcnt lgkmcnt(0)
	s_add_u32 s0, s0, s24
	s_addc_u32 s1, s1, s25
	s_lshl_b32 s8, s6, 5
	s_load_dwordx2 s[10:11], s[0:1], 0x0
	s_lshl_b32 s26, s7, 5
	s_cmp_lt_i32 s3, 1
	s_cselect_b32 s0, -1, 0
	s_or_b32 s0, s20, s0
	s_and_b32 vcc_lo, exec_lo, s0
	s_cbranch_vccnz .LBB346_10
; %bb.4:
	s_clause 0x2
	s_load_dword s6, s[4:5], 0x30
	s_load_dword s1, s[4:5], 0x18
	s_load_dwordx4 s[20:23], s[4:5], 0x20
	v_lshl_add_u32 v2, v1, 4, v0
	v_and_b32_e32 v18, 7, v0
	v_mov_b32_e32 v12, 0
	v_lshlrev_b32_e32 v22, 3, v0
	v_lshl_add_u32 v23, v1, 6, 0x800
	v_and_b32_e32 v3, 31, v2
	v_lshrrev_b32_e32 v4, 3, v2
	v_lshlrev_b32_e32 v5, 3, v18
	v_lshrrev_b32_e32 v19, 5, v2
	v_mov_b32_e32 v13, 0
	v_or_b32_e32 v6, s8, v3
	v_lshlrev_b32_e32 v7, 3, v3
	v_add_nc_u32_e32 v2, s26, v4
	v_lshl_or_b32 v4, v4, 6, v5
	v_add_nc_u32_e32 v3, s8, v3
	v_cmp_gt_i32_e32 vcc_lo, s2, v6
	v_lshl_or_b32 v20, v19, 8, v7
	v_lshlrev_b32_e32 v8, 3, v19
	v_add_nc_u32_e32 v21, 0x800, v4
	s_waitcnt lgkmcnt(0)
	s_ashr_i32 s7, s6, 31
	v_mad_i64_i32 v[4:5], null, s1, v3, 0
	s_add_u32 s22, s22, s24
	s_addc_u32 s23, s23, s25
	s_add_u32 s18, s18, s24
	s_addc_u32 s19, s19, s25
	s_load_dwordx2 s[22:23], s[22:23], 0x0
	s_load_dwordx2 s[18:19], s[18:19], 0x0
	v_mad_i64_i32 v[6:7], null, s6, v18, 0
	v_lshlrev_b64 v[4:5], 3, v[4:5]
	s_lshl_b64 s[20:21], s[20:21], 3
	v_ashrrev_i32_e32 v3, 31, v2
	s_lshl_b64 s[12:13], s[12:13], 3
	v_cmp_gt_i32_e64 s0, s2, v2
	s_lshl_b64 s[6:7], s[6:7], 6
	v_add_co_u32 v9, s1, v4, s20
	v_add_co_ci_u32_e64 v10, null, s21, v5, s1
	v_lshlrev_b64 v[4:5], 3, v[6:7]
	v_add_co_u32 v6, s1, v9, v8
	v_lshlrev_b64 v[2:3], 3, v[2:3]
	v_add_co_ci_u32_e64 v7, null, 0, v10, s1
	v_add_co_u32 v4, s1, v4, s12
	v_add_co_ci_u32_e64 v5, null, s13, v5, s1
	s_waitcnt lgkmcnt(0)
	v_add_co_u32 v8, s1, s18, v6
	v_add_co_ci_u32_e64 v9, null, s19, v7, s1
	v_add_co_u32 v10, s1, v4, v2
	v_add_co_ci_u32_e64 v11, null, v5, v3, s1
	v_mov_b32_e32 v2, 0
	v_add_co_u32 v10, s1, s22, v10
	v_mov_b32_e32 v4, 0
	v_mov_b32_e32 v6, 0
	;; [unrolled: 1-line block ×5, first 2 shown]
	v_add_co_ci_u32_e64 v11, null, s23, v11, s1
	s_branch .LBB346_6
.LBB346_5:                              ;   in Loop: Header=BB346_6 Depth=1
	s_or_b32 exec_lo, exec_lo, s1
	s_waitcnt vmcnt(0) lgkmcnt(0)
	ds_write_b64 v21, v[16:17]
	s_waitcnt lgkmcnt(0)
	s_barrier
	buffer_gl0_inv
	ds_read_b128 v[14:17], v23
	ds_read2_b64 v[24:27], v22 offset1:16
	ds_read_b128 v[28:31], v23 offset:1024
	ds_read_b128 v[32:35], v23 offset:16
	ds_read2_b64 v[36:39], v22 offset0:32 offset1:48
	ds_read_b128 v[40:43], v23 offset:1040
	v_add_co_u32 v8, s1, v8, 64
	v_add_co_ci_u32_e64 v9, null, 0, v9, s1
	v_add_co_u32 v10, s1, v10, s6
	v_add_co_ci_u32_e64 v11, null, s7, v11, s1
	s_add_i32 s9, s9, 8
	s_cmp_lt_i32 s9, s3
	s_waitcnt lgkmcnt(4)
	v_fma_f64 v[12:13], v[24:25], v[14:15], v[12:13]
	v_fma_f64 v[6:7], v[26:27], v[14:15], v[6:7]
	s_waitcnt lgkmcnt(3)
	v_fma_f64 v[14:15], v[24:25], v[28:29], v[4:5]
	v_fma_f64 v[24:25], v[26:27], v[28:29], v[2:3]
	ds_read2_b64 v[2:5], v22 offset0:64 offset1:80
	s_waitcnt lgkmcnt(2)
	v_fma_f64 v[26:27], v[36:37], v[16:17], v[12:13]
	v_fma_f64 v[6:7], v[38:39], v[16:17], v[6:7]
	;; [unrolled: 1-line block ×4, first 2 shown]
	ds_read2_b64 v[12:15], v22 offset0:96 offset1:112
	s_waitcnt lgkmcnt(1)
	v_fma_f64 v[28:29], v[2:3], v[32:33], v[26:27]
	v_fma_f64 v[6:7], v[4:5], v[32:33], v[6:7]
	;; [unrolled: 1-line block ×4, first 2 shown]
	ds_read_b128 v[2:5], v23 offset:32
	ds_read2_b64 v[24:27], v22 offset0:128 offset1:144
	s_waitcnt lgkmcnt(2)
	v_fma_f64 v[40:41], v[12:13], v[34:35], v[28:29]
	v_fma_f64 v[6:7], v[14:15], v[34:35], v[6:7]
	;; [unrolled: 1-line block ×4, first 2 shown]
	ds_read_b128 v[12:15], v23 offset:1056
	ds_read_b128 v[28:31], v23 offset:48
	ds_read2_b64 v[32:35], v22 offset0:160 offset1:176
	ds_read_b128 v[36:39], v23 offset:1072
	s_waitcnt lgkmcnt(4)
	v_fma_f64 v[40:41], v[24:25], v[2:3], v[40:41]
	v_fma_f64 v[2:3], v[26:27], v[2:3], v[6:7]
	s_waitcnt lgkmcnt(3)
	v_fma_f64 v[6:7], v[24:25], v[12:13], v[16:17]
	v_fma_f64 v[12:13], v[26:27], v[12:13], v[42:43]
	ds_read2_b64 v[24:27], v22 offset0:192 offset1:208
	s_waitcnt lgkmcnt(2)
	v_fma_f64 v[40:41], v[32:33], v[4:5], v[40:41]
	v_fma_f64 v[2:3], v[34:35], v[4:5], v[2:3]
	;; [unrolled: 1-line block ×4, first 2 shown]
	ds_read2_b64 v[14:17], v22 offset0:224 offset1:240
	s_waitcnt lgkmcnt(0)
	s_barrier
	buffer_gl0_inv
	v_fma_f64 v[12:13], v[24:25], v[28:29], v[40:41]
	v_fma_f64 v[2:3], v[26:27], v[28:29], v[2:3]
	;; [unrolled: 1-line block ×8, first 2 shown]
	s_cbranch_scc0 .LBB346_10
.LBB346_6:                              ; =>This Inner Loop Header: Depth=1
	v_add_nc_u32_e32 v14, s9, v19
	v_cmp_gt_i32_e64 s1, s3, v14
	v_mov_b32_e32 v14, 0
	v_mov_b32_e32 v15, 0
	s_and_b32 s12, vcc_lo, s1
	s_and_saveexec_b32 s1, s12
	s_cbranch_execz .LBB346_8
; %bb.7:                                ;   in Loop: Header=BB346_6 Depth=1
	flat_load_dwordx2 v[14:15], v[8:9]
.LBB346_8:                              ;   in Loop: Header=BB346_6 Depth=1
	s_or_b32 exec_lo, exec_lo, s1
	v_add_nc_u32_e32 v16, s9, v18
	s_waitcnt vmcnt(0) lgkmcnt(0)
	ds_write_b64 v20, v[14:15]
	v_cmp_gt_i32_e64 s1, s3, v16
	v_mov_b32_e32 v16, 0
	v_mov_b32_e32 v17, 0
	s_and_b32 s12, s1, s0
	s_and_saveexec_b32 s1, s12
	s_cbranch_execz .LBB346_5
; %bb.9:                                ;   in Loop: Header=BB346_6 Depth=1
	flat_load_dwordx2 v[16:17], v[10:11]
	s_branch .LBB346_5
.LBB346_10:
	s_clause 0x1
	s_load_dword s3, s[4:5], 0x50
	s_load_dwordx2 s[4:5], s[4:5], 0x58
	v_cmp_neq_f64_e64 s6, s[14:15], 0
	v_add_nc_u32_e32 v15, s26, v1
	v_add_nc_u32_e32 v0, s8, v0
	v_cmp_gt_i32_e64 s0, s2, v15
	v_cmp_le_i32_e32 vcc_lo, v0, v15
	v_ashrrev_i32_e32 v1, 31, v0
	s_waitcnt lgkmcnt(0)
	v_mad_i64_i32 v[8:9], null, v15, s3, 0
	s_lshl_b64 s[4:5], s[4:5], 3
	s_add_u32 s4, s10, s4
	s_addc_u32 s5, s11, s5
	v_cndmask_b32_e64 v14, 0, 1, s6
	s_and_b32 s7, s0, vcc_lo
	v_lshlrev_b64 v[8:9], 3, v[8:9]
	v_add_co_u32 v16, s1, s4, v8
	v_add_co_ci_u32_e64 v17, null, s5, v9, s1
	s_and_saveexec_b32 s1, s7
	s_cbranch_execz .LBB346_14
; %bb.11:
	v_mul_f64 v[8:9], s[16:17], v[12:13]
	v_lshlrev_b64 v[10:11], 3, v[0:1]
	v_add_co_u32 v10, vcc_lo, v16, v10
	v_add_co_ci_u32_e64 v11, null, v17, v11, vcc_lo
	s_andn2_b32 vcc_lo, exec_lo, s6
	s_cbranch_vccnz .LBB346_13
; %bb.12:
	flat_load_dwordx2 v[12:13], v[10:11]
	s_waitcnt vmcnt(0) lgkmcnt(0)
	v_fma_f64 v[8:9], s[14:15], v[12:13], v[8:9]
.LBB346_13:
	flat_store_dwordx2 v[10:11], v[8:9]
.LBB346_14:
	s_or_b32 exec_lo, exec_lo, s1
	v_add_nc_u32_e32 v8, 16, v0
	v_cmp_le_i32_e32 vcc_lo, v8, v15
	v_ashrrev_i32_e32 v9, 31, v8
	s_and_b32 s0, s0, vcc_lo
	s_and_saveexec_b32 s1, s0
	s_cbranch_execz .LBB346_18
; %bb.15:
	v_mul_f64 v[6:7], s[16:17], v[6:7]
	v_lshlrev_b64 v[10:11], 3, v[8:9]
	v_cmp_ne_u32_e32 vcc_lo, 1, v14
	v_add_co_u32 v10, s0, v16, v10
	v_add_co_ci_u32_e64 v11, null, v17, v11, s0
	s_cbranch_vccnz .LBB346_17
; %bb.16:
	flat_load_dwordx2 v[12:13], v[10:11]
	s_waitcnt vmcnt(0) lgkmcnt(0)
	v_fma_f64 v[6:7], s[14:15], v[12:13], v[6:7]
.LBB346_17:
	flat_store_dwordx2 v[10:11], v[6:7]
.LBB346_18:
	s_or_b32 exec_lo, exec_lo, s1
	v_add_nc_u32_e32 v10, 16, v15
	v_mad_i64_i32 v[6:7], null, v10, s3, 0
	v_cmp_gt_i32_e64 s0, s2, v10
	v_cmp_le_i32_e32 vcc_lo, v0, v10
	v_lshlrev_b64 v[6:7], 3, v[6:7]
	v_add_co_u32 v6, s1, s4, v6
	v_add_co_ci_u32_e64 v7, null, s5, v7, s1
	s_and_b32 s1, s0, vcc_lo
	s_and_saveexec_b32 s2, s1
	s_cbranch_execz .LBB346_22
; %bb.19:
	v_mul_f64 v[4:5], s[16:17], v[4:5]
	v_lshlrev_b64 v[0:1], 3, v[0:1]
	v_cmp_ne_u32_e32 vcc_lo, 1, v14
	v_add_co_u32 v0, s1, v6, v0
	v_add_co_ci_u32_e64 v1, null, v7, v1, s1
	s_cbranch_vccnz .LBB346_21
; %bb.20:
	flat_load_dwordx2 v[11:12], v[0:1]
	s_waitcnt vmcnt(0) lgkmcnt(0)
	v_fma_f64 v[4:5], s[14:15], v[11:12], v[4:5]
.LBB346_21:
	flat_store_dwordx2 v[0:1], v[4:5]
.LBB346_22:
	s_or_b32 exec_lo, exec_lo, s2
	v_cmp_le_i32_e32 vcc_lo, v8, v10
	s_and_b32 s0, s0, vcc_lo
	s_and_saveexec_b32 s1, s0
	s_cbranch_execz .LBB346_26
; %bb.23:
	v_mul_f64 v[0:1], s[16:17], v[2:3]
	v_lshlrev_b64 v[2:3], 3, v[8:9]
	v_cmp_ne_u32_e32 vcc_lo, 1, v14
	v_add_co_u32 v2, s0, v6, v2
	v_add_co_ci_u32_e64 v3, null, v7, v3, s0
	s_cbranch_vccnz .LBB346_25
; %bb.24:
	flat_load_dwordx2 v[4:5], v[2:3]
	s_waitcnt vmcnt(0) lgkmcnt(0)
	v_fma_f64 v[0:1], s[14:15], v[4:5], v[0:1]
.LBB346_25:
	flat_store_dwordx2 v[2:3], v[0:1]
.LBB346_26:
	s_endpgm
	.section	.rodata,"a",@progbits
	.p2align	6, 0x0
	.amdhsa_kernel _ZL29rocblas_internal_gemmt_kernelIiLi16ELi32ELi8ELc84ELc84ELc85ELb0ELb0EddPKPKdPKPdEviT_T9_T10_S7_lS9_S7_lS8_T11_S7_li
		.amdhsa_group_segment_fixed_size 4096
		.amdhsa_private_segment_fixed_size 0
		.amdhsa_kernarg_size 100
		.amdhsa_user_sgpr_count 6
		.amdhsa_user_sgpr_private_segment_buffer 1
		.amdhsa_user_sgpr_dispatch_ptr 0
		.amdhsa_user_sgpr_queue_ptr 0
		.amdhsa_user_sgpr_kernarg_segment_ptr 1
		.amdhsa_user_sgpr_dispatch_id 0
		.amdhsa_user_sgpr_flat_scratch_init 0
		.amdhsa_user_sgpr_private_segment_size 0
		.amdhsa_wavefront_size32 1
		.amdhsa_uses_dynamic_stack 0
		.amdhsa_system_sgpr_private_segment_wavefront_offset 0
		.amdhsa_system_sgpr_workgroup_id_x 1
		.amdhsa_system_sgpr_workgroup_id_y 1
		.amdhsa_system_sgpr_workgroup_id_z 1
		.amdhsa_system_sgpr_workgroup_info 0
		.amdhsa_system_vgpr_workitem_id 1
		.amdhsa_next_free_vgpr 44
		.amdhsa_next_free_sgpr 27
		.amdhsa_reserve_vcc 1
		.amdhsa_reserve_flat_scratch 0
		.amdhsa_float_round_mode_32 0
		.amdhsa_float_round_mode_16_64 0
		.amdhsa_float_denorm_mode_32 3
		.amdhsa_float_denorm_mode_16_64 3
		.amdhsa_dx10_clamp 1
		.amdhsa_ieee_mode 1
		.amdhsa_fp16_overflow 0
		.amdhsa_workgroup_processor_mode 1
		.amdhsa_memory_ordered 1
		.amdhsa_forward_progress 1
		.amdhsa_shared_vgpr_count 0
		.amdhsa_exception_fp_ieee_invalid_op 0
		.amdhsa_exception_fp_denorm_src 0
		.amdhsa_exception_fp_ieee_div_zero 0
		.amdhsa_exception_fp_ieee_overflow 0
		.amdhsa_exception_fp_ieee_underflow 0
		.amdhsa_exception_fp_ieee_inexact 0
		.amdhsa_exception_int_div_zero 0
	.end_amdhsa_kernel
	.section	.text._ZL29rocblas_internal_gemmt_kernelIiLi16ELi32ELi8ELc84ELc84ELc85ELb0ELb0EddPKPKdPKPdEviT_T9_T10_S7_lS9_S7_lS8_T11_S7_li,"axG",@progbits,_ZL29rocblas_internal_gemmt_kernelIiLi16ELi32ELi8ELc84ELc84ELc85ELb0ELb0EddPKPKdPKPdEviT_T9_T10_S7_lS9_S7_lS8_T11_S7_li,comdat
.Lfunc_end346:
	.size	_ZL29rocblas_internal_gemmt_kernelIiLi16ELi32ELi8ELc84ELc84ELc85ELb0ELb0EddPKPKdPKPdEviT_T9_T10_S7_lS9_S7_lS8_T11_S7_li, .Lfunc_end346-_ZL29rocblas_internal_gemmt_kernelIiLi16ELi32ELi8ELc84ELc84ELc85ELb0ELb0EddPKPKdPKPdEviT_T9_T10_S7_lS9_S7_lS8_T11_S7_li
                                        ; -- End function
	.set _ZL29rocblas_internal_gemmt_kernelIiLi16ELi32ELi8ELc84ELc84ELc85ELb0ELb0EddPKPKdPKPdEviT_T9_T10_S7_lS9_S7_lS8_T11_S7_li.num_vgpr, 44
	.set _ZL29rocblas_internal_gemmt_kernelIiLi16ELi32ELi8ELc84ELc84ELc85ELb0ELb0EddPKPKdPKPdEviT_T9_T10_S7_lS9_S7_lS8_T11_S7_li.num_agpr, 0
	.set _ZL29rocblas_internal_gemmt_kernelIiLi16ELi32ELi8ELc84ELc84ELc85ELb0ELb0EddPKPKdPKPdEviT_T9_T10_S7_lS9_S7_lS8_T11_S7_li.numbered_sgpr, 27
	.set _ZL29rocblas_internal_gemmt_kernelIiLi16ELi32ELi8ELc84ELc84ELc85ELb0ELb0EddPKPKdPKPdEviT_T9_T10_S7_lS9_S7_lS8_T11_S7_li.num_named_barrier, 0
	.set _ZL29rocblas_internal_gemmt_kernelIiLi16ELi32ELi8ELc84ELc84ELc85ELb0ELb0EddPKPKdPKPdEviT_T9_T10_S7_lS9_S7_lS8_T11_S7_li.private_seg_size, 0
	.set _ZL29rocblas_internal_gemmt_kernelIiLi16ELi32ELi8ELc84ELc84ELc85ELb0ELb0EddPKPKdPKPdEviT_T9_T10_S7_lS9_S7_lS8_T11_S7_li.uses_vcc, 1
	.set _ZL29rocblas_internal_gemmt_kernelIiLi16ELi32ELi8ELc84ELc84ELc85ELb0ELb0EddPKPKdPKPdEviT_T9_T10_S7_lS9_S7_lS8_T11_S7_li.uses_flat_scratch, 0
	.set _ZL29rocblas_internal_gemmt_kernelIiLi16ELi32ELi8ELc84ELc84ELc85ELb0ELb0EddPKPKdPKPdEviT_T9_T10_S7_lS9_S7_lS8_T11_S7_li.has_dyn_sized_stack, 0
	.set _ZL29rocblas_internal_gemmt_kernelIiLi16ELi32ELi8ELc84ELc84ELc85ELb0ELb0EddPKPKdPKPdEviT_T9_T10_S7_lS9_S7_lS8_T11_S7_li.has_recursion, 0
	.set _ZL29rocblas_internal_gemmt_kernelIiLi16ELi32ELi8ELc84ELc84ELc85ELb0ELb0EddPKPKdPKPdEviT_T9_T10_S7_lS9_S7_lS8_T11_S7_li.has_indirect_call, 0
	.section	.AMDGPU.csdata,"",@progbits
; Kernel info:
; codeLenInByte = 1656
; TotalNumSgprs: 29
; NumVgprs: 44
; ScratchSize: 0
; MemoryBound: 0
; FloatMode: 240
; IeeeMode: 1
; LDSByteSize: 4096 bytes/workgroup (compile time only)
; SGPRBlocks: 0
; VGPRBlocks: 5
; NumSGPRsForWavesPerEU: 29
; NumVGPRsForWavesPerEU: 44
; Occupancy: 16
; WaveLimiterHint : 1
; COMPUTE_PGM_RSRC2:SCRATCH_EN: 0
; COMPUTE_PGM_RSRC2:USER_SGPR: 6
; COMPUTE_PGM_RSRC2:TRAP_HANDLER: 0
; COMPUTE_PGM_RSRC2:TGID_X_EN: 1
; COMPUTE_PGM_RSRC2:TGID_Y_EN: 1
; COMPUTE_PGM_RSRC2:TGID_Z_EN: 1
; COMPUTE_PGM_RSRC2:TIDIG_COMP_CNT: 1
	.section	.text._ZL29rocblas_internal_gemmt_kernelIiLi16ELi32ELi8ELc84ELc67ELc85ELb0ELb0EddPKPKdPKPdEviT_T9_T10_S7_lS9_S7_lS8_T11_S7_li,"axG",@progbits,_ZL29rocblas_internal_gemmt_kernelIiLi16ELi32ELi8ELc84ELc67ELc85ELb0ELb0EddPKPKdPKPdEviT_T9_T10_S7_lS9_S7_lS8_T11_S7_li,comdat
	.globl	_ZL29rocblas_internal_gemmt_kernelIiLi16ELi32ELi8ELc84ELc67ELc85ELb0ELb0EddPKPKdPKPdEviT_T9_T10_S7_lS9_S7_lS8_T11_S7_li ; -- Begin function _ZL29rocblas_internal_gemmt_kernelIiLi16ELi32ELi8ELc84ELc67ELc85ELb0ELb0EddPKPKdPKPdEviT_T9_T10_S7_lS9_S7_lS8_T11_S7_li
	.p2align	8
	.type	_ZL29rocblas_internal_gemmt_kernelIiLi16ELi32ELi8ELc84ELc67ELc85ELb0ELb0EddPKPKdPKPdEviT_T9_T10_S7_lS9_S7_lS8_T11_S7_li,@function
_ZL29rocblas_internal_gemmt_kernelIiLi16ELi32ELi8ELc84ELc67ELc85ELb0ELb0EddPKPKdPKPdEviT_T9_T10_S7_lS9_S7_lS8_T11_S7_li: ; @_ZL29rocblas_internal_gemmt_kernelIiLi16ELi32ELi8ELc84ELc67ELc85ELb0ELb0EddPKPKdPKPdEviT_T9_T10_S7_lS9_S7_lS8_T11_S7_li
; %bb.0:
	s_clause 0x2
	s_load_dwordx4 s[12:15], s[4:5], 0x38
	s_load_dwordx2 s[2:3], s[4:5], 0x0
	s_load_dwordx4 s[16:19], s[4:5], 0x8
	s_waitcnt lgkmcnt(0)
	v_cmp_neq_f64_e64 s0, s[14:15], 1.0
	s_and_b32 vcc_lo, exec_lo, s0
	s_cbranch_vccnz .LBB347_2
; %bb.1:
	v_cmp_neq_f64_e64 s0, s[16:17], 0
	s_cmp_lg_u32 s3, 0
	s_cselect_b32 s1, -1, 0
	s_and_b32 s0, s1, s0
.LBB347_2:
	s_andn2_b32 vcc_lo, exec_lo, s0
	s_cbranch_vccnz .LBB347_26
; %bb.3:
	s_load_dwordx2 s[0:1], s[4:5], 0x48
	s_mov_b32 s9, 0
	v_cmp_eq_f64_e64 s20, s[16:17], 0
	s_lshl_b64 s[24:25], s[8:9], 3
	v_mov_b32_e32 v12, 0
	v_mov_b32_e32 v6, 0
	;; [unrolled: 1-line block ×8, first 2 shown]
	s_waitcnt lgkmcnt(0)
	s_add_u32 s0, s0, s24
	s_addc_u32 s1, s1, s25
	s_lshl_b32 s8, s6, 5
	s_load_dwordx2 s[10:11], s[0:1], 0x0
	s_lshl_b32 s26, s7, 5
	s_cmp_lt_i32 s3, 1
	s_cselect_b32 s0, -1, 0
	s_or_b32 s0, s20, s0
	s_and_b32 vcc_lo, exec_lo, s0
	s_cbranch_vccnz .LBB347_10
; %bb.4:
	s_clause 0x2
	s_load_dword s6, s[4:5], 0x30
	s_load_dword s1, s[4:5], 0x18
	s_load_dwordx4 s[20:23], s[4:5], 0x20
	v_lshl_add_u32 v2, v1, 4, v0
	v_and_b32_e32 v18, 7, v0
	v_mov_b32_e32 v12, 0
	v_lshlrev_b32_e32 v22, 3, v0
	v_lshl_add_u32 v23, v1, 6, 0x800
	v_and_b32_e32 v3, 31, v2
	v_lshrrev_b32_e32 v4, 3, v2
	v_lshlrev_b32_e32 v5, 3, v18
	v_lshrrev_b32_e32 v19, 5, v2
	v_mov_b32_e32 v13, 0
	v_or_b32_e32 v6, s8, v3
	v_lshlrev_b32_e32 v7, 3, v3
	v_add_nc_u32_e32 v2, s26, v4
	v_lshl_or_b32 v4, v4, 6, v5
	v_add_nc_u32_e32 v3, s8, v3
	v_cmp_gt_i32_e32 vcc_lo, s2, v6
	v_lshl_or_b32 v20, v19, 8, v7
	v_lshlrev_b32_e32 v8, 3, v19
	v_add_nc_u32_e32 v21, 0x800, v4
	s_waitcnt lgkmcnt(0)
	s_ashr_i32 s7, s6, 31
	v_mad_i64_i32 v[4:5], null, s1, v3, 0
	s_add_u32 s22, s22, s24
	s_addc_u32 s23, s23, s25
	s_add_u32 s18, s18, s24
	s_addc_u32 s19, s19, s25
	s_load_dwordx2 s[22:23], s[22:23], 0x0
	s_load_dwordx2 s[18:19], s[18:19], 0x0
	v_mad_i64_i32 v[6:7], null, s6, v18, 0
	v_lshlrev_b64 v[4:5], 3, v[4:5]
	s_lshl_b64 s[20:21], s[20:21], 3
	v_ashrrev_i32_e32 v3, 31, v2
	s_lshl_b64 s[12:13], s[12:13], 3
	v_cmp_gt_i32_e64 s0, s2, v2
	s_lshl_b64 s[6:7], s[6:7], 6
	v_add_co_u32 v9, s1, v4, s20
	v_add_co_ci_u32_e64 v10, null, s21, v5, s1
	v_lshlrev_b64 v[4:5], 3, v[6:7]
	v_add_co_u32 v6, s1, v9, v8
	v_lshlrev_b64 v[2:3], 3, v[2:3]
	v_add_co_ci_u32_e64 v7, null, 0, v10, s1
	v_add_co_u32 v4, s1, v4, s12
	v_add_co_ci_u32_e64 v5, null, s13, v5, s1
	s_waitcnt lgkmcnt(0)
	v_add_co_u32 v8, s1, s18, v6
	v_add_co_ci_u32_e64 v9, null, s19, v7, s1
	v_add_co_u32 v10, s1, v4, v2
	v_add_co_ci_u32_e64 v11, null, v5, v3, s1
	v_mov_b32_e32 v2, 0
	v_add_co_u32 v10, s1, s22, v10
	v_mov_b32_e32 v4, 0
	v_mov_b32_e32 v6, 0
	;; [unrolled: 1-line block ×5, first 2 shown]
	v_add_co_ci_u32_e64 v11, null, s23, v11, s1
	s_branch .LBB347_6
.LBB347_5:                              ;   in Loop: Header=BB347_6 Depth=1
	s_or_b32 exec_lo, exec_lo, s1
	s_waitcnt vmcnt(0) lgkmcnt(0)
	ds_write_b64 v21, v[16:17]
	s_waitcnt lgkmcnt(0)
	s_barrier
	buffer_gl0_inv
	ds_read_b128 v[14:17], v23
	ds_read2_b64 v[24:27], v22 offset1:16
	ds_read_b128 v[28:31], v23 offset:1024
	ds_read_b128 v[32:35], v23 offset:16
	ds_read2_b64 v[36:39], v22 offset0:32 offset1:48
	ds_read_b128 v[40:43], v23 offset:1040
	v_add_co_u32 v8, s1, v8, 64
	v_add_co_ci_u32_e64 v9, null, 0, v9, s1
	v_add_co_u32 v10, s1, v10, s6
	v_add_co_ci_u32_e64 v11, null, s7, v11, s1
	s_add_i32 s9, s9, 8
	s_cmp_lt_i32 s9, s3
	s_waitcnt lgkmcnt(4)
	v_fma_f64 v[12:13], v[24:25], v[14:15], v[12:13]
	v_fma_f64 v[6:7], v[26:27], v[14:15], v[6:7]
	s_waitcnt lgkmcnt(3)
	v_fma_f64 v[14:15], v[24:25], v[28:29], v[4:5]
	v_fma_f64 v[24:25], v[26:27], v[28:29], v[2:3]
	ds_read2_b64 v[2:5], v22 offset0:64 offset1:80
	s_waitcnt lgkmcnt(2)
	v_fma_f64 v[26:27], v[36:37], v[16:17], v[12:13]
	v_fma_f64 v[6:7], v[38:39], v[16:17], v[6:7]
	;; [unrolled: 1-line block ×4, first 2 shown]
	ds_read2_b64 v[12:15], v22 offset0:96 offset1:112
	s_waitcnt lgkmcnt(1)
	v_fma_f64 v[28:29], v[2:3], v[32:33], v[26:27]
	v_fma_f64 v[6:7], v[4:5], v[32:33], v[6:7]
	;; [unrolled: 1-line block ×4, first 2 shown]
	ds_read_b128 v[2:5], v23 offset:32
	ds_read2_b64 v[24:27], v22 offset0:128 offset1:144
	s_waitcnt lgkmcnt(2)
	v_fma_f64 v[40:41], v[12:13], v[34:35], v[28:29]
	v_fma_f64 v[6:7], v[14:15], v[34:35], v[6:7]
	;; [unrolled: 1-line block ×4, first 2 shown]
	ds_read_b128 v[12:15], v23 offset:1056
	ds_read_b128 v[28:31], v23 offset:48
	ds_read2_b64 v[32:35], v22 offset0:160 offset1:176
	ds_read_b128 v[36:39], v23 offset:1072
	s_waitcnt lgkmcnt(4)
	v_fma_f64 v[40:41], v[24:25], v[2:3], v[40:41]
	v_fma_f64 v[2:3], v[26:27], v[2:3], v[6:7]
	s_waitcnt lgkmcnt(3)
	v_fma_f64 v[6:7], v[24:25], v[12:13], v[16:17]
	v_fma_f64 v[12:13], v[26:27], v[12:13], v[42:43]
	ds_read2_b64 v[24:27], v22 offset0:192 offset1:208
	s_waitcnt lgkmcnt(2)
	v_fma_f64 v[40:41], v[32:33], v[4:5], v[40:41]
	v_fma_f64 v[2:3], v[34:35], v[4:5], v[2:3]
	;; [unrolled: 1-line block ×4, first 2 shown]
	ds_read2_b64 v[14:17], v22 offset0:224 offset1:240
	s_waitcnt lgkmcnt(0)
	s_barrier
	buffer_gl0_inv
	v_fma_f64 v[12:13], v[24:25], v[28:29], v[40:41]
	v_fma_f64 v[2:3], v[26:27], v[28:29], v[2:3]
	;; [unrolled: 1-line block ×8, first 2 shown]
	s_cbranch_scc0 .LBB347_10
.LBB347_6:                              ; =>This Inner Loop Header: Depth=1
	v_add_nc_u32_e32 v14, s9, v19
	v_cmp_gt_i32_e64 s1, s3, v14
	v_mov_b32_e32 v14, 0
	v_mov_b32_e32 v15, 0
	s_and_b32 s12, vcc_lo, s1
	s_and_saveexec_b32 s1, s12
	s_cbranch_execz .LBB347_8
; %bb.7:                                ;   in Loop: Header=BB347_6 Depth=1
	flat_load_dwordx2 v[14:15], v[8:9]
.LBB347_8:                              ;   in Loop: Header=BB347_6 Depth=1
	s_or_b32 exec_lo, exec_lo, s1
	v_add_nc_u32_e32 v16, s9, v18
	s_waitcnt vmcnt(0) lgkmcnt(0)
	ds_write_b64 v20, v[14:15]
	v_cmp_gt_i32_e64 s1, s3, v16
	v_mov_b32_e32 v16, 0
	v_mov_b32_e32 v17, 0
	s_and_b32 s12, s1, s0
	s_and_saveexec_b32 s1, s12
	s_cbranch_execz .LBB347_5
; %bb.9:                                ;   in Loop: Header=BB347_6 Depth=1
	flat_load_dwordx2 v[16:17], v[10:11]
	s_branch .LBB347_5
.LBB347_10:
	s_clause 0x1
	s_load_dword s3, s[4:5], 0x50
	s_load_dwordx2 s[4:5], s[4:5], 0x58
	v_cmp_neq_f64_e64 s6, s[14:15], 0
	v_add_nc_u32_e32 v15, s26, v1
	v_add_nc_u32_e32 v0, s8, v0
	v_cmp_gt_i32_e64 s0, s2, v15
	v_cmp_le_i32_e32 vcc_lo, v0, v15
	v_ashrrev_i32_e32 v1, 31, v0
	s_waitcnt lgkmcnt(0)
	v_mad_i64_i32 v[8:9], null, v15, s3, 0
	s_lshl_b64 s[4:5], s[4:5], 3
	s_add_u32 s4, s10, s4
	s_addc_u32 s5, s11, s5
	v_cndmask_b32_e64 v14, 0, 1, s6
	s_and_b32 s7, s0, vcc_lo
	v_lshlrev_b64 v[8:9], 3, v[8:9]
	v_add_co_u32 v16, s1, s4, v8
	v_add_co_ci_u32_e64 v17, null, s5, v9, s1
	s_and_saveexec_b32 s1, s7
	s_cbranch_execz .LBB347_14
; %bb.11:
	v_mul_f64 v[8:9], s[16:17], v[12:13]
	v_lshlrev_b64 v[10:11], 3, v[0:1]
	v_add_co_u32 v10, vcc_lo, v16, v10
	v_add_co_ci_u32_e64 v11, null, v17, v11, vcc_lo
	s_andn2_b32 vcc_lo, exec_lo, s6
	s_cbranch_vccnz .LBB347_13
; %bb.12:
	flat_load_dwordx2 v[12:13], v[10:11]
	s_waitcnt vmcnt(0) lgkmcnt(0)
	v_fma_f64 v[8:9], s[14:15], v[12:13], v[8:9]
.LBB347_13:
	flat_store_dwordx2 v[10:11], v[8:9]
.LBB347_14:
	s_or_b32 exec_lo, exec_lo, s1
	v_add_nc_u32_e32 v8, 16, v0
	v_cmp_le_i32_e32 vcc_lo, v8, v15
	v_ashrrev_i32_e32 v9, 31, v8
	s_and_b32 s0, s0, vcc_lo
	s_and_saveexec_b32 s1, s0
	s_cbranch_execz .LBB347_18
; %bb.15:
	v_mul_f64 v[6:7], s[16:17], v[6:7]
	v_lshlrev_b64 v[10:11], 3, v[8:9]
	v_cmp_ne_u32_e32 vcc_lo, 1, v14
	v_add_co_u32 v10, s0, v16, v10
	v_add_co_ci_u32_e64 v11, null, v17, v11, s0
	s_cbranch_vccnz .LBB347_17
; %bb.16:
	flat_load_dwordx2 v[12:13], v[10:11]
	s_waitcnt vmcnt(0) lgkmcnt(0)
	v_fma_f64 v[6:7], s[14:15], v[12:13], v[6:7]
.LBB347_17:
	flat_store_dwordx2 v[10:11], v[6:7]
.LBB347_18:
	s_or_b32 exec_lo, exec_lo, s1
	v_add_nc_u32_e32 v10, 16, v15
	v_mad_i64_i32 v[6:7], null, v10, s3, 0
	v_cmp_gt_i32_e64 s0, s2, v10
	v_cmp_le_i32_e32 vcc_lo, v0, v10
	v_lshlrev_b64 v[6:7], 3, v[6:7]
	v_add_co_u32 v6, s1, s4, v6
	v_add_co_ci_u32_e64 v7, null, s5, v7, s1
	s_and_b32 s1, s0, vcc_lo
	s_and_saveexec_b32 s2, s1
	s_cbranch_execz .LBB347_22
; %bb.19:
	v_mul_f64 v[4:5], s[16:17], v[4:5]
	v_lshlrev_b64 v[0:1], 3, v[0:1]
	v_cmp_ne_u32_e32 vcc_lo, 1, v14
	v_add_co_u32 v0, s1, v6, v0
	v_add_co_ci_u32_e64 v1, null, v7, v1, s1
	s_cbranch_vccnz .LBB347_21
; %bb.20:
	flat_load_dwordx2 v[11:12], v[0:1]
	s_waitcnt vmcnt(0) lgkmcnt(0)
	v_fma_f64 v[4:5], s[14:15], v[11:12], v[4:5]
.LBB347_21:
	flat_store_dwordx2 v[0:1], v[4:5]
.LBB347_22:
	s_or_b32 exec_lo, exec_lo, s2
	v_cmp_le_i32_e32 vcc_lo, v8, v10
	s_and_b32 s0, s0, vcc_lo
	s_and_saveexec_b32 s1, s0
	s_cbranch_execz .LBB347_26
; %bb.23:
	v_mul_f64 v[0:1], s[16:17], v[2:3]
	v_lshlrev_b64 v[2:3], 3, v[8:9]
	v_cmp_ne_u32_e32 vcc_lo, 1, v14
	v_add_co_u32 v2, s0, v6, v2
	v_add_co_ci_u32_e64 v3, null, v7, v3, s0
	s_cbranch_vccnz .LBB347_25
; %bb.24:
	flat_load_dwordx2 v[4:5], v[2:3]
	s_waitcnt vmcnt(0) lgkmcnt(0)
	v_fma_f64 v[0:1], s[14:15], v[4:5], v[0:1]
.LBB347_25:
	flat_store_dwordx2 v[2:3], v[0:1]
.LBB347_26:
	s_endpgm
	.section	.rodata,"a",@progbits
	.p2align	6, 0x0
	.amdhsa_kernel _ZL29rocblas_internal_gemmt_kernelIiLi16ELi32ELi8ELc84ELc67ELc85ELb0ELb0EddPKPKdPKPdEviT_T9_T10_S7_lS9_S7_lS8_T11_S7_li
		.amdhsa_group_segment_fixed_size 4096
		.amdhsa_private_segment_fixed_size 0
		.amdhsa_kernarg_size 100
		.amdhsa_user_sgpr_count 6
		.amdhsa_user_sgpr_private_segment_buffer 1
		.amdhsa_user_sgpr_dispatch_ptr 0
		.amdhsa_user_sgpr_queue_ptr 0
		.amdhsa_user_sgpr_kernarg_segment_ptr 1
		.amdhsa_user_sgpr_dispatch_id 0
		.amdhsa_user_sgpr_flat_scratch_init 0
		.amdhsa_user_sgpr_private_segment_size 0
		.amdhsa_wavefront_size32 1
		.amdhsa_uses_dynamic_stack 0
		.amdhsa_system_sgpr_private_segment_wavefront_offset 0
		.amdhsa_system_sgpr_workgroup_id_x 1
		.amdhsa_system_sgpr_workgroup_id_y 1
		.amdhsa_system_sgpr_workgroup_id_z 1
		.amdhsa_system_sgpr_workgroup_info 0
		.amdhsa_system_vgpr_workitem_id 1
		.amdhsa_next_free_vgpr 44
		.amdhsa_next_free_sgpr 27
		.amdhsa_reserve_vcc 1
		.amdhsa_reserve_flat_scratch 0
		.amdhsa_float_round_mode_32 0
		.amdhsa_float_round_mode_16_64 0
		.amdhsa_float_denorm_mode_32 3
		.amdhsa_float_denorm_mode_16_64 3
		.amdhsa_dx10_clamp 1
		.amdhsa_ieee_mode 1
		.amdhsa_fp16_overflow 0
		.amdhsa_workgroup_processor_mode 1
		.amdhsa_memory_ordered 1
		.amdhsa_forward_progress 1
		.amdhsa_shared_vgpr_count 0
		.amdhsa_exception_fp_ieee_invalid_op 0
		.amdhsa_exception_fp_denorm_src 0
		.amdhsa_exception_fp_ieee_div_zero 0
		.amdhsa_exception_fp_ieee_overflow 0
		.amdhsa_exception_fp_ieee_underflow 0
		.amdhsa_exception_fp_ieee_inexact 0
		.amdhsa_exception_int_div_zero 0
	.end_amdhsa_kernel
	.section	.text._ZL29rocblas_internal_gemmt_kernelIiLi16ELi32ELi8ELc84ELc67ELc85ELb0ELb0EddPKPKdPKPdEviT_T9_T10_S7_lS9_S7_lS8_T11_S7_li,"axG",@progbits,_ZL29rocblas_internal_gemmt_kernelIiLi16ELi32ELi8ELc84ELc67ELc85ELb0ELb0EddPKPKdPKPdEviT_T9_T10_S7_lS9_S7_lS8_T11_S7_li,comdat
.Lfunc_end347:
	.size	_ZL29rocblas_internal_gemmt_kernelIiLi16ELi32ELi8ELc84ELc67ELc85ELb0ELb0EddPKPKdPKPdEviT_T9_T10_S7_lS9_S7_lS8_T11_S7_li, .Lfunc_end347-_ZL29rocblas_internal_gemmt_kernelIiLi16ELi32ELi8ELc84ELc67ELc85ELb0ELb0EddPKPKdPKPdEviT_T9_T10_S7_lS9_S7_lS8_T11_S7_li
                                        ; -- End function
	.set _ZL29rocblas_internal_gemmt_kernelIiLi16ELi32ELi8ELc84ELc67ELc85ELb0ELb0EddPKPKdPKPdEviT_T9_T10_S7_lS9_S7_lS8_T11_S7_li.num_vgpr, 44
	.set _ZL29rocblas_internal_gemmt_kernelIiLi16ELi32ELi8ELc84ELc67ELc85ELb0ELb0EddPKPKdPKPdEviT_T9_T10_S7_lS9_S7_lS8_T11_S7_li.num_agpr, 0
	.set _ZL29rocblas_internal_gemmt_kernelIiLi16ELi32ELi8ELc84ELc67ELc85ELb0ELb0EddPKPKdPKPdEviT_T9_T10_S7_lS9_S7_lS8_T11_S7_li.numbered_sgpr, 27
	.set _ZL29rocblas_internal_gemmt_kernelIiLi16ELi32ELi8ELc84ELc67ELc85ELb0ELb0EddPKPKdPKPdEviT_T9_T10_S7_lS9_S7_lS8_T11_S7_li.num_named_barrier, 0
	.set _ZL29rocblas_internal_gemmt_kernelIiLi16ELi32ELi8ELc84ELc67ELc85ELb0ELb0EddPKPKdPKPdEviT_T9_T10_S7_lS9_S7_lS8_T11_S7_li.private_seg_size, 0
	.set _ZL29rocblas_internal_gemmt_kernelIiLi16ELi32ELi8ELc84ELc67ELc85ELb0ELb0EddPKPKdPKPdEviT_T9_T10_S7_lS9_S7_lS8_T11_S7_li.uses_vcc, 1
	.set _ZL29rocblas_internal_gemmt_kernelIiLi16ELi32ELi8ELc84ELc67ELc85ELb0ELb0EddPKPKdPKPdEviT_T9_T10_S7_lS9_S7_lS8_T11_S7_li.uses_flat_scratch, 0
	.set _ZL29rocblas_internal_gemmt_kernelIiLi16ELi32ELi8ELc84ELc67ELc85ELb0ELb0EddPKPKdPKPdEviT_T9_T10_S7_lS9_S7_lS8_T11_S7_li.has_dyn_sized_stack, 0
	.set _ZL29rocblas_internal_gemmt_kernelIiLi16ELi32ELi8ELc84ELc67ELc85ELb0ELb0EddPKPKdPKPdEviT_T9_T10_S7_lS9_S7_lS8_T11_S7_li.has_recursion, 0
	.set _ZL29rocblas_internal_gemmt_kernelIiLi16ELi32ELi8ELc84ELc67ELc85ELb0ELb0EddPKPKdPKPdEviT_T9_T10_S7_lS9_S7_lS8_T11_S7_li.has_indirect_call, 0
	.section	.AMDGPU.csdata,"",@progbits
; Kernel info:
; codeLenInByte = 1656
; TotalNumSgprs: 29
; NumVgprs: 44
; ScratchSize: 0
; MemoryBound: 0
; FloatMode: 240
; IeeeMode: 1
; LDSByteSize: 4096 bytes/workgroup (compile time only)
; SGPRBlocks: 0
; VGPRBlocks: 5
; NumSGPRsForWavesPerEU: 29
; NumVGPRsForWavesPerEU: 44
; Occupancy: 16
; WaveLimiterHint : 1
; COMPUTE_PGM_RSRC2:SCRATCH_EN: 0
; COMPUTE_PGM_RSRC2:USER_SGPR: 6
; COMPUTE_PGM_RSRC2:TRAP_HANDLER: 0
; COMPUTE_PGM_RSRC2:TGID_X_EN: 1
; COMPUTE_PGM_RSRC2:TGID_Y_EN: 1
; COMPUTE_PGM_RSRC2:TGID_Z_EN: 1
; COMPUTE_PGM_RSRC2:TIDIG_COMP_CNT: 1
	.section	.text._ZL29rocblas_internal_gemmt_kernelIiLi16ELi32ELi8ELc67ELc78ELc85ELb0ELb0EddPKPKdPKPdEviT_T9_T10_S7_lS9_S7_lS8_T11_S7_li,"axG",@progbits,_ZL29rocblas_internal_gemmt_kernelIiLi16ELi32ELi8ELc67ELc78ELc85ELb0ELb0EddPKPKdPKPdEviT_T9_T10_S7_lS9_S7_lS8_T11_S7_li,comdat
	.globl	_ZL29rocblas_internal_gemmt_kernelIiLi16ELi32ELi8ELc67ELc78ELc85ELb0ELb0EddPKPKdPKPdEviT_T9_T10_S7_lS9_S7_lS8_T11_S7_li ; -- Begin function _ZL29rocblas_internal_gemmt_kernelIiLi16ELi32ELi8ELc67ELc78ELc85ELb0ELb0EddPKPKdPKPdEviT_T9_T10_S7_lS9_S7_lS8_T11_S7_li
	.p2align	8
	.type	_ZL29rocblas_internal_gemmt_kernelIiLi16ELi32ELi8ELc67ELc78ELc85ELb0ELb0EddPKPKdPKPdEviT_T9_T10_S7_lS9_S7_lS8_T11_S7_li,@function
_ZL29rocblas_internal_gemmt_kernelIiLi16ELi32ELi8ELc67ELc78ELc85ELb0ELb0EddPKPKdPKPdEviT_T9_T10_S7_lS9_S7_lS8_T11_S7_li: ; @_ZL29rocblas_internal_gemmt_kernelIiLi16ELi32ELi8ELc67ELc78ELc85ELb0ELb0EddPKPKdPKPdEviT_T9_T10_S7_lS9_S7_lS8_T11_S7_li
; %bb.0:
	s_clause 0x2
	s_load_dwordx4 s[12:15], s[4:5], 0x38
	s_load_dwordx2 s[2:3], s[4:5], 0x0
	s_load_dwordx4 s[16:19], s[4:5], 0x8
	s_waitcnt lgkmcnt(0)
	v_cmp_neq_f64_e64 s0, s[14:15], 1.0
	s_and_b32 vcc_lo, exec_lo, s0
	s_cbranch_vccnz .LBB348_2
; %bb.1:
	v_cmp_neq_f64_e64 s0, s[16:17], 0
	s_cmp_lg_u32 s3, 0
	s_cselect_b32 s1, -1, 0
	s_and_b32 s0, s1, s0
.LBB348_2:
	s_andn2_b32 vcc_lo, exec_lo, s0
	s_cbranch_vccnz .LBB348_26
; %bb.3:
	s_load_dwordx2 s[10:11], s[4:5], 0x48
	s_mov_b32 s9, 0
	v_cmp_eq_f64_e64 s20, s[16:17], 0
	s_lshl_b64 s[0:1], s[8:9], 3
	v_mov_b32_e32 v12, 0
	v_mov_b32_e32 v6, 0
	;; [unrolled: 1-line block ×8, first 2 shown]
	s_waitcnt lgkmcnt(0)
	s_add_u32 s10, s10, s0
	s_addc_u32 s11, s11, s1
	s_lshl_b32 s6, s6, 5
	s_load_dwordx2 s[10:11], s[10:11], 0x0
	s_lshl_b32 s7, s7, 5
	s_cmp_lt_i32 s3, 1
	s_cselect_b32 s8, -1, 0
	s_or_b32 s8, s20, s8
	s_and_b32 vcc_lo, exec_lo, s8
	s_cbranch_vccnz .LBB348_10
; %bb.4:
	s_clause 0x2
	s_load_dword s8, s[4:5], 0x18
	s_load_dwordx4 s[20:23], s[4:5], 0x20
	s_load_dword s24, s[4:5], 0x30
	v_lshl_add_u32 v2, v1, 4, v0
	v_and_b32_e32 v18, 7, v0
	v_mov_b32_e32 v12, 0
	v_lshlrev_b32_e32 v19, 3, v0
	v_lshl_add_u32 v20, v1, 6, 0x800
	v_and_b32_e32 v4, 31, v2
	v_lshrrev_b32_e32 v3, 3, v2
	v_lshrrev_b32_e32 v21, 5, v2
	v_lshlrev_b32_e32 v6, 3, v18
	v_mov_b32_e32 v13, 0
	v_or_b32_e32 v2, s6, v4
	v_lshlrev_b32_e32 v7, 3, v4
	v_add_nc_u32_e32 v4, s6, v4
	v_add_nc_u32_e32 v5, s7, v3
	v_lshl_or_b32 v8, v3, 6, v6
	v_cmp_gt_i32_e32 vcc_lo, s2, v2
	v_lshl_or_b32 v22, v21, 8, v7
	s_waitcnt lgkmcnt(0)
	v_mad_i64_i32 v[2:3], null, s8, v4, 0
	s_add_u32 s22, s22, s0
	s_addc_u32 s23, s23, s1
	s_add_u32 s18, s18, s0
	s_addc_u32 s19, s19, s1
	v_cmp_gt_i32_e64 s0, s2, v5
	s_load_dwordx2 s[18:19], s[18:19], 0x0
	v_lshlrev_b64 v[2:3], 3, v[2:3]
	v_mad_i64_i32 v[4:5], null, s24, v5, 0
	s_load_dwordx2 s[22:23], s[22:23], 0x0
	s_lshl_b64 s[20:21], s[20:21], 3
	v_lshlrev_b32_e32 v9, 3, v21
	v_add_co_u32 v7, s1, v2, s20
	v_add_nc_u32_e32 v23, 0x800, v8
	v_add_co_ci_u32_e64 v8, null, s21, v3, s1
	v_lshlrev_b64 v[2:3], 3, v[4:5]
	v_add_co_u32 v4, s1, v7, v9
	s_lshl_b64 s[12:13], s[12:13], 3
	v_add_co_ci_u32_e64 v5, null, 0, v8, s1
	v_add_co_u32 v2, s1, v2, s12
	v_add_co_ci_u32_e64 v3, null, s13, v3, s1
	s_waitcnt lgkmcnt(0)
	v_add_co_u32 v8, s1, s18, v4
	v_add_co_ci_u32_e64 v9, null, s19, v5, s1
	v_add_co_u32 v10, s1, v2, v6
	v_add_co_ci_u32_e64 v11, null, 0, v3, s1
	v_mov_b32_e32 v2, 0
	v_add_co_u32 v10, s1, s22, v10
	v_mov_b32_e32 v4, 0
	v_mov_b32_e32 v6, 0
	;; [unrolled: 1-line block ×5, first 2 shown]
	v_add_co_ci_u32_e64 v11, null, s23, v11, s1
	s_branch .LBB348_6
.LBB348_5:                              ;   in Loop: Header=BB348_6 Depth=1
	s_or_b32 exec_lo, exec_lo, s1
	s_waitcnt vmcnt(0) lgkmcnt(0)
	ds_write_b64 v23, v[16:17]
	s_waitcnt lgkmcnt(0)
	s_barrier
	buffer_gl0_inv
	ds_read_b128 v[14:17], v20
	ds_read2_b64 v[24:27], v19 offset1:16
	ds_read_b128 v[28:31], v20 offset:1024
	ds_read_b128 v[32:35], v20 offset:16
	ds_read2_b64 v[36:39], v19 offset0:32 offset1:48
	ds_read_b128 v[40:43], v20 offset:1040
	v_add_co_u32 v8, s1, v8, 64
	v_add_co_ci_u32_e64 v9, null, 0, v9, s1
	v_add_co_u32 v10, s1, v10, 64
	v_add_co_ci_u32_e64 v11, null, 0, v11, s1
	s_add_i32 s9, s9, 8
	s_cmp_lt_i32 s9, s3
	s_waitcnt lgkmcnt(4)
	v_fma_f64 v[12:13], v[24:25], v[14:15], v[12:13]
	v_fma_f64 v[6:7], v[26:27], v[14:15], v[6:7]
	s_waitcnt lgkmcnt(3)
	v_fma_f64 v[14:15], v[24:25], v[28:29], v[4:5]
	v_fma_f64 v[24:25], v[26:27], v[28:29], v[2:3]
	ds_read2_b64 v[2:5], v19 offset0:64 offset1:80
	s_waitcnt lgkmcnt(2)
	v_fma_f64 v[26:27], v[36:37], v[16:17], v[12:13]
	v_fma_f64 v[6:7], v[38:39], v[16:17], v[6:7]
	;; [unrolled: 1-line block ×4, first 2 shown]
	ds_read2_b64 v[12:15], v19 offset0:96 offset1:112
	s_waitcnt lgkmcnt(1)
	v_fma_f64 v[28:29], v[2:3], v[32:33], v[26:27]
	v_fma_f64 v[6:7], v[4:5], v[32:33], v[6:7]
	;; [unrolled: 1-line block ×4, first 2 shown]
	ds_read_b128 v[2:5], v20 offset:32
	ds_read2_b64 v[24:27], v19 offset0:128 offset1:144
	s_waitcnt lgkmcnt(2)
	v_fma_f64 v[40:41], v[12:13], v[34:35], v[28:29]
	v_fma_f64 v[6:7], v[14:15], v[34:35], v[6:7]
	;; [unrolled: 1-line block ×4, first 2 shown]
	ds_read_b128 v[12:15], v20 offset:1056
	ds_read_b128 v[28:31], v20 offset:48
	ds_read2_b64 v[32:35], v19 offset0:160 offset1:176
	ds_read_b128 v[36:39], v20 offset:1072
	s_waitcnt lgkmcnt(4)
	v_fma_f64 v[40:41], v[24:25], v[2:3], v[40:41]
	v_fma_f64 v[2:3], v[26:27], v[2:3], v[6:7]
	s_waitcnt lgkmcnt(3)
	v_fma_f64 v[6:7], v[24:25], v[12:13], v[16:17]
	v_fma_f64 v[12:13], v[26:27], v[12:13], v[42:43]
	ds_read2_b64 v[24:27], v19 offset0:192 offset1:208
	s_waitcnt lgkmcnt(2)
	v_fma_f64 v[40:41], v[32:33], v[4:5], v[40:41]
	v_fma_f64 v[2:3], v[34:35], v[4:5], v[2:3]
	;; [unrolled: 1-line block ×4, first 2 shown]
	ds_read2_b64 v[14:17], v19 offset0:224 offset1:240
	s_waitcnt lgkmcnt(0)
	s_barrier
	buffer_gl0_inv
	v_fma_f64 v[12:13], v[24:25], v[28:29], v[40:41]
	v_fma_f64 v[2:3], v[26:27], v[28:29], v[2:3]
	v_fma_f64 v[4:5], v[24:25], v[36:37], v[4:5]
	v_fma_f64 v[24:25], v[26:27], v[36:37], v[6:7]
	v_fma_f64 v[12:13], v[14:15], v[30:31], v[12:13]
	v_fma_f64 v[6:7], v[16:17], v[30:31], v[2:3]
	v_fma_f64 v[4:5], v[14:15], v[38:39], v[4:5]
	v_fma_f64 v[2:3], v[16:17], v[38:39], v[24:25]
	s_cbranch_scc0 .LBB348_10
.LBB348_6:                              ; =>This Inner Loop Header: Depth=1
	v_add_nc_u32_e32 v14, s9, v21
	v_cmp_gt_i32_e64 s1, s3, v14
	v_mov_b32_e32 v14, 0
	v_mov_b32_e32 v15, 0
	s_and_b32 s8, vcc_lo, s1
	s_and_saveexec_b32 s1, s8
	s_cbranch_execz .LBB348_8
; %bb.7:                                ;   in Loop: Header=BB348_6 Depth=1
	flat_load_dwordx2 v[14:15], v[8:9]
.LBB348_8:                              ;   in Loop: Header=BB348_6 Depth=1
	s_or_b32 exec_lo, exec_lo, s1
	v_add_nc_u32_e32 v16, s9, v18
	s_waitcnt vmcnt(0) lgkmcnt(0)
	ds_write_b64 v22, v[14:15]
	v_cmp_gt_i32_e64 s1, s3, v16
	v_mov_b32_e32 v16, 0
	v_mov_b32_e32 v17, 0
	s_and_b32 s8, s1, s0
	s_and_saveexec_b32 s1, s8
	s_cbranch_execz .LBB348_5
; %bb.9:                                ;   in Loop: Header=BB348_6 Depth=1
	flat_load_dwordx2 v[16:17], v[10:11]
	s_branch .LBB348_5
.LBB348_10:
	s_clause 0x1
	s_load_dword s3, s[4:5], 0x50
	s_load_dwordx2 s[4:5], s[4:5], 0x58
	v_add_nc_u32_e32 v0, s6, v0
	v_cmp_neq_f64_e64 s6, s[14:15], 0
	v_add_nc_u32_e32 v15, s7, v1
	v_ashrrev_i32_e32 v1, 31, v0
	v_cmp_gt_i32_e64 s0, s2, v15
	v_cmp_le_i32_e32 vcc_lo, v0, v15
	s_waitcnt lgkmcnt(0)
	v_mad_i64_i32 v[8:9], null, v15, s3, 0
	s_lshl_b64 s[4:5], s[4:5], 3
	s_add_u32 s4, s10, s4
	s_addc_u32 s5, s11, s5
	v_cndmask_b32_e64 v14, 0, 1, s6
	s_and_b32 s7, s0, vcc_lo
	v_lshlrev_b64 v[8:9], 3, v[8:9]
	v_add_co_u32 v16, s1, s4, v8
	v_add_co_ci_u32_e64 v17, null, s5, v9, s1
	s_and_saveexec_b32 s1, s7
	s_cbranch_execz .LBB348_14
; %bb.11:
	v_mul_f64 v[8:9], s[16:17], v[12:13]
	v_lshlrev_b64 v[10:11], 3, v[0:1]
	v_add_co_u32 v10, vcc_lo, v16, v10
	v_add_co_ci_u32_e64 v11, null, v17, v11, vcc_lo
	s_andn2_b32 vcc_lo, exec_lo, s6
	s_cbranch_vccnz .LBB348_13
; %bb.12:
	flat_load_dwordx2 v[12:13], v[10:11]
	s_waitcnt vmcnt(0) lgkmcnt(0)
	v_fma_f64 v[8:9], s[14:15], v[12:13], v[8:9]
.LBB348_13:
	flat_store_dwordx2 v[10:11], v[8:9]
.LBB348_14:
	s_or_b32 exec_lo, exec_lo, s1
	v_add_nc_u32_e32 v8, 16, v0
	v_cmp_le_i32_e32 vcc_lo, v8, v15
	v_ashrrev_i32_e32 v9, 31, v8
	s_and_b32 s0, s0, vcc_lo
	s_and_saveexec_b32 s1, s0
	s_cbranch_execz .LBB348_18
; %bb.15:
	v_mul_f64 v[6:7], s[16:17], v[6:7]
	v_lshlrev_b64 v[10:11], 3, v[8:9]
	v_cmp_ne_u32_e32 vcc_lo, 1, v14
	v_add_co_u32 v10, s0, v16, v10
	v_add_co_ci_u32_e64 v11, null, v17, v11, s0
	s_cbranch_vccnz .LBB348_17
; %bb.16:
	flat_load_dwordx2 v[12:13], v[10:11]
	s_waitcnt vmcnt(0) lgkmcnt(0)
	v_fma_f64 v[6:7], s[14:15], v[12:13], v[6:7]
.LBB348_17:
	flat_store_dwordx2 v[10:11], v[6:7]
.LBB348_18:
	s_or_b32 exec_lo, exec_lo, s1
	v_add_nc_u32_e32 v10, 16, v15
	v_mad_i64_i32 v[6:7], null, v10, s3, 0
	v_cmp_gt_i32_e64 s0, s2, v10
	v_cmp_le_i32_e32 vcc_lo, v0, v10
	v_lshlrev_b64 v[6:7], 3, v[6:7]
	v_add_co_u32 v6, s1, s4, v6
	v_add_co_ci_u32_e64 v7, null, s5, v7, s1
	s_and_b32 s1, s0, vcc_lo
	s_and_saveexec_b32 s2, s1
	s_cbranch_execz .LBB348_22
; %bb.19:
	v_mul_f64 v[4:5], s[16:17], v[4:5]
	v_lshlrev_b64 v[0:1], 3, v[0:1]
	v_cmp_ne_u32_e32 vcc_lo, 1, v14
	v_add_co_u32 v0, s1, v6, v0
	v_add_co_ci_u32_e64 v1, null, v7, v1, s1
	s_cbranch_vccnz .LBB348_21
; %bb.20:
	flat_load_dwordx2 v[11:12], v[0:1]
	s_waitcnt vmcnt(0) lgkmcnt(0)
	v_fma_f64 v[4:5], s[14:15], v[11:12], v[4:5]
.LBB348_21:
	flat_store_dwordx2 v[0:1], v[4:5]
.LBB348_22:
	s_or_b32 exec_lo, exec_lo, s2
	v_cmp_le_i32_e32 vcc_lo, v8, v10
	s_and_b32 s0, s0, vcc_lo
	s_and_saveexec_b32 s1, s0
	s_cbranch_execz .LBB348_26
; %bb.23:
	v_mul_f64 v[0:1], s[16:17], v[2:3]
	v_lshlrev_b64 v[2:3], 3, v[8:9]
	v_cmp_ne_u32_e32 vcc_lo, 1, v14
	v_add_co_u32 v2, s0, v6, v2
	v_add_co_ci_u32_e64 v3, null, v7, v3, s0
	s_cbranch_vccnz .LBB348_25
; %bb.24:
	flat_load_dwordx2 v[4:5], v[2:3]
	s_waitcnt vmcnt(0) lgkmcnt(0)
	v_fma_f64 v[0:1], s[14:15], v[4:5], v[0:1]
.LBB348_25:
	flat_store_dwordx2 v[2:3], v[0:1]
.LBB348_26:
	s_endpgm
	.section	.rodata,"a",@progbits
	.p2align	6, 0x0
	.amdhsa_kernel _ZL29rocblas_internal_gemmt_kernelIiLi16ELi32ELi8ELc67ELc78ELc85ELb0ELb0EddPKPKdPKPdEviT_T9_T10_S7_lS9_S7_lS8_T11_S7_li
		.amdhsa_group_segment_fixed_size 4096
		.amdhsa_private_segment_fixed_size 0
		.amdhsa_kernarg_size 100
		.amdhsa_user_sgpr_count 6
		.amdhsa_user_sgpr_private_segment_buffer 1
		.amdhsa_user_sgpr_dispatch_ptr 0
		.amdhsa_user_sgpr_queue_ptr 0
		.amdhsa_user_sgpr_kernarg_segment_ptr 1
		.amdhsa_user_sgpr_dispatch_id 0
		.amdhsa_user_sgpr_flat_scratch_init 0
		.amdhsa_user_sgpr_private_segment_size 0
		.amdhsa_wavefront_size32 1
		.amdhsa_uses_dynamic_stack 0
		.amdhsa_system_sgpr_private_segment_wavefront_offset 0
		.amdhsa_system_sgpr_workgroup_id_x 1
		.amdhsa_system_sgpr_workgroup_id_y 1
		.amdhsa_system_sgpr_workgroup_id_z 1
		.amdhsa_system_sgpr_workgroup_info 0
		.amdhsa_system_vgpr_workitem_id 1
		.amdhsa_next_free_vgpr 44
		.amdhsa_next_free_sgpr 25
		.amdhsa_reserve_vcc 1
		.amdhsa_reserve_flat_scratch 0
		.amdhsa_float_round_mode_32 0
		.amdhsa_float_round_mode_16_64 0
		.amdhsa_float_denorm_mode_32 3
		.amdhsa_float_denorm_mode_16_64 3
		.amdhsa_dx10_clamp 1
		.amdhsa_ieee_mode 1
		.amdhsa_fp16_overflow 0
		.amdhsa_workgroup_processor_mode 1
		.amdhsa_memory_ordered 1
		.amdhsa_forward_progress 1
		.amdhsa_shared_vgpr_count 0
		.amdhsa_exception_fp_ieee_invalid_op 0
		.amdhsa_exception_fp_denorm_src 0
		.amdhsa_exception_fp_ieee_div_zero 0
		.amdhsa_exception_fp_ieee_overflow 0
		.amdhsa_exception_fp_ieee_underflow 0
		.amdhsa_exception_fp_ieee_inexact 0
		.amdhsa_exception_int_div_zero 0
	.end_amdhsa_kernel
	.section	.text._ZL29rocblas_internal_gemmt_kernelIiLi16ELi32ELi8ELc67ELc78ELc85ELb0ELb0EddPKPKdPKPdEviT_T9_T10_S7_lS9_S7_lS8_T11_S7_li,"axG",@progbits,_ZL29rocblas_internal_gemmt_kernelIiLi16ELi32ELi8ELc67ELc78ELc85ELb0ELb0EddPKPKdPKPdEviT_T9_T10_S7_lS9_S7_lS8_T11_S7_li,comdat
.Lfunc_end348:
	.size	_ZL29rocblas_internal_gemmt_kernelIiLi16ELi32ELi8ELc67ELc78ELc85ELb0ELb0EddPKPKdPKPdEviT_T9_T10_S7_lS9_S7_lS8_T11_S7_li, .Lfunc_end348-_ZL29rocblas_internal_gemmt_kernelIiLi16ELi32ELi8ELc67ELc78ELc85ELb0ELb0EddPKPKdPKPdEviT_T9_T10_S7_lS9_S7_lS8_T11_S7_li
                                        ; -- End function
	.set _ZL29rocblas_internal_gemmt_kernelIiLi16ELi32ELi8ELc67ELc78ELc85ELb0ELb0EddPKPKdPKPdEviT_T9_T10_S7_lS9_S7_lS8_T11_S7_li.num_vgpr, 44
	.set _ZL29rocblas_internal_gemmt_kernelIiLi16ELi32ELi8ELc67ELc78ELc85ELb0ELb0EddPKPKdPKPdEviT_T9_T10_S7_lS9_S7_lS8_T11_S7_li.num_agpr, 0
	.set _ZL29rocblas_internal_gemmt_kernelIiLi16ELi32ELi8ELc67ELc78ELc85ELb0ELb0EddPKPKdPKPdEviT_T9_T10_S7_lS9_S7_lS8_T11_S7_li.numbered_sgpr, 25
	.set _ZL29rocblas_internal_gemmt_kernelIiLi16ELi32ELi8ELc67ELc78ELc85ELb0ELb0EddPKPKdPKPdEviT_T9_T10_S7_lS9_S7_lS8_T11_S7_li.num_named_barrier, 0
	.set _ZL29rocblas_internal_gemmt_kernelIiLi16ELi32ELi8ELc67ELc78ELc85ELb0ELb0EddPKPKdPKPdEviT_T9_T10_S7_lS9_S7_lS8_T11_S7_li.private_seg_size, 0
	.set _ZL29rocblas_internal_gemmt_kernelIiLi16ELi32ELi8ELc67ELc78ELc85ELb0ELb0EddPKPKdPKPdEviT_T9_T10_S7_lS9_S7_lS8_T11_S7_li.uses_vcc, 1
	.set _ZL29rocblas_internal_gemmt_kernelIiLi16ELi32ELi8ELc67ELc78ELc85ELb0ELb0EddPKPKdPKPdEviT_T9_T10_S7_lS9_S7_lS8_T11_S7_li.uses_flat_scratch, 0
	.set _ZL29rocblas_internal_gemmt_kernelIiLi16ELi32ELi8ELc67ELc78ELc85ELb0ELb0EddPKPKdPKPdEviT_T9_T10_S7_lS9_S7_lS8_T11_S7_li.has_dyn_sized_stack, 0
	.set _ZL29rocblas_internal_gemmt_kernelIiLi16ELi32ELi8ELc67ELc78ELc85ELb0ELb0EddPKPKdPKPdEviT_T9_T10_S7_lS9_S7_lS8_T11_S7_li.has_recursion, 0
	.set _ZL29rocblas_internal_gemmt_kernelIiLi16ELi32ELi8ELc67ELc78ELc85ELb0ELb0EddPKPKdPKPdEviT_T9_T10_S7_lS9_S7_lS8_T11_S7_li.has_indirect_call, 0
	.section	.AMDGPU.csdata,"",@progbits
; Kernel info:
; codeLenInByte = 1636
; TotalNumSgprs: 27
; NumVgprs: 44
; ScratchSize: 0
; MemoryBound: 0
; FloatMode: 240
; IeeeMode: 1
; LDSByteSize: 4096 bytes/workgroup (compile time only)
; SGPRBlocks: 0
; VGPRBlocks: 5
; NumSGPRsForWavesPerEU: 27
; NumVGPRsForWavesPerEU: 44
; Occupancy: 16
; WaveLimiterHint : 1
; COMPUTE_PGM_RSRC2:SCRATCH_EN: 0
; COMPUTE_PGM_RSRC2:USER_SGPR: 6
; COMPUTE_PGM_RSRC2:TRAP_HANDLER: 0
; COMPUTE_PGM_RSRC2:TGID_X_EN: 1
; COMPUTE_PGM_RSRC2:TGID_Y_EN: 1
; COMPUTE_PGM_RSRC2:TGID_Z_EN: 1
; COMPUTE_PGM_RSRC2:TIDIG_COMP_CNT: 1
	.section	.text._ZL29rocblas_internal_gemmt_kernelIiLi16ELi32ELi8ELc67ELc84ELc85ELb0ELb0EddPKPKdPKPdEviT_T9_T10_S7_lS9_S7_lS8_T11_S7_li,"axG",@progbits,_ZL29rocblas_internal_gemmt_kernelIiLi16ELi32ELi8ELc67ELc84ELc85ELb0ELb0EddPKPKdPKPdEviT_T9_T10_S7_lS9_S7_lS8_T11_S7_li,comdat
	.globl	_ZL29rocblas_internal_gemmt_kernelIiLi16ELi32ELi8ELc67ELc84ELc85ELb0ELb0EddPKPKdPKPdEviT_T9_T10_S7_lS9_S7_lS8_T11_S7_li ; -- Begin function _ZL29rocblas_internal_gemmt_kernelIiLi16ELi32ELi8ELc67ELc84ELc85ELb0ELb0EddPKPKdPKPdEviT_T9_T10_S7_lS9_S7_lS8_T11_S7_li
	.p2align	8
	.type	_ZL29rocblas_internal_gemmt_kernelIiLi16ELi32ELi8ELc67ELc84ELc85ELb0ELb0EddPKPKdPKPdEviT_T9_T10_S7_lS9_S7_lS8_T11_S7_li,@function
_ZL29rocblas_internal_gemmt_kernelIiLi16ELi32ELi8ELc67ELc84ELc85ELb0ELb0EddPKPKdPKPdEviT_T9_T10_S7_lS9_S7_lS8_T11_S7_li: ; @_ZL29rocblas_internal_gemmt_kernelIiLi16ELi32ELi8ELc67ELc84ELc85ELb0ELb0EddPKPKdPKPdEviT_T9_T10_S7_lS9_S7_lS8_T11_S7_li
; %bb.0:
	s_clause 0x2
	s_load_dwordx4 s[12:15], s[4:5], 0x38
	s_load_dwordx2 s[2:3], s[4:5], 0x0
	s_load_dwordx4 s[16:19], s[4:5], 0x8
	s_waitcnt lgkmcnt(0)
	v_cmp_neq_f64_e64 s0, s[14:15], 1.0
	s_and_b32 vcc_lo, exec_lo, s0
	s_cbranch_vccnz .LBB349_2
; %bb.1:
	v_cmp_neq_f64_e64 s0, s[16:17], 0
	s_cmp_lg_u32 s3, 0
	s_cselect_b32 s1, -1, 0
	s_and_b32 s0, s1, s0
.LBB349_2:
	s_andn2_b32 vcc_lo, exec_lo, s0
	s_cbranch_vccnz .LBB349_26
; %bb.3:
	s_load_dwordx2 s[0:1], s[4:5], 0x48
	s_mov_b32 s9, 0
	v_cmp_eq_f64_e64 s20, s[16:17], 0
	s_lshl_b64 s[24:25], s[8:9], 3
	v_mov_b32_e32 v12, 0
	v_mov_b32_e32 v6, 0
	;; [unrolled: 1-line block ×8, first 2 shown]
	s_waitcnt lgkmcnt(0)
	s_add_u32 s0, s0, s24
	s_addc_u32 s1, s1, s25
	s_lshl_b32 s8, s6, 5
	s_load_dwordx2 s[10:11], s[0:1], 0x0
	s_lshl_b32 s26, s7, 5
	s_cmp_lt_i32 s3, 1
	s_cselect_b32 s0, -1, 0
	s_or_b32 s0, s20, s0
	s_and_b32 vcc_lo, exec_lo, s0
	s_cbranch_vccnz .LBB349_10
; %bb.4:
	s_clause 0x2
	s_load_dword s6, s[4:5], 0x30
	s_load_dword s1, s[4:5], 0x18
	s_load_dwordx4 s[20:23], s[4:5], 0x20
	v_lshl_add_u32 v2, v1, 4, v0
	v_and_b32_e32 v18, 7, v0
	v_mov_b32_e32 v12, 0
	v_lshlrev_b32_e32 v22, 3, v0
	v_lshl_add_u32 v23, v1, 6, 0x800
	v_and_b32_e32 v3, 31, v2
	v_lshrrev_b32_e32 v4, 3, v2
	v_lshlrev_b32_e32 v5, 3, v18
	v_lshrrev_b32_e32 v19, 5, v2
	v_mov_b32_e32 v13, 0
	v_or_b32_e32 v6, s8, v3
	v_lshlrev_b32_e32 v7, 3, v3
	v_add_nc_u32_e32 v2, s26, v4
	v_lshl_or_b32 v4, v4, 6, v5
	v_add_nc_u32_e32 v3, s8, v3
	v_cmp_gt_i32_e32 vcc_lo, s2, v6
	v_lshl_or_b32 v20, v19, 8, v7
	v_lshlrev_b32_e32 v8, 3, v19
	v_add_nc_u32_e32 v21, 0x800, v4
	s_waitcnt lgkmcnt(0)
	s_ashr_i32 s7, s6, 31
	v_mad_i64_i32 v[4:5], null, s1, v3, 0
	s_add_u32 s22, s22, s24
	s_addc_u32 s23, s23, s25
	s_add_u32 s18, s18, s24
	s_addc_u32 s19, s19, s25
	s_load_dwordx2 s[22:23], s[22:23], 0x0
	s_load_dwordx2 s[18:19], s[18:19], 0x0
	v_mad_i64_i32 v[6:7], null, s6, v18, 0
	v_lshlrev_b64 v[4:5], 3, v[4:5]
	s_lshl_b64 s[20:21], s[20:21], 3
	v_ashrrev_i32_e32 v3, 31, v2
	s_lshl_b64 s[12:13], s[12:13], 3
	v_cmp_gt_i32_e64 s0, s2, v2
	s_lshl_b64 s[6:7], s[6:7], 6
	v_add_co_u32 v9, s1, v4, s20
	v_add_co_ci_u32_e64 v10, null, s21, v5, s1
	v_lshlrev_b64 v[4:5], 3, v[6:7]
	v_add_co_u32 v6, s1, v9, v8
	v_lshlrev_b64 v[2:3], 3, v[2:3]
	v_add_co_ci_u32_e64 v7, null, 0, v10, s1
	v_add_co_u32 v4, s1, v4, s12
	v_add_co_ci_u32_e64 v5, null, s13, v5, s1
	s_waitcnt lgkmcnt(0)
	v_add_co_u32 v8, s1, s18, v6
	v_add_co_ci_u32_e64 v9, null, s19, v7, s1
	v_add_co_u32 v10, s1, v4, v2
	v_add_co_ci_u32_e64 v11, null, v5, v3, s1
	v_mov_b32_e32 v2, 0
	v_add_co_u32 v10, s1, s22, v10
	v_mov_b32_e32 v4, 0
	v_mov_b32_e32 v6, 0
	;; [unrolled: 1-line block ×5, first 2 shown]
	v_add_co_ci_u32_e64 v11, null, s23, v11, s1
	s_branch .LBB349_6
.LBB349_5:                              ;   in Loop: Header=BB349_6 Depth=1
	s_or_b32 exec_lo, exec_lo, s1
	s_waitcnt vmcnt(0) lgkmcnt(0)
	ds_write_b64 v21, v[16:17]
	s_waitcnt lgkmcnt(0)
	s_barrier
	buffer_gl0_inv
	ds_read_b128 v[14:17], v23
	ds_read2_b64 v[24:27], v22 offset1:16
	ds_read_b128 v[28:31], v23 offset:1024
	ds_read_b128 v[32:35], v23 offset:16
	ds_read2_b64 v[36:39], v22 offset0:32 offset1:48
	ds_read_b128 v[40:43], v23 offset:1040
	v_add_co_u32 v8, s1, v8, 64
	v_add_co_ci_u32_e64 v9, null, 0, v9, s1
	v_add_co_u32 v10, s1, v10, s6
	v_add_co_ci_u32_e64 v11, null, s7, v11, s1
	s_add_i32 s9, s9, 8
	s_cmp_lt_i32 s9, s3
	s_waitcnt lgkmcnt(4)
	v_fma_f64 v[12:13], v[24:25], v[14:15], v[12:13]
	v_fma_f64 v[6:7], v[26:27], v[14:15], v[6:7]
	s_waitcnt lgkmcnt(3)
	v_fma_f64 v[14:15], v[24:25], v[28:29], v[4:5]
	v_fma_f64 v[24:25], v[26:27], v[28:29], v[2:3]
	ds_read2_b64 v[2:5], v22 offset0:64 offset1:80
	s_waitcnt lgkmcnt(2)
	v_fma_f64 v[26:27], v[36:37], v[16:17], v[12:13]
	v_fma_f64 v[6:7], v[38:39], v[16:17], v[6:7]
	;; [unrolled: 1-line block ×4, first 2 shown]
	ds_read2_b64 v[12:15], v22 offset0:96 offset1:112
	s_waitcnt lgkmcnt(1)
	v_fma_f64 v[28:29], v[2:3], v[32:33], v[26:27]
	v_fma_f64 v[6:7], v[4:5], v[32:33], v[6:7]
	;; [unrolled: 1-line block ×4, first 2 shown]
	ds_read_b128 v[2:5], v23 offset:32
	ds_read2_b64 v[24:27], v22 offset0:128 offset1:144
	s_waitcnt lgkmcnt(2)
	v_fma_f64 v[40:41], v[12:13], v[34:35], v[28:29]
	v_fma_f64 v[6:7], v[14:15], v[34:35], v[6:7]
	;; [unrolled: 1-line block ×4, first 2 shown]
	ds_read_b128 v[12:15], v23 offset:1056
	ds_read_b128 v[28:31], v23 offset:48
	ds_read2_b64 v[32:35], v22 offset0:160 offset1:176
	ds_read_b128 v[36:39], v23 offset:1072
	s_waitcnt lgkmcnt(4)
	v_fma_f64 v[40:41], v[24:25], v[2:3], v[40:41]
	v_fma_f64 v[2:3], v[26:27], v[2:3], v[6:7]
	s_waitcnt lgkmcnt(3)
	v_fma_f64 v[6:7], v[24:25], v[12:13], v[16:17]
	v_fma_f64 v[12:13], v[26:27], v[12:13], v[42:43]
	ds_read2_b64 v[24:27], v22 offset0:192 offset1:208
	s_waitcnt lgkmcnt(2)
	v_fma_f64 v[40:41], v[32:33], v[4:5], v[40:41]
	v_fma_f64 v[2:3], v[34:35], v[4:5], v[2:3]
	;; [unrolled: 1-line block ×4, first 2 shown]
	ds_read2_b64 v[14:17], v22 offset0:224 offset1:240
	s_waitcnt lgkmcnt(0)
	s_barrier
	buffer_gl0_inv
	v_fma_f64 v[12:13], v[24:25], v[28:29], v[40:41]
	v_fma_f64 v[2:3], v[26:27], v[28:29], v[2:3]
	;; [unrolled: 1-line block ×8, first 2 shown]
	s_cbranch_scc0 .LBB349_10
.LBB349_6:                              ; =>This Inner Loop Header: Depth=1
	v_add_nc_u32_e32 v14, s9, v19
	v_cmp_gt_i32_e64 s1, s3, v14
	v_mov_b32_e32 v14, 0
	v_mov_b32_e32 v15, 0
	s_and_b32 s12, vcc_lo, s1
	s_and_saveexec_b32 s1, s12
	s_cbranch_execz .LBB349_8
; %bb.7:                                ;   in Loop: Header=BB349_6 Depth=1
	flat_load_dwordx2 v[14:15], v[8:9]
.LBB349_8:                              ;   in Loop: Header=BB349_6 Depth=1
	s_or_b32 exec_lo, exec_lo, s1
	v_add_nc_u32_e32 v16, s9, v18
	s_waitcnt vmcnt(0) lgkmcnt(0)
	ds_write_b64 v20, v[14:15]
	v_cmp_gt_i32_e64 s1, s3, v16
	v_mov_b32_e32 v16, 0
	v_mov_b32_e32 v17, 0
	s_and_b32 s12, s1, s0
	s_and_saveexec_b32 s1, s12
	s_cbranch_execz .LBB349_5
; %bb.9:                                ;   in Loop: Header=BB349_6 Depth=1
	flat_load_dwordx2 v[16:17], v[10:11]
	s_branch .LBB349_5
.LBB349_10:
	s_clause 0x1
	s_load_dword s3, s[4:5], 0x50
	s_load_dwordx2 s[4:5], s[4:5], 0x58
	v_cmp_neq_f64_e64 s6, s[14:15], 0
	v_add_nc_u32_e32 v15, s26, v1
	v_add_nc_u32_e32 v0, s8, v0
	v_cmp_gt_i32_e64 s0, s2, v15
	v_cmp_le_i32_e32 vcc_lo, v0, v15
	v_ashrrev_i32_e32 v1, 31, v0
	s_waitcnt lgkmcnt(0)
	v_mad_i64_i32 v[8:9], null, v15, s3, 0
	s_lshl_b64 s[4:5], s[4:5], 3
	s_add_u32 s4, s10, s4
	s_addc_u32 s5, s11, s5
	v_cndmask_b32_e64 v14, 0, 1, s6
	s_and_b32 s7, s0, vcc_lo
	v_lshlrev_b64 v[8:9], 3, v[8:9]
	v_add_co_u32 v16, s1, s4, v8
	v_add_co_ci_u32_e64 v17, null, s5, v9, s1
	s_and_saveexec_b32 s1, s7
	s_cbranch_execz .LBB349_14
; %bb.11:
	v_mul_f64 v[8:9], s[16:17], v[12:13]
	v_lshlrev_b64 v[10:11], 3, v[0:1]
	v_add_co_u32 v10, vcc_lo, v16, v10
	v_add_co_ci_u32_e64 v11, null, v17, v11, vcc_lo
	s_andn2_b32 vcc_lo, exec_lo, s6
	s_cbranch_vccnz .LBB349_13
; %bb.12:
	flat_load_dwordx2 v[12:13], v[10:11]
	s_waitcnt vmcnt(0) lgkmcnt(0)
	v_fma_f64 v[8:9], s[14:15], v[12:13], v[8:9]
.LBB349_13:
	flat_store_dwordx2 v[10:11], v[8:9]
.LBB349_14:
	s_or_b32 exec_lo, exec_lo, s1
	v_add_nc_u32_e32 v8, 16, v0
	v_cmp_le_i32_e32 vcc_lo, v8, v15
	v_ashrrev_i32_e32 v9, 31, v8
	s_and_b32 s0, s0, vcc_lo
	s_and_saveexec_b32 s1, s0
	s_cbranch_execz .LBB349_18
; %bb.15:
	v_mul_f64 v[6:7], s[16:17], v[6:7]
	v_lshlrev_b64 v[10:11], 3, v[8:9]
	v_cmp_ne_u32_e32 vcc_lo, 1, v14
	v_add_co_u32 v10, s0, v16, v10
	v_add_co_ci_u32_e64 v11, null, v17, v11, s0
	s_cbranch_vccnz .LBB349_17
; %bb.16:
	flat_load_dwordx2 v[12:13], v[10:11]
	s_waitcnt vmcnt(0) lgkmcnt(0)
	v_fma_f64 v[6:7], s[14:15], v[12:13], v[6:7]
.LBB349_17:
	flat_store_dwordx2 v[10:11], v[6:7]
.LBB349_18:
	s_or_b32 exec_lo, exec_lo, s1
	v_add_nc_u32_e32 v10, 16, v15
	v_mad_i64_i32 v[6:7], null, v10, s3, 0
	v_cmp_gt_i32_e64 s0, s2, v10
	v_cmp_le_i32_e32 vcc_lo, v0, v10
	v_lshlrev_b64 v[6:7], 3, v[6:7]
	v_add_co_u32 v6, s1, s4, v6
	v_add_co_ci_u32_e64 v7, null, s5, v7, s1
	s_and_b32 s1, s0, vcc_lo
	s_and_saveexec_b32 s2, s1
	s_cbranch_execz .LBB349_22
; %bb.19:
	v_mul_f64 v[4:5], s[16:17], v[4:5]
	v_lshlrev_b64 v[0:1], 3, v[0:1]
	v_cmp_ne_u32_e32 vcc_lo, 1, v14
	v_add_co_u32 v0, s1, v6, v0
	v_add_co_ci_u32_e64 v1, null, v7, v1, s1
	s_cbranch_vccnz .LBB349_21
; %bb.20:
	flat_load_dwordx2 v[11:12], v[0:1]
	s_waitcnt vmcnt(0) lgkmcnt(0)
	v_fma_f64 v[4:5], s[14:15], v[11:12], v[4:5]
.LBB349_21:
	flat_store_dwordx2 v[0:1], v[4:5]
.LBB349_22:
	s_or_b32 exec_lo, exec_lo, s2
	v_cmp_le_i32_e32 vcc_lo, v8, v10
	s_and_b32 s0, s0, vcc_lo
	s_and_saveexec_b32 s1, s0
	s_cbranch_execz .LBB349_26
; %bb.23:
	v_mul_f64 v[0:1], s[16:17], v[2:3]
	v_lshlrev_b64 v[2:3], 3, v[8:9]
	v_cmp_ne_u32_e32 vcc_lo, 1, v14
	v_add_co_u32 v2, s0, v6, v2
	v_add_co_ci_u32_e64 v3, null, v7, v3, s0
	s_cbranch_vccnz .LBB349_25
; %bb.24:
	flat_load_dwordx2 v[4:5], v[2:3]
	s_waitcnt vmcnt(0) lgkmcnt(0)
	v_fma_f64 v[0:1], s[14:15], v[4:5], v[0:1]
.LBB349_25:
	flat_store_dwordx2 v[2:3], v[0:1]
.LBB349_26:
	s_endpgm
	.section	.rodata,"a",@progbits
	.p2align	6, 0x0
	.amdhsa_kernel _ZL29rocblas_internal_gemmt_kernelIiLi16ELi32ELi8ELc67ELc84ELc85ELb0ELb0EddPKPKdPKPdEviT_T9_T10_S7_lS9_S7_lS8_T11_S7_li
		.amdhsa_group_segment_fixed_size 4096
		.amdhsa_private_segment_fixed_size 0
		.amdhsa_kernarg_size 100
		.amdhsa_user_sgpr_count 6
		.amdhsa_user_sgpr_private_segment_buffer 1
		.amdhsa_user_sgpr_dispatch_ptr 0
		.amdhsa_user_sgpr_queue_ptr 0
		.amdhsa_user_sgpr_kernarg_segment_ptr 1
		.amdhsa_user_sgpr_dispatch_id 0
		.amdhsa_user_sgpr_flat_scratch_init 0
		.amdhsa_user_sgpr_private_segment_size 0
		.amdhsa_wavefront_size32 1
		.amdhsa_uses_dynamic_stack 0
		.amdhsa_system_sgpr_private_segment_wavefront_offset 0
		.amdhsa_system_sgpr_workgroup_id_x 1
		.amdhsa_system_sgpr_workgroup_id_y 1
		.amdhsa_system_sgpr_workgroup_id_z 1
		.amdhsa_system_sgpr_workgroup_info 0
		.amdhsa_system_vgpr_workitem_id 1
		.amdhsa_next_free_vgpr 44
		.amdhsa_next_free_sgpr 27
		.amdhsa_reserve_vcc 1
		.amdhsa_reserve_flat_scratch 0
		.amdhsa_float_round_mode_32 0
		.amdhsa_float_round_mode_16_64 0
		.amdhsa_float_denorm_mode_32 3
		.amdhsa_float_denorm_mode_16_64 3
		.amdhsa_dx10_clamp 1
		.amdhsa_ieee_mode 1
		.amdhsa_fp16_overflow 0
		.amdhsa_workgroup_processor_mode 1
		.amdhsa_memory_ordered 1
		.amdhsa_forward_progress 1
		.amdhsa_shared_vgpr_count 0
		.amdhsa_exception_fp_ieee_invalid_op 0
		.amdhsa_exception_fp_denorm_src 0
		.amdhsa_exception_fp_ieee_div_zero 0
		.amdhsa_exception_fp_ieee_overflow 0
		.amdhsa_exception_fp_ieee_underflow 0
		.amdhsa_exception_fp_ieee_inexact 0
		.amdhsa_exception_int_div_zero 0
	.end_amdhsa_kernel
	.section	.text._ZL29rocblas_internal_gemmt_kernelIiLi16ELi32ELi8ELc67ELc84ELc85ELb0ELb0EddPKPKdPKPdEviT_T9_T10_S7_lS9_S7_lS8_T11_S7_li,"axG",@progbits,_ZL29rocblas_internal_gemmt_kernelIiLi16ELi32ELi8ELc67ELc84ELc85ELb0ELb0EddPKPKdPKPdEviT_T9_T10_S7_lS9_S7_lS8_T11_S7_li,comdat
.Lfunc_end349:
	.size	_ZL29rocblas_internal_gemmt_kernelIiLi16ELi32ELi8ELc67ELc84ELc85ELb0ELb0EddPKPKdPKPdEviT_T9_T10_S7_lS9_S7_lS8_T11_S7_li, .Lfunc_end349-_ZL29rocblas_internal_gemmt_kernelIiLi16ELi32ELi8ELc67ELc84ELc85ELb0ELb0EddPKPKdPKPdEviT_T9_T10_S7_lS9_S7_lS8_T11_S7_li
                                        ; -- End function
	.set _ZL29rocblas_internal_gemmt_kernelIiLi16ELi32ELi8ELc67ELc84ELc85ELb0ELb0EddPKPKdPKPdEviT_T9_T10_S7_lS9_S7_lS8_T11_S7_li.num_vgpr, 44
	.set _ZL29rocblas_internal_gemmt_kernelIiLi16ELi32ELi8ELc67ELc84ELc85ELb0ELb0EddPKPKdPKPdEviT_T9_T10_S7_lS9_S7_lS8_T11_S7_li.num_agpr, 0
	.set _ZL29rocblas_internal_gemmt_kernelIiLi16ELi32ELi8ELc67ELc84ELc85ELb0ELb0EddPKPKdPKPdEviT_T9_T10_S7_lS9_S7_lS8_T11_S7_li.numbered_sgpr, 27
	.set _ZL29rocblas_internal_gemmt_kernelIiLi16ELi32ELi8ELc67ELc84ELc85ELb0ELb0EddPKPKdPKPdEviT_T9_T10_S7_lS9_S7_lS8_T11_S7_li.num_named_barrier, 0
	.set _ZL29rocblas_internal_gemmt_kernelIiLi16ELi32ELi8ELc67ELc84ELc85ELb0ELb0EddPKPKdPKPdEviT_T9_T10_S7_lS9_S7_lS8_T11_S7_li.private_seg_size, 0
	.set _ZL29rocblas_internal_gemmt_kernelIiLi16ELi32ELi8ELc67ELc84ELc85ELb0ELb0EddPKPKdPKPdEviT_T9_T10_S7_lS9_S7_lS8_T11_S7_li.uses_vcc, 1
	.set _ZL29rocblas_internal_gemmt_kernelIiLi16ELi32ELi8ELc67ELc84ELc85ELb0ELb0EddPKPKdPKPdEviT_T9_T10_S7_lS9_S7_lS8_T11_S7_li.uses_flat_scratch, 0
	.set _ZL29rocblas_internal_gemmt_kernelIiLi16ELi32ELi8ELc67ELc84ELc85ELb0ELb0EddPKPKdPKPdEviT_T9_T10_S7_lS9_S7_lS8_T11_S7_li.has_dyn_sized_stack, 0
	.set _ZL29rocblas_internal_gemmt_kernelIiLi16ELi32ELi8ELc67ELc84ELc85ELb0ELb0EddPKPKdPKPdEviT_T9_T10_S7_lS9_S7_lS8_T11_S7_li.has_recursion, 0
	.set _ZL29rocblas_internal_gemmt_kernelIiLi16ELi32ELi8ELc67ELc84ELc85ELb0ELb0EddPKPKdPKPdEviT_T9_T10_S7_lS9_S7_lS8_T11_S7_li.has_indirect_call, 0
	.section	.AMDGPU.csdata,"",@progbits
; Kernel info:
; codeLenInByte = 1656
; TotalNumSgprs: 29
; NumVgprs: 44
; ScratchSize: 0
; MemoryBound: 0
; FloatMode: 240
; IeeeMode: 1
; LDSByteSize: 4096 bytes/workgroup (compile time only)
; SGPRBlocks: 0
; VGPRBlocks: 5
; NumSGPRsForWavesPerEU: 29
; NumVGPRsForWavesPerEU: 44
; Occupancy: 16
; WaveLimiterHint : 1
; COMPUTE_PGM_RSRC2:SCRATCH_EN: 0
; COMPUTE_PGM_RSRC2:USER_SGPR: 6
; COMPUTE_PGM_RSRC2:TRAP_HANDLER: 0
; COMPUTE_PGM_RSRC2:TGID_X_EN: 1
; COMPUTE_PGM_RSRC2:TGID_Y_EN: 1
; COMPUTE_PGM_RSRC2:TGID_Z_EN: 1
; COMPUTE_PGM_RSRC2:TIDIG_COMP_CNT: 1
	.section	.text._ZL29rocblas_internal_gemmt_kernelIiLi16ELi32ELi8ELc67ELc67ELc85ELb0ELb0EddPKPKdPKPdEviT_T9_T10_S7_lS9_S7_lS8_T11_S7_li,"axG",@progbits,_ZL29rocblas_internal_gemmt_kernelIiLi16ELi32ELi8ELc67ELc67ELc85ELb0ELb0EddPKPKdPKPdEviT_T9_T10_S7_lS9_S7_lS8_T11_S7_li,comdat
	.globl	_ZL29rocblas_internal_gemmt_kernelIiLi16ELi32ELi8ELc67ELc67ELc85ELb0ELb0EddPKPKdPKPdEviT_T9_T10_S7_lS9_S7_lS8_T11_S7_li ; -- Begin function _ZL29rocblas_internal_gemmt_kernelIiLi16ELi32ELi8ELc67ELc67ELc85ELb0ELb0EddPKPKdPKPdEviT_T9_T10_S7_lS9_S7_lS8_T11_S7_li
	.p2align	8
	.type	_ZL29rocblas_internal_gemmt_kernelIiLi16ELi32ELi8ELc67ELc67ELc85ELb0ELb0EddPKPKdPKPdEviT_T9_T10_S7_lS9_S7_lS8_T11_S7_li,@function
_ZL29rocblas_internal_gemmt_kernelIiLi16ELi32ELi8ELc67ELc67ELc85ELb0ELb0EddPKPKdPKPdEviT_T9_T10_S7_lS9_S7_lS8_T11_S7_li: ; @_ZL29rocblas_internal_gemmt_kernelIiLi16ELi32ELi8ELc67ELc67ELc85ELb0ELb0EddPKPKdPKPdEviT_T9_T10_S7_lS9_S7_lS8_T11_S7_li
; %bb.0:
	s_clause 0x2
	s_load_dwordx4 s[12:15], s[4:5], 0x38
	s_load_dwordx2 s[2:3], s[4:5], 0x0
	s_load_dwordx4 s[16:19], s[4:5], 0x8
	s_waitcnt lgkmcnt(0)
	v_cmp_neq_f64_e64 s0, s[14:15], 1.0
	s_and_b32 vcc_lo, exec_lo, s0
	s_cbranch_vccnz .LBB350_2
; %bb.1:
	v_cmp_neq_f64_e64 s0, s[16:17], 0
	s_cmp_lg_u32 s3, 0
	s_cselect_b32 s1, -1, 0
	s_and_b32 s0, s1, s0
.LBB350_2:
	s_andn2_b32 vcc_lo, exec_lo, s0
	s_cbranch_vccnz .LBB350_26
; %bb.3:
	s_load_dwordx2 s[0:1], s[4:5], 0x48
	s_mov_b32 s9, 0
	v_cmp_eq_f64_e64 s20, s[16:17], 0
	s_lshl_b64 s[24:25], s[8:9], 3
	v_mov_b32_e32 v12, 0
	v_mov_b32_e32 v6, 0
	;; [unrolled: 1-line block ×8, first 2 shown]
	s_waitcnt lgkmcnt(0)
	s_add_u32 s0, s0, s24
	s_addc_u32 s1, s1, s25
	s_lshl_b32 s8, s6, 5
	s_load_dwordx2 s[10:11], s[0:1], 0x0
	s_lshl_b32 s26, s7, 5
	s_cmp_lt_i32 s3, 1
	s_cselect_b32 s0, -1, 0
	s_or_b32 s0, s20, s0
	s_and_b32 vcc_lo, exec_lo, s0
	s_cbranch_vccnz .LBB350_10
; %bb.4:
	s_clause 0x2
	s_load_dword s6, s[4:5], 0x30
	s_load_dword s1, s[4:5], 0x18
	s_load_dwordx4 s[20:23], s[4:5], 0x20
	v_lshl_add_u32 v2, v1, 4, v0
	v_and_b32_e32 v18, 7, v0
	v_mov_b32_e32 v12, 0
	v_lshlrev_b32_e32 v22, 3, v0
	v_lshl_add_u32 v23, v1, 6, 0x800
	v_and_b32_e32 v3, 31, v2
	v_lshrrev_b32_e32 v4, 3, v2
	v_lshlrev_b32_e32 v5, 3, v18
	v_lshrrev_b32_e32 v19, 5, v2
	v_mov_b32_e32 v13, 0
	v_or_b32_e32 v6, s8, v3
	v_lshlrev_b32_e32 v7, 3, v3
	v_add_nc_u32_e32 v2, s26, v4
	v_lshl_or_b32 v4, v4, 6, v5
	v_add_nc_u32_e32 v3, s8, v3
	v_cmp_gt_i32_e32 vcc_lo, s2, v6
	v_lshl_or_b32 v20, v19, 8, v7
	v_lshlrev_b32_e32 v8, 3, v19
	v_add_nc_u32_e32 v21, 0x800, v4
	s_waitcnt lgkmcnt(0)
	s_ashr_i32 s7, s6, 31
	v_mad_i64_i32 v[4:5], null, s1, v3, 0
	s_add_u32 s22, s22, s24
	s_addc_u32 s23, s23, s25
	s_add_u32 s18, s18, s24
	s_addc_u32 s19, s19, s25
	s_load_dwordx2 s[22:23], s[22:23], 0x0
	s_load_dwordx2 s[18:19], s[18:19], 0x0
	v_mad_i64_i32 v[6:7], null, s6, v18, 0
	v_lshlrev_b64 v[4:5], 3, v[4:5]
	s_lshl_b64 s[20:21], s[20:21], 3
	v_ashrrev_i32_e32 v3, 31, v2
	s_lshl_b64 s[12:13], s[12:13], 3
	v_cmp_gt_i32_e64 s0, s2, v2
	s_lshl_b64 s[6:7], s[6:7], 6
	v_add_co_u32 v9, s1, v4, s20
	v_add_co_ci_u32_e64 v10, null, s21, v5, s1
	v_lshlrev_b64 v[4:5], 3, v[6:7]
	v_add_co_u32 v6, s1, v9, v8
	v_lshlrev_b64 v[2:3], 3, v[2:3]
	v_add_co_ci_u32_e64 v7, null, 0, v10, s1
	v_add_co_u32 v4, s1, v4, s12
	v_add_co_ci_u32_e64 v5, null, s13, v5, s1
	s_waitcnt lgkmcnt(0)
	v_add_co_u32 v8, s1, s18, v6
	v_add_co_ci_u32_e64 v9, null, s19, v7, s1
	v_add_co_u32 v10, s1, v4, v2
	v_add_co_ci_u32_e64 v11, null, v5, v3, s1
	v_mov_b32_e32 v2, 0
	v_add_co_u32 v10, s1, s22, v10
	v_mov_b32_e32 v4, 0
	v_mov_b32_e32 v6, 0
	;; [unrolled: 1-line block ×5, first 2 shown]
	v_add_co_ci_u32_e64 v11, null, s23, v11, s1
	s_branch .LBB350_6
.LBB350_5:                              ;   in Loop: Header=BB350_6 Depth=1
	s_or_b32 exec_lo, exec_lo, s1
	s_waitcnt vmcnt(0) lgkmcnt(0)
	ds_write_b64 v21, v[16:17]
	s_waitcnt lgkmcnt(0)
	s_barrier
	buffer_gl0_inv
	ds_read_b128 v[14:17], v23
	ds_read2_b64 v[24:27], v22 offset1:16
	ds_read_b128 v[28:31], v23 offset:1024
	ds_read_b128 v[32:35], v23 offset:16
	ds_read2_b64 v[36:39], v22 offset0:32 offset1:48
	ds_read_b128 v[40:43], v23 offset:1040
	v_add_co_u32 v8, s1, v8, 64
	v_add_co_ci_u32_e64 v9, null, 0, v9, s1
	v_add_co_u32 v10, s1, v10, s6
	v_add_co_ci_u32_e64 v11, null, s7, v11, s1
	s_add_i32 s9, s9, 8
	s_cmp_lt_i32 s9, s3
	s_waitcnt lgkmcnt(4)
	v_fma_f64 v[12:13], v[24:25], v[14:15], v[12:13]
	v_fma_f64 v[6:7], v[26:27], v[14:15], v[6:7]
	s_waitcnt lgkmcnt(3)
	v_fma_f64 v[14:15], v[24:25], v[28:29], v[4:5]
	v_fma_f64 v[24:25], v[26:27], v[28:29], v[2:3]
	ds_read2_b64 v[2:5], v22 offset0:64 offset1:80
	s_waitcnt lgkmcnt(2)
	v_fma_f64 v[26:27], v[36:37], v[16:17], v[12:13]
	v_fma_f64 v[6:7], v[38:39], v[16:17], v[6:7]
	;; [unrolled: 1-line block ×4, first 2 shown]
	ds_read2_b64 v[12:15], v22 offset0:96 offset1:112
	s_waitcnt lgkmcnt(1)
	v_fma_f64 v[28:29], v[2:3], v[32:33], v[26:27]
	v_fma_f64 v[6:7], v[4:5], v[32:33], v[6:7]
	;; [unrolled: 1-line block ×4, first 2 shown]
	ds_read_b128 v[2:5], v23 offset:32
	ds_read2_b64 v[24:27], v22 offset0:128 offset1:144
	s_waitcnt lgkmcnt(2)
	v_fma_f64 v[40:41], v[12:13], v[34:35], v[28:29]
	v_fma_f64 v[6:7], v[14:15], v[34:35], v[6:7]
	;; [unrolled: 1-line block ×4, first 2 shown]
	ds_read_b128 v[12:15], v23 offset:1056
	ds_read_b128 v[28:31], v23 offset:48
	ds_read2_b64 v[32:35], v22 offset0:160 offset1:176
	ds_read_b128 v[36:39], v23 offset:1072
	s_waitcnt lgkmcnt(4)
	v_fma_f64 v[40:41], v[24:25], v[2:3], v[40:41]
	v_fma_f64 v[2:3], v[26:27], v[2:3], v[6:7]
	s_waitcnt lgkmcnt(3)
	v_fma_f64 v[6:7], v[24:25], v[12:13], v[16:17]
	v_fma_f64 v[12:13], v[26:27], v[12:13], v[42:43]
	ds_read2_b64 v[24:27], v22 offset0:192 offset1:208
	s_waitcnt lgkmcnt(2)
	v_fma_f64 v[40:41], v[32:33], v[4:5], v[40:41]
	v_fma_f64 v[2:3], v[34:35], v[4:5], v[2:3]
	;; [unrolled: 1-line block ×4, first 2 shown]
	ds_read2_b64 v[14:17], v22 offset0:224 offset1:240
	s_waitcnt lgkmcnt(0)
	s_barrier
	buffer_gl0_inv
	v_fma_f64 v[12:13], v[24:25], v[28:29], v[40:41]
	v_fma_f64 v[2:3], v[26:27], v[28:29], v[2:3]
	;; [unrolled: 1-line block ×8, first 2 shown]
	s_cbranch_scc0 .LBB350_10
.LBB350_6:                              ; =>This Inner Loop Header: Depth=1
	v_add_nc_u32_e32 v14, s9, v19
	v_cmp_gt_i32_e64 s1, s3, v14
	v_mov_b32_e32 v14, 0
	v_mov_b32_e32 v15, 0
	s_and_b32 s12, vcc_lo, s1
	s_and_saveexec_b32 s1, s12
	s_cbranch_execz .LBB350_8
; %bb.7:                                ;   in Loop: Header=BB350_6 Depth=1
	flat_load_dwordx2 v[14:15], v[8:9]
.LBB350_8:                              ;   in Loop: Header=BB350_6 Depth=1
	s_or_b32 exec_lo, exec_lo, s1
	v_add_nc_u32_e32 v16, s9, v18
	s_waitcnt vmcnt(0) lgkmcnt(0)
	ds_write_b64 v20, v[14:15]
	v_cmp_gt_i32_e64 s1, s3, v16
	v_mov_b32_e32 v16, 0
	v_mov_b32_e32 v17, 0
	s_and_b32 s12, s1, s0
	s_and_saveexec_b32 s1, s12
	s_cbranch_execz .LBB350_5
; %bb.9:                                ;   in Loop: Header=BB350_6 Depth=1
	flat_load_dwordx2 v[16:17], v[10:11]
	s_branch .LBB350_5
.LBB350_10:
	s_clause 0x1
	s_load_dword s3, s[4:5], 0x50
	s_load_dwordx2 s[4:5], s[4:5], 0x58
	v_cmp_neq_f64_e64 s6, s[14:15], 0
	v_add_nc_u32_e32 v15, s26, v1
	v_add_nc_u32_e32 v0, s8, v0
	v_cmp_gt_i32_e64 s0, s2, v15
	v_cmp_le_i32_e32 vcc_lo, v0, v15
	v_ashrrev_i32_e32 v1, 31, v0
	s_waitcnt lgkmcnt(0)
	v_mad_i64_i32 v[8:9], null, v15, s3, 0
	s_lshl_b64 s[4:5], s[4:5], 3
	s_add_u32 s4, s10, s4
	s_addc_u32 s5, s11, s5
	v_cndmask_b32_e64 v14, 0, 1, s6
	s_and_b32 s7, s0, vcc_lo
	v_lshlrev_b64 v[8:9], 3, v[8:9]
	v_add_co_u32 v16, s1, s4, v8
	v_add_co_ci_u32_e64 v17, null, s5, v9, s1
	s_and_saveexec_b32 s1, s7
	s_cbranch_execz .LBB350_14
; %bb.11:
	v_mul_f64 v[8:9], s[16:17], v[12:13]
	v_lshlrev_b64 v[10:11], 3, v[0:1]
	v_add_co_u32 v10, vcc_lo, v16, v10
	v_add_co_ci_u32_e64 v11, null, v17, v11, vcc_lo
	s_andn2_b32 vcc_lo, exec_lo, s6
	s_cbranch_vccnz .LBB350_13
; %bb.12:
	flat_load_dwordx2 v[12:13], v[10:11]
	s_waitcnt vmcnt(0) lgkmcnt(0)
	v_fma_f64 v[8:9], s[14:15], v[12:13], v[8:9]
.LBB350_13:
	flat_store_dwordx2 v[10:11], v[8:9]
.LBB350_14:
	s_or_b32 exec_lo, exec_lo, s1
	v_add_nc_u32_e32 v8, 16, v0
	v_cmp_le_i32_e32 vcc_lo, v8, v15
	v_ashrrev_i32_e32 v9, 31, v8
	s_and_b32 s0, s0, vcc_lo
	s_and_saveexec_b32 s1, s0
	s_cbranch_execz .LBB350_18
; %bb.15:
	v_mul_f64 v[6:7], s[16:17], v[6:7]
	v_lshlrev_b64 v[10:11], 3, v[8:9]
	v_cmp_ne_u32_e32 vcc_lo, 1, v14
	v_add_co_u32 v10, s0, v16, v10
	v_add_co_ci_u32_e64 v11, null, v17, v11, s0
	s_cbranch_vccnz .LBB350_17
; %bb.16:
	flat_load_dwordx2 v[12:13], v[10:11]
	s_waitcnt vmcnt(0) lgkmcnt(0)
	v_fma_f64 v[6:7], s[14:15], v[12:13], v[6:7]
.LBB350_17:
	flat_store_dwordx2 v[10:11], v[6:7]
.LBB350_18:
	s_or_b32 exec_lo, exec_lo, s1
	v_add_nc_u32_e32 v10, 16, v15
	v_mad_i64_i32 v[6:7], null, v10, s3, 0
	v_cmp_gt_i32_e64 s0, s2, v10
	v_cmp_le_i32_e32 vcc_lo, v0, v10
	v_lshlrev_b64 v[6:7], 3, v[6:7]
	v_add_co_u32 v6, s1, s4, v6
	v_add_co_ci_u32_e64 v7, null, s5, v7, s1
	s_and_b32 s1, s0, vcc_lo
	s_and_saveexec_b32 s2, s1
	s_cbranch_execz .LBB350_22
; %bb.19:
	v_mul_f64 v[4:5], s[16:17], v[4:5]
	v_lshlrev_b64 v[0:1], 3, v[0:1]
	v_cmp_ne_u32_e32 vcc_lo, 1, v14
	v_add_co_u32 v0, s1, v6, v0
	v_add_co_ci_u32_e64 v1, null, v7, v1, s1
	s_cbranch_vccnz .LBB350_21
; %bb.20:
	flat_load_dwordx2 v[11:12], v[0:1]
	s_waitcnt vmcnt(0) lgkmcnt(0)
	v_fma_f64 v[4:5], s[14:15], v[11:12], v[4:5]
.LBB350_21:
	flat_store_dwordx2 v[0:1], v[4:5]
.LBB350_22:
	s_or_b32 exec_lo, exec_lo, s2
	v_cmp_le_i32_e32 vcc_lo, v8, v10
	s_and_b32 s0, s0, vcc_lo
	s_and_saveexec_b32 s1, s0
	s_cbranch_execz .LBB350_26
; %bb.23:
	v_mul_f64 v[0:1], s[16:17], v[2:3]
	v_lshlrev_b64 v[2:3], 3, v[8:9]
	v_cmp_ne_u32_e32 vcc_lo, 1, v14
	v_add_co_u32 v2, s0, v6, v2
	v_add_co_ci_u32_e64 v3, null, v7, v3, s0
	s_cbranch_vccnz .LBB350_25
; %bb.24:
	flat_load_dwordx2 v[4:5], v[2:3]
	s_waitcnt vmcnt(0) lgkmcnt(0)
	v_fma_f64 v[0:1], s[14:15], v[4:5], v[0:1]
.LBB350_25:
	flat_store_dwordx2 v[2:3], v[0:1]
.LBB350_26:
	s_endpgm
	.section	.rodata,"a",@progbits
	.p2align	6, 0x0
	.amdhsa_kernel _ZL29rocblas_internal_gemmt_kernelIiLi16ELi32ELi8ELc67ELc67ELc85ELb0ELb0EddPKPKdPKPdEviT_T9_T10_S7_lS9_S7_lS8_T11_S7_li
		.amdhsa_group_segment_fixed_size 4096
		.amdhsa_private_segment_fixed_size 0
		.amdhsa_kernarg_size 100
		.amdhsa_user_sgpr_count 6
		.amdhsa_user_sgpr_private_segment_buffer 1
		.amdhsa_user_sgpr_dispatch_ptr 0
		.amdhsa_user_sgpr_queue_ptr 0
		.amdhsa_user_sgpr_kernarg_segment_ptr 1
		.amdhsa_user_sgpr_dispatch_id 0
		.amdhsa_user_sgpr_flat_scratch_init 0
		.amdhsa_user_sgpr_private_segment_size 0
		.amdhsa_wavefront_size32 1
		.amdhsa_uses_dynamic_stack 0
		.amdhsa_system_sgpr_private_segment_wavefront_offset 0
		.amdhsa_system_sgpr_workgroup_id_x 1
		.amdhsa_system_sgpr_workgroup_id_y 1
		.amdhsa_system_sgpr_workgroup_id_z 1
		.amdhsa_system_sgpr_workgroup_info 0
		.amdhsa_system_vgpr_workitem_id 1
		.amdhsa_next_free_vgpr 44
		.amdhsa_next_free_sgpr 27
		.amdhsa_reserve_vcc 1
		.amdhsa_reserve_flat_scratch 0
		.amdhsa_float_round_mode_32 0
		.amdhsa_float_round_mode_16_64 0
		.amdhsa_float_denorm_mode_32 3
		.amdhsa_float_denorm_mode_16_64 3
		.amdhsa_dx10_clamp 1
		.amdhsa_ieee_mode 1
		.amdhsa_fp16_overflow 0
		.amdhsa_workgroup_processor_mode 1
		.amdhsa_memory_ordered 1
		.amdhsa_forward_progress 1
		.amdhsa_shared_vgpr_count 0
		.amdhsa_exception_fp_ieee_invalid_op 0
		.amdhsa_exception_fp_denorm_src 0
		.amdhsa_exception_fp_ieee_div_zero 0
		.amdhsa_exception_fp_ieee_overflow 0
		.amdhsa_exception_fp_ieee_underflow 0
		.amdhsa_exception_fp_ieee_inexact 0
		.amdhsa_exception_int_div_zero 0
	.end_amdhsa_kernel
	.section	.text._ZL29rocblas_internal_gemmt_kernelIiLi16ELi32ELi8ELc67ELc67ELc85ELb0ELb0EddPKPKdPKPdEviT_T9_T10_S7_lS9_S7_lS8_T11_S7_li,"axG",@progbits,_ZL29rocblas_internal_gemmt_kernelIiLi16ELi32ELi8ELc67ELc67ELc85ELb0ELb0EddPKPKdPKPdEviT_T9_T10_S7_lS9_S7_lS8_T11_S7_li,comdat
.Lfunc_end350:
	.size	_ZL29rocblas_internal_gemmt_kernelIiLi16ELi32ELi8ELc67ELc67ELc85ELb0ELb0EddPKPKdPKPdEviT_T9_T10_S7_lS9_S7_lS8_T11_S7_li, .Lfunc_end350-_ZL29rocblas_internal_gemmt_kernelIiLi16ELi32ELi8ELc67ELc67ELc85ELb0ELb0EddPKPKdPKPdEviT_T9_T10_S7_lS9_S7_lS8_T11_S7_li
                                        ; -- End function
	.set _ZL29rocblas_internal_gemmt_kernelIiLi16ELi32ELi8ELc67ELc67ELc85ELb0ELb0EddPKPKdPKPdEviT_T9_T10_S7_lS9_S7_lS8_T11_S7_li.num_vgpr, 44
	.set _ZL29rocblas_internal_gemmt_kernelIiLi16ELi32ELi8ELc67ELc67ELc85ELb0ELb0EddPKPKdPKPdEviT_T9_T10_S7_lS9_S7_lS8_T11_S7_li.num_agpr, 0
	.set _ZL29rocblas_internal_gemmt_kernelIiLi16ELi32ELi8ELc67ELc67ELc85ELb0ELb0EddPKPKdPKPdEviT_T9_T10_S7_lS9_S7_lS8_T11_S7_li.numbered_sgpr, 27
	.set _ZL29rocblas_internal_gemmt_kernelIiLi16ELi32ELi8ELc67ELc67ELc85ELb0ELb0EddPKPKdPKPdEviT_T9_T10_S7_lS9_S7_lS8_T11_S7_li.num_named_barrier, 0
	.set _ZL29rocblas_internal_gemmt_kernelIiLi16ELi32ELi8ELc67ELc67ELc85ELb0ELb0EddPKPKdPKPdEviT_T9_T10_S7_lS9_S7_lS8_T11_S7_li.private_seg_size, 0
	.set _ZL29rocblas_internal_gemmt_kernelIiLi16ELi32ELi8ELc67ELc67ELc85ELb0ELb0EddPKPKdPKPdEviT_T9_T10_S7_lS9_S7_lS8_T11_S7_li.uses_vcc, 1
	.set _ZL29rocblas_internal_gemmt_kernelIiLi16ELi32ELi8ELc67ELc67ELc85ELb0ELb0EddPKPKdPKPdEviT_T9_T10_S7_lS9_S7_lS8_T11_S7_li.uses_flat_scratch, 0
	.set _ZL29rocblas_internal_gemmt_kernelIiLi16ELi32ELi8ELc67ELc67ELc85ELb0ELb0EddPKPKdPKPdEviT_T9_T10_S7_lS9_S7_lS8_T11_S7_li.has_dyn_sized_stack, 0
	.set _ZL29rocblas_internal_gemmt_kernelIiLi16ELi32ELi8ELc67ELc67ELc85ELb0ELb0EddPKPKdPKPdEviT_T9_T10_S7_lS9_S7_lS8_T11_S7_li.has_recursion, 0
	.set _ZL29rocblas_internal_gemmt_kernelIiLi16ELi32ELi8ELc67ELc67ELc85ELb0ELb0EddPKPKdPKPdEviT_T9_T10_S7_lS9_S7_lS8_T11_S7_li.has_indirect_call, 0
	.section	.AMDGPU.csdata,"",@progbits
; Kernel info:
; codeLenInByte = 1656
; TotalNumSgprs: 29
; NumVgprs: 44
; ScratchSize: 0
; MemoryBound: 0
; FloatMode: 240
; IeeeMode: 1
; LDSByteSize: 4096 bytes/workgroup (compile time only)
; SGPRBlocks: 0
; VGPRBlocks: 5
; NumSGPRsForWavesPerEU: 29
; NumVGPRsForWavesPerEU: 44
; Occupancy: 16
; WaveLimiterHint : 1
; COMPUTE_PGM_RSRC2:SCRATCH_EN: 0
; COMPUTE_PGM_RSRC2:USER_SGPR: 6
; COMPUTE_PGM_RSRC2:TRAP_HANDLER: 0
; COMPUTE_PGM_RSRC2:TGID_X_EN: 1
; COMPUTE_PGM_RSRC2:TGID_Y_EN: 1
; COMPUTE_PGM_RSRC2:TGID_Z_EN: 1
; COMPUTE_PGM_RSRC2:TIDIG_COMP_CNT: 1
	.section	.text._ZL29rocblas_internal_gemmt_kernelIiLi16ELi32ELi8ELc78ELc78ELc76ELb0ELb0EddPKPKdPKPdEviT_T9_T10_S7_lS9_S7_lS8_T11_S7_li,"axG",@progbits,_ZL29rocblas_internal_gemmt_kernelIiLi16ELi32ELi8ELc78ELc78ELc76ELb0ELb0EddPKPKdPKPdEviT_T9_T10_S7_lS9_S7_lS8_T11_S7_li,comdat
	.globl	_ZL29rocblas_internal_gemmt_kernelIiLi16ELi32ELi8ELc78ELc78ELc76ELb0ELb0EddPKPKdPKPdEviT_T9_T10_S7_lS9_S7_lS8_T11_S7_li ; -- Begin function _ZL29rocblas_internal_gemmt_kernelIiLi16ELi32ELi8ELc78ELc78ELc76ELb0ELb0EddPKPKdPKPdEviT_T9_T10_S7_lS9_S7_lS8_T11_S7_li
	.p2align	8
	.type	_ZL29rocblas_internal_gemmt_kernelIiLi16ELi32ELi8ELc78ELc78ELc76ELb0ELb0EddPKPKdPKPdEviT_T9_T10_S7_lS9_S7_lS8_T11_S7_li,@function
_ZL29rocblas_internal_gemmt_kernelIiLi16ELi32ELi8ELc78ELc78ELc76ELb0ELb0EddPKPKdPKPdEviT_T9_T10_S7_lS9_S7_lS8_T11_S7_li: ; @_ZL29rocblas_internal_gemmt_kernelIiLi16ELi32ELi8ELc78ELc78ELc76ELb0ELb0EddPKPKdPKPdEviT_T9_T10_S7_lS9_S7_lS8_T11_S7_li
; %bb.0:
	s_clause 0x2
	s_load_dwordx4 s[12:15], s[4:5], 0x38
	s_load_dwordx2 s[2:3], s[4:5], 0x0
	s_load_dwordx4 s[16:19], s[4:5], 0x8
	s_waitcnt lgkmcnt(0)
	v_cmp_neq_f64_e64 s0, s[14:15], 1.0
	s_and_b32 vcc_lo, exec_lo, s0
	s_cbranch_vccnz .LBB351_2
; %bb.1:
	v_cmp_neq_f64_e64 s0, s[16:17], 0
	s_cmp_lg_u32 s3, 0
	s_cselect_b32 s1, -1, 0
	s_and_b32 s0, s1, s0
.LBB351_2:
	s_andn2_b32 vcc_lo, exec_lo, s0
	s_cbranch_vccnz .LBB351_26
; %bb.3:
	s_load_dwordx2 s[0:1], s[4:5], 0x48
	s_mov_b32 s9, 0
	v_cmp_eq_f64_e64 s20, s[16:17], 0
	s_lshl_b64 s[24:25], s[8:9], 3
	v_mov_b32_e32 v12, 0
	v_mov_b32_e32 v6, 0
	;; [unrolled: 1-line block ×8, first 2 shown]
	s_waitcnt lgkmcnt(0)
	s_add_u32 s0, s0, s24
	s_addc_u32 s1, s1, s25
	s_lshl_b32 s8, s6, 5
	s_load_dwordx2 s[10:11], s[0:1], 0x0
	s_lshl_b32 s26, s7, 5
	s_cmp_lt_i32 s3, 1
	s_cselect_b32 s0, -1, 0
	s_or_b32 s0, s20, s0
	s_and_b32 vcc_lo, exec_lo, s0
	s_cbranch_vccnz .LBB351_10
; %bb.4:
	s_clause 0x1
	s_load_dword s6, s[4:5], 0x18
	s_load_dwordx4 s[20:23], s[4:5], 0x20
	v_lshl_add_u32 v2, v1, 4, v0
	v_and_b32_e32 v18, 7, v0
	s_load_dword s1, s[4:5], 0x30
	v_mov_b32_e32 v12, 0
	v_lshlrev_b32_e32 v19, 3, v0
	v_lshrrev_b32_e32 v4, 3, v2
	v_lshlrev_b32_e32 v10, 3, v18
	v_and_b32_e32 v3, 31, v2
	v_lshrrev_b32_e32 v20, 5, v2
	v_lshl_add_u32 v23, v1, 6, 0x800
	v_add_nc_u32_e32 v7, s26, v4
	v_lshl_or_b32 v4, v4, 6, v10
	v_or_b32_e32 v5, s8, v3
	v_lshlrev_b32_e32 v6, 3, v3
	v_add_nc_u32_e32 v2, s8, v3
	v_cmp_gt_i32_e64 s0, s2, v7
	v_add_nc_u32_e32 v22, 0x800, v4
	v_cmp_gt_i32_e32 vcc_lo, s2, v5
	s_waitcnt lgkmcnt(0)
	v_mad_i64_i32 v[3:4], null, v20, s6, 0
	s_ashr_i32 s7, s6, 31
	s_add_u32 s22, s22, s24
	s_addc_u32 s23, s23, s25
	s_add_u32 s18, s18, s24
	s_addc_u32 s19, s19, s25
	s_load_dwordx2 s[22:23], s[22:23], 0x0
	s_load_dwordx2 s[18:19], s[18:19], 0x0
	v_lshl_or_b32 v21, v20, 8, v6
	v_lshlrev_b64 v[4:5], 3, v[3:4]
	v_mad_i64_i32 v[6:7], null, s1, v7, 0
	v_ashrrev_i32_e32 v3, 31, v2
	s_lshl_b64 s[20:21], s[20:21], 3
	s_lshl_b64 s[12:13], s[12:13], 3
	v_add_co_u32 v8, s1, v4, s20
	v_lshlrev_b64 v[2:3], 3, v[2:3]
	v_add_co_ci_u32_e64 v9, null, s21, v5, s1
	v_lshlrev_b64 v[4:5], 3, v[6:7]
	v_mov_b32_e32 v6, 0
	v_mov_b32_e32 v7, 0
	v_add_co_u32 v2, s1, v8, v2
	v_add_co_ci_u32_e64 v3, null, v9, v3, s1
	v_add_co_u32 v4, s1, v4, s12
	v_add_co_ci_u32_e64 v5, null, s13, v5, s1
	s_waitcnt lgkmcnt(0)
	v_add_co_u32 v8, s1, s18, v2
	v_add_co_ci_u32_e64 v9, null, s19, v3, s1
	v_add_co_u32 v10, s1, v4, v10
	v_add_co_ci_u32_e64 v11, null, 0, v5, s1
	v_mov_b32_e32 v2, 0
	v_add_co_u32 v10, s1, s22, v10
	v_mov_b32_e32 v4, 0
	v_mov_b32_e32 v3, 0
	;; [unrolled: 1-line block ×4, first 2 shown]
	v_add_co_ci_u32_e64 v11, null, s23, v11, s1
	s_lshl_b64 s[6:7], s[6:7], 6
	s_branch .LBB351_6
.LBB351_5:                              ;   in Loop: Header=BB351_6 Depth=1
	s_or_b32 exec_lo, exec_lo, s1
	s_waitcnt vmcnt(0) lgkmcnt(0)
	ds_write_b64 v22, v[16:17]
	s_waitcnt lgkmcnt(0)
	s_barrier
	buffer_gl0_inv
	ds_read_b128 v[14:17], v23
	ds_read2_b64 v[24:27], v19 offset1:16
	ds_read_b128 v[28:31], v23 offset:1024
	ds_read_b128 v[32:35], v23 offset:16
	ds_read2_b64 v[36:39], v19 offset0:32 offset1:48
	ds_read_b128 v[40:43], v23 offset:1040
	v_add_co_u32 v8, s1, v8, s6
	v_add_co_ci_u32_e64 v9, null, s7, v9, s1
	v_add_co_u32 v10, s1, v10, 64
	v_add_co_ci_u32_e64 v11, null, 0, v11, s1
	s_add_i32 s9, s9, 8
	s_cmp_lt_i32 s9, s3
	s_waitcnt lgkmcnt(4)
	v_fma_f64 v[12:13], v[24:25], v[14:15], v[12:13]
	v_fma_f64 v[6:7], v[26:27], v[14:15], v[6:7]
	s_waitcnt lgkmcnt(3)
	v_fma_f64 v[14:15], v[24:25], v[28:29], v[4:5]
	v_fma_f64 v[24:25], v[26:27], v[28:29], v[2:3]
	ds_read2_b64 v[2:5], v19 offset0:64 offset1:80
	s_waitcnt lgkmcnt(2)
	v_fma_f64 v[26:27], v[36:37], v[16:17], v[12:13]
	v_fma_f64 v[6:7], v[38:39], v[16:17], v[6:7]
	;; [unrolled: 1-line block ×4, first 2 shown]
	ds_read2_b64 v[12:15], v19 offset0:96 offset1:112
	s_waitcnt lgkmcnt(1)
	v_fma_f64 v[28:29], v[2:3], v[32:33], v[26:27]
	v_fma_f64 v[6:7], v[4:5], v[32:33], v[6:7]
	;; [unrolled: 1-line block ×4, first 2 shown]
	ds_read_b128 v[2:5], v23 offset:32
	ds_read2_b64 v[24:27], v19 offset0:128 offset1:144
	s_waitcnt lgkmcnt(2)
	v_fma_f64 v[40:41], v[12:13], v[34:35], v[28:29]
	v_fma_f64 v[6:7], v[14:15], v[34:35], v[6:7]
	;; [unrolled: 1-line block ×4, first 2 shown]
	ds_read_b128 v[12:15], v23 offset:1056
	ds_read_b128 v[28:31], v23 offset:48
	ds_read2_b64 v[32:35], v19 offset0:160 offset1:176
	ds_read_b128 v[36:39], v23 offset:1072
	s_waitcnt lgkmcnt(4)
	v_fma_f64 v[40:41], v[24:25], v[2:3], v[40:41]
	v_fma_f64 v[2:3], v[26:27], v[2:3], v[6:7]
	s_waitcnt lgkmcnt(3)
	v_fma_f64 v[6:7], v[24:25], v[12:13], v[16:17]
	v_fma_f64 v[12:13], v[26:27], v[12:13], v[42:43]
	ds_read2_b64 v[24:27], v19 offset0:192 offset1:208
	s_waitcnt lgkmcnt(2)
	v_fma_f64 v[40:41], v[32:33], v[4:5], v[40:41]
	v_fma_f64 v[2:3], v[34:35], v[4:5], v[2:3]
	;; [unrolled: 1-line block ×4, first 2 shown]
	ds_read2_b64 v[14:17], v19 offset0:224 offset1:240
	s_waitcnt lgkmcnt(0)
	s_barrier
	buffer_gl0_inv
	v_fma_f64 v[12:13], v[24:25], v[28:29], v[40:41]
	v_fma_f64 v[2:3], v[26:27], v[28:29], v[2:3]
	;; [unrolled: 1-line block ×8, first 2 shown]
	s_cbranch_scc0 .LBB351_10
.LBB351_6:                              ; =>This Inner Loop Header: Depth=1
	v_add_nc_u32_e32 v14, s9, v20
	v_cmp_gt_i32_e64 s1, s3, v14
	v_mov_b32_e32 v14, 0
	v_mov_b32_e32 v15, 0
	s_and_b32 s12, vcc_lo, s1
	s_and_saveexec_b32 s1, s12
	s_cbranch_execz .LBB351_8
; %bb.7:                                ;   in Loop: Header=BB351_6 Depth=1
	flat_load_dwordx2 v[14:15], v[8:9]
.LBB351_8:                              ;   in Loop: Header=BB351_6 Depth=1
	s_or_b32 exec_lo, exec_lo, s1
	v_add_nc_u32_e32 v16, s9, v18
	s_waitcnt vmcnt(0) lgkmcnt(0)
	ds_write_b64 v21, v[14:15]
	v_cmp_gt_i32_e64 s1, s3, v16
	v_mov_b32_e32 v16, 0
	v_mov_b32_e32 v17, 0
	s_and_b32 s12, s1, s0
	s_and_saveexec_b32 s1, s12
	s_cbranch_execz .LBB351_5
; %bb.9:                                ;   in Loop: Header=BB351_6 Depth=1
	flat_load_dwordx2 v[16:17], v[10:11]
	s_branch .LBB351_5
.LBB351_10:
	s_clause 0x1
	s_load_dword s3, s[4:5], 0x50
	s_load_dwordx2 s[4:5], s[4:5], 0x58
	v_cmp_neq_f64_e64 s6, s[14:15], 0
	v_add_nc_u32_e32 v15, s26, v1
	v_add_nc_u32_e32 v0, s8, v0
	v_cmp_le_i32_e32 vcc_lo, v15, v0
	v_cmp_gt_i32_e64 s0, s2, v0
	v_ashrrev_i32_e32 v1, 31, v0
	s_waitcnt lgkmcnt(0)
	v_mad_i64_i32 v[8:9], null, v15, s3, 0
	s_lshl_b64 s[4:5], s[4:5], 3
	s_add_u32 s4, s10, s4
	s_addc_u32 s5, s11, s5
	v_cndmask_b32_e64 v14, 0, 1, s6
	s_and_b32 s7, vcc_lo, s0
	v_lshlrev_b64 v[8:9], 3, v[8:9]
	v_add_co_u32 v16, s1, s4, v8
	v_add_co_ci_u32_e64 v17, null, s5, v9, s1
	s_and_saveexec_b32 s1, s7
	s_cbranch_execz .LBB351_14
; %bb.11:
	v_mul_f64 v[8:9], s[16:17], v[12:13]
	v_lshlrev_b64 v[10:11], 3, v[0:1]
	v_add_co_u32 v10, vcc_lo, v16, v10
	v_add_co_ci_u32_e64 v11, null, v17, v11, vcc_lo
	s_andn2_b32 vcc_lo, exec_lo, s6
	s_cbranch_vccnz .LBB351_13
; %bb.12:
	flat_load_dwordx2 v[12:13], v[10:11]
	s_waitcnt vmcnt(0) lgkmcnt(0)
	v_fma_f64 v[8:9], s[14:15], v[12:13], v[8:9]
.LBB351_13:
	flat_store_dwordx2 v[10:11], v[8:9]
.LBB351_14:
	s_or_b32 exec_lo, exec_lo, s1
	v_add_nc_u32_e32 v8, 16, v0
	v_cmp_le_i32_e32 vcc_lo, v15, v8
	v_cmp_gt_i32_e64 s1, s2, v8
	v_ashrrev_i32_e32 v9, 31, v8
	s_and_b32 s2, vcc_lo, s1
	s_and_saveexec_b32 s6, s2
	s_cbranch_execz .LBB351_18
; %bb.15:
	v_mul_f64 v[6:7], s[16:17], v[6:7]
	v_lshlrev_b64 v[10:11], 3, v[8:9]
	v_cmp_ne_u32_e32 vcc_lo, 1, v14
	v_add_co_u32 v10, s2, v16, v10
	v_add_co_ci_u32_e64 v11, null, v17, v11, s2
	s_cbranch_vccnz .LBB351_17
; %bb.16:
	flat_load_dwordx2 v[12:13], v[10:11]
	s_waitcnt vmcnt(0) lgkmcnt(0)
	v_fma_f64 v[6:7], s[14:15], v[12:13], v[6:7]
.LBB351_17:
	flat_store_dwordx2 v[10:11], v[6:7]
.LBB351_18:
	s_or_b32 exec_lo, exec_lo, s6
	v_add_nc_u32_e32 v10, 16, v15
	v_mad_i64_i32 v[6:7], null, v10, s3, 0
	v_cmp_le_i32_e32 vcc_lo, v10, v0
	s_and_b32 s0, vcc_lo, s0
	v_lshlrev_b64 v[6:7], 3, v[6:7]
	v_add_co_u32 v6, s2, s4, v6
	v_add_co_ci_u32_e64 v7, null, s5, v7, s2
	s_and_saveexec_b32 s2, s0
	s_cbranch_execz .LBB351_22
; %bb.19:
	v_mul_f64 v[4:5], s[16:17], v[4:5]
	v_lshlrev_b64 v[0:1], 3, v[0:1]
	v_cmp_ne_u32_e32 vcc_lo, 1, v14
	v_add_co_u32 v0, s0, v6, v0
	v_add_co_ci_u32_e64 v1, null, v7, v1, s0
	s_cbranch_vccnz .LBB351_21
; %bb.20:
	flat_load_dwordx2 v[11:12], v[0:1]
	s_waitcnt vmcnt(0) lgkmcnt(0)
	v_fma_f64 v[4:5], s[14:15], v[11:12], v[4:5]
.LBB351_21:
	flat_store_dwordx2 v[0:1], v[4:5]
.LBB351_22:
	s_or_b32 exec_lo, exec_lo, s2
	v_cmp_le_i32_e32 vcc_lo, v10, v8
	s_and_b32 s0, vcc_lo, s1
	s_and_saveexec_b32 s1, s0
	s_cbranch_execz .LBB351_26
; %bb.23:
	v_mul_f64 v[0:1], s[16:17], v[2:3]
	v_lshlrev_b64 v[2:3], 3, v[8:9]
	v_cmp_ne_u32_e32 vcc_lo, 1, v14
	v_add_co_u32 v2, s0, v6, v2
	v_add_co_ci_u32_e64 v3, null, v7, v3, s0
	s_cbranch_vccnz .LBB351_25
; %bb.24:
	flat_load_dwordx2 v[4:5], v[2:3]
	s_waitcnt vmcnt(0) lgkmcnt(0)
	v_fma_f64 v[0:1], s[14:15], v[4:5], v[0:1]
.LBB351_25:
	flat_store_dwordx2 v[2:3], v[0:1]
.LBB351_26:
	s_endpgm
	.section	.rodata,"a",@progbits
	.p2align	6, 0x0
	.amdhsa_kernel _ZL29rocblas_internal_gemmt_kernelIiLi16ELi32ELi8ELc78ELc78ELc76ELb0ELb0EddPKPKdPKPdEviT_T9_T10_S7_lS9_S7_lS8_T11_S7_li
		.amdhsa_group_segment_fixed_size 4096
		.amdhsa_private_segment_fixed_size 0
		.amdhsa_kernarg_size 100
		.amdhsa_user_sgpr_count 6
		.amdhsa_user_sgpr_private_segment_buffer 1
		.amdhsa_user_sgpr_dispatch_ptr 0
		.amdhsa_user_sgpr_queue_ptr 0
		.amdhsa_user_sgpr_kernarg_segment_ptr 1
		.amdhsa_user_sgpr_dispatch_id 0
		.amdhsa_user_sgpr_flat_scratch_init 0
		.amdhsa_user_sgpr_private_segment_size 0
		.amdhsa_wavefront_size32 1
		.amdhsa_uses_dynamic_stack 0
		.amdhsa_system_sgpr_private_segment_wavefront_offset 0
		.amdhsa_system_sgpr_workgroup_id_x 1
		.amdhsa_system_sgpr_workgroup_id_y 1
		.amdhsa_system_sgpr_workgroup_id_z 1
		.amdhsa_system_sgpr_workgroup_info 0
		.amdhsa_system_vgpr_workitem_id 1
		.amdhsa_next_free_vgpr 44
		.amdhsa_next_free_sgpr 27
		.amdhsa_reserve_vcc 1
		.amdhsa_reserve_flat_scratch 0
		.amdhsa_float_round_mode_32 0
		.amdhsa_float_round_mode_16_64 0
		.amdhsa_float_denorm_mode_32 3
		.amdhsa_float_denorm_mode_16_64 3
		.amdhsa_dx10_clamp 1
		.amdhsa_ieee_mode 1
		.amdhsa_fp16_overflow 0
		.amdhsa_workgroup_processor_mode 1
		.amdhsa_memory_ordered 1
		.amdhsa_forward_progress 1
		.amdhsa_shared_vgpr_count 0
		.amdhsa_exception_fp_ieee_invalid_op 0
		.amdhsa_exception_fp_denorm_src 0
		.amdhsa_exception_fp_ieee_div_zero 0
		.amdhsa_exception_fp_ieee_overflow 0
		.amdhsa_exception_fp_ieee_underflow 0
		.amdhsa_exception_fp_ieee_inexact 0
		.amdhsa_exception_int_div_zero 0
	.end_amdhsa_kernel
	.section	.text._ZL29rocblas_internal_gemmt_kernelIiLi16ELi32ELi8ELc78ELc78ELc76ELb0ELb0EddPKPKdPKPdEviT_T9_T10_S7_lS9_S7_lS8_T11_S7_li,"axG",@progbits,_ZL29rocblas_internal_gemmt_kernelIiLi16ELi32ELi8ELc78ELc78ELc76ELb0ELb0EddPKPKdPKPdEviT_T9_T10_S7_lS9_S7_lS8_T11_S7_li,comdat
.Lfunc_end351:
	.size	_ZL29rocblas_internal_gemmt_kernelIiLi16ELi32ELi8ELc78ELc78ELc76ELb0ELb0EddPKPKdPKPdEviT_T9_T10_S7_lS9_S7_lS8_T11_S7_li, .Lfunc_end351-_ZL29rocblas_internal_gemmt_kernelIiLi16ELi32ELi8ELc78ELc78ELc76ELb0ELb0EddPKPKdPKPdEviT_T9_T10_S7_lS9_S7_lS8_T11_S7_li
                                        ; -- End function
	.set _ZL29rocblas_internal_gemmt_kernelIiLi16ELi32ELi8ELc78ELc78ELc76ELb0ELb0EddPKPKdPKPdEviT_T9_T10_S7_lS9_S7_lS8_T11_S7_li.num_vgpr, 44
	.set _ZL29rocblas_internal_gemmt_kernelIiLi16ELi32ELi8ELc78ELc78ELc76ELb0ELb0EddPKPKdPKPdEviT_T9_T10_S7_lS9_S7_lS8_T11_S7_li.num_agpr, 0
	.set _ZL29rocblas_internal_gemmt_kernelIiLi16ELi32ELi8ELc78ELc78ELc76ELb0ELb0EddPKPKdPKPdEviT_T9_T10_S7_lS9_S7_lS8_T11_S7_li.numbered_sgpr, 27
	.set _ZL29rocblas_internal_gemmt_kernelIiLi16ELi32ELi8ELc78ELc78ELc76ELb0ELb0EddPKPKdPKPdEviT_T9_T10_S7_lS9_S7_lS8_T11_S7_li.num_named_barrier, 0
	.set _ZL29rocblas_internal_gemmt_kernelIiLi16ELi32ELi8ELc78ELc78ELc76ELb0ELb0EddPKPKdPKPdEviT_T9_T10_S7_lS9_S7_lS8_T11_S7_li.private_seg_size, 0
	.set _ZL29rocblas_internal_gemmt_kernelIiLi16ELi32ELi8ELc78ELc78ELc76ELb0ELb0EddPKPKdPKPdEviT_T9_T10_S7_lS9_S7_lS8_T11_S7_li.uses_vcc, 1
	.set _ZL29rocblas_internal_gemmt_kernelIiLi16ELi32ELi8ELc78ELc78ELc76ELb0ELb0EddPKPKdPKPdEviT_T9_T10_S7_lS9_S7_lS8_T11_S7_li.uses_flat_scratch, 0
	.set _ZL29rocblas_internal_gemmt_kernelIiLi16ELi32ELi8ELc78ELc78ELc76ELb0ELb0EddPKPKdPKPdEviT_T9_T10_S7_lS9_S7_lS8_T11_S7_li.has_dyn_sized_stack, 0
	.set _ZL29rocblas_internal_gemmt_kernelIiLi16ELi32ELi8ELc78ELc78ELc76ELb0ELb0EddPKPKdPKPdEviT_T9_T10_S7_lS9_S7_lS8_T11_S7_li.has_recursion, 0
	.set _ZL29rocblas_internal_gemmt_kernelIiLi16ELi32ELi8ELc78ELc78ELc76ELb0ELb0EddPKPKdPKPdEviT_T9_T10_S7_lS9_S7_lS8_T11_S7_li.has_indirect_call, 0
	.section	.AMDGPU.csdata,"",@progbits
; Kernel info:
; codeLenInByte = 1652
; TotalNumSgprs: 29
; NumVgprs: 44
; ScratchSize: 0
; MemoryBound: 0
; FloatMode: 240
; IeeeMode: 1
; LDSByteSize: 4096 bytes/workgroup (compile time only)
; SGPRBlocks: 0
; VGPRBlocks: 5
; NumSGPRsForWavesPerEU: 29
; NumVGPRsForWavesPerEU: 44
; Occupancy: 16
; WaveLimiterHint : 1
; COMPUTE_PGM_RSRC2:SCRATCH_EN: 0
; COMPUTE_PGM_RSRC2:USER_SGPR: 6
; COMPUTE_PGM_RSRC2:TRAP_HANDLER: 0
; COMPUTE_PGM_RSRC2:TGID_X_EN: 1
; COMPUTE_PGM_RSRC2:TGID_Y_EN: 1
; COMPUTE_PGM_RSRC2:TGID_Z_EN: 1
; COMPUTE_PGM_RSRC2:TIDIG_COMP_CNT: 1
	.section	.text._ZL29rocblas_internal_gemmt_kernelIiLi16ELi32ELi8ELc78ELc84ELc76ELb0ELb0EddPKPKdPKPdEviT_T9_T10_S7_lS9_S7_lS8_T11_S7_li,"axG",@progbits,_ZL29rocblas_internal_gemmt_kernelIiLi16ELi32ELi8ELc78ELc84ELc76ELb0ELb0EddPKPKdPKPdEviT_T9_T10_S7_lS9_S7_lS8_T11_S7_li,comdat
	.globl	_ZL29rocblas_internal_gemmt_kernelIiLi16ELi32ELi8ELc78ELc84ELc76ELb0ELb0EddPKPKdPKPdEviT_T9_T10_S7_lS9_S7_lS8_T11_S7_li ; -- Begin function _ZL29rocblas_internal_gemmt_kernelIiLi16ELi32ELi8ELc78ELc84ELc76ELb0ELb0EddPKPKdPKPdEviT_T9_T10_S7_lS9_S7_lS8_T11_S7_li
	.p2align	8
	.type	_ZL29rocblas_internal_gemmt_kernelIiLi16ELi32ELi8ELc78ELc84ELc76ELb0ELb0EddPKPKdPKPdEviT_T9_T10_S7_lS9_S7_lS8_T11_S7_li,@function
_ZL29rocblas_internal_gemmt_kernelIiLi16ELi32ELi8ELc78ELc84ELc76ELb0ELb0EddPKPKdPKPdEviT_T9_T10_S7_lS9_S7_lS8_T11_S7_li: ; @_ZL29rocblas_internal_gemmt_kernelIiLi16ELi32ELi8ELc78ELc84ELc76ELb0ELb0EddPKPKdPKPdEviT_T9_T10_S7_lS9_S7_lS8_T11_S7_li
; %bb.0:
	s_clause 0x2
	s_load_dwordx4 s[12:15], s[4:5], 0x38
	s_load_dwordx2 s[2:3], s[4:5], 0x0
	s_load_dwordx4 s[16:19], s[4:5], 0x8
	s_waitcnt lgkmcnt(0)
	v_cmp_neq_f64_e64 s0, s[14:15], 1.0
	s_and_b32 vcc_lo, exec_lo, s0
	s_cbranch_vccnz .LBB352_2
; %bb.1:
	v_cmp_neq_f64_e64 s0, s[16:17], 0
	s_cmp_lg_u32 s3, 0
	s_cselect_b32 s1, -1, 0
	s_and_b32 s0, s1, s0
.LBB352_2:
	s_andn2_b32 vcc_lo, exec_lo, s0
	s_cbranch_vccnz .LBB352_26
; %bb.3:
	s_load_dwordx2 s[0:1], s[4:5], 0x48
	s_mov_b32 s9, 0
	v_cmp_eq_f64_e64 s20, s[16:17], 0
	s_lshl_b64 s[26:27], s[8:9], 3
	v_mov_b32_e32 v12, 0
	v_mov_b32_e32 v6, 0
	;; [unrolled: 1-line block ×8, first 2 shown]
	s_waitcnt lgkmcnt(0)
	s_add_u32 s0, s0, s26
	s_addc_u32 s1, s1, s27
	s_lshl_b32 s8, s6, 5
	s_load_dwordx2 s[10:11], s[0:1], 0x0
	s_lshl_b32 s28, s7, 5
	s_cmp_lt_i32 s3, 1
	s_cselect_b32 s0, -1, 0
	s_or_b32 s0, s20, s0
	s_and_b32 vcc_lo, exec_lo, s0
	s_cbranch_vccnz .LBB352_10
; %bb.4:
	s_clause 0x2
	s_load_dword s6, s[4:5], 0x18
	s_load_dword s24, s[4:5], 0x30
	s_load_dwordx4 s[20:23], s[4:5], 0x20
	v_lshl_add_u32 v2, v1, 4, v0
	v_and_b32_e32 v18, 7, v0
	v_mov_b32_e32 v12, 0
	v_lshlrev_b32_e32 v22, 3, v0
	v_lshl_add_u32 v23, v1, 6, 0x800
	v_and_b32_e32 v3, 31, v2
	v_lshrrev_b32_e32 v4, 3, v2
	v_lshlrev_b32_e32 v5, 3, v18
	v_lshrrev_b32_e32 v19, 5, v2
	v_mov_b32_e32 v13, 0
	v_or_b32_e32 v6, s8, v3
	v_lshlrev_b32_e32 v7, 3, v3
	v_lshl_or_b32 v8, v4, 6, v5
	v_add_nc_u32_e32 v2, s28, v4
	v_add_nc_u32_e32 v4, s8, v3
	v_cmp_gt_i32_e32 vcc_lo, s2, v6
	v_lshl_or_b32 v20, v19, 8, v7
	s_waitcnt lgkmcnt(0)
	s_ashr_i32 s7, s6, 31
	s_ashr_i32 s25, s24, 31
	v_mad_i64_i32 v[5:6], null, v19, s6, 0
	s_add_u32 s22, s22, s26
	s_addc_u32 s23, s23, s27
	s_add_u32 s18, s18, s26
	s_addc_u32 s19, s19, s27
	s_load_dwordx2 s[22:23], s[22:23], 0x0
	s_load_dwordx2 s[18:19], s[18:19], 0x0
	v_add_nc_u32_e32 v21, 0x800, v8
	v_lshlrev_b64 v[6:7], 3, v[5:6]
	v_mad_i64_i32 v[8:9], null, s24, v18, 0
	v_ashrrev_i32_e32 v5, 31, v4
	s_lshl_b64 s[20:21], s[20:21], 3
	v_ashrrev_i32_e32 v3, 31, v2
	v_add_co_u32 v10, s1, v6, s20
	v_lshlrev_b64 v[4:5], 3, v[4:5]
	v_add_co_ci_u32_e64 v11, null, s21, v7, s1
	v_lshlrev_b64 v[6:7], 3, v[8:9]
	s_lshl_b64 s[12:13], s[12:13], 3
	v_cmp_gt_i32_e64 s0, s2, v2
	v_add_co_u32 v4, s1, v10, v4
	v_lshlrev_b64 v[2:3], 3, v[2:3]
	v_add_co_ci_u32_e64 v5, null, v11, v5, s1
	v_add_co_u32 v6, s1, v6, s12
	v_add_co_ci_u32_e64 v7, null, s13, v7, s1
	s_waitcnt lgkmcnt(0)
	v_add_co_u32 v8, s1, s18, v4
	v_add_co_ci_u32_e64 v9, null, s19, v5, s1
	v_add_co_u32 v10, s1, v6, v2
	v_add_co_ci_u32_e64 v11, null, v7, v3, s1
	v_mov_b32_e32 v2, 0
	v_add_co_u32 v10, s1, s22, v10
	v_mov_b32_e32 v4, 0
	v_mov_b32_e32 v6, 0
	;; [unrolled: 1-line block ×5, first 2 shown]
	v_add_co_ci_u32_e64 v11, null, s23, v11, s1
	s_lshl_b64 s[6:7], s[6:7], 6
	s_lshl_b64 s[12:13], s[24:25], 6
	s_branch .LBB352_6
.LBB352_5:                              ;   in Loop: Header=BB352_6 Depth=1
	s_or_b32 exec_lo, exec_lo, s1
	s_waitcnt vmcnt(0) lgkmcnt(0)
	ds_write_b64 v21, v[16:17]
	s_waitcnt lgkmcnt(0)
	s_barrier
	buffer_gl0_inv
	ds_read_b128 v[14:17], v23
	ds_read2_b64 v[24:27], v22 offset1:16
	ds_read_b128 v[28:31], v23 offset:1024
	ds_read_b128 v[32:35], v23 offset:16
	ds_read2_b64 v[36:39], v22 offset0:32 offset1:48
	ds_read_b128 v[40:43], v23 offset:1040
	v_add_co_u32 v8, s1, v8, s6
	v_add_co_ci_u32_e64 v9, null, s7, v9, s1
	v_add_co_u32 v10, s1, v10, s12
	v_add_co_ci_u32_e64 v11, null, s13, v11, s1
	s_add_i32 s9, s9, 8
	s_cmp_lt_i32 s9, s3
	s_waitcnt lgkmcnt(4)
	v_fma_f64 v[12:13], v[24:25], v[14:15], v[12:13]
	v_fma_f64 v[6:7], v[26:27], v[14:15], v[6:7]
	s_waitcnt lgkmcnt(3)
	v_fma_f64 v[14:15], v[24:25], v[28:29], v[4:5]
	v_fma_f64 v[24:25], v[26:27], v[28:29], v[2:3]
	ds_read2_b64 v[2:5], v22 offset0:64 offset1:80
	s_waitcnt lgkmcnt(2)
	v_fma_f64 v[26:27], v[36:37], v[16:17], v[12:13]
	v_fma_f64 v[6:7], v[38:39], v[16:17], v[6:7]
	;; [unrolled: 1-line block ×4, first 2 shown]
	ds_read2_b64 v[12:15], v22 offset0:96 offset1:112
	s_waitcnt lgkmcnt(1)
	v_fma_f64 v[28:29], v[2:3], v[32:33], v[26:27]
	v_fma_f64 v[6:7], v[4:5], v[32:33], v[6:7]
	v_fma_f64 v[16:17], v[2:3], v[40:41], v[16:17]
	v_fma_f64 v[30:31], v[4:5], v[40:41], v[24:25]
	ds_read_b128 v[2:5], v23 offset:32
	ds_read2_b64 v[24:27], v22 offset0:128 offset1:144
	s_waitcnt lgkmcnt(2)
	v_fma_f64 v[40:41], v[12:13], v[34:35], v[28:29]
	v_fma_f64 v[6:7], v[14:15], v[34:35], v[6:7]
	;; [unrolled: 1-line block ×4, first 2 shown]
	ds_read_b128 v[12:15], v23 offset:1056
	ds_read_b128 v[28:31], v23 offset:48
	ds_read2_b64 v[32:35], v22 offset0:160 offset1:176
	ds_read_b128 v[36:39], v23 offset:1072
	s_waitcnt lgkmcnt(4)
	v_fma_f64 v[40:41], v[24:25], v[2:3], v[40:41]
	v_fma_f64 v[2:3], v[26:27], v[2:3], v[6:7]
	s_waitcnt lgkmcnt(3)
	v_fma_f64 v[6:7], v[24:25], v[12:13], v[16:17]
	v_fma_f64 v[12:13], v[26:27], v[12:13], v[42:43]
	ds_read2_b64 v[24:27], v22 offset0:192 offset1:208
	s_waitcnt lgkmcnt(2)
	v_fma_f64 v[40:41], v[32:33], v[4:5], v[40:41]
	v_fma_f64 v[2:3], v[34:35], v[4:5], v[2:3]
	v_fma_f64 v[4:5], v[32:33], v[14:15], v[6:7]
	v_fma_f64 v[6:7], v[34:35], v[14:15], v[12:13]
	ds_read2_b64 v[14:17], v22 offset0:224 offset1:240
	s_waitcnt lgkmcnt(0)
	s_barrier
	buffer_gl0_inv
	v_fma_f64 v[12:13], v[24:25], v[28:29], v[40:41]
	v_fma_f64 v[2:3], v[26:27], v[28:29], v[2:3]
	;; [unrolled: 1-line block ×8, first 2 shown]
	s_cbranch_scc0 .LBB352_10
.LBB352_6:                              ; =>This Inner Loop Header: Depth=1
	v_add_nc_u32_e32 v14, s9, v19
	v_cmp_gt_i32_e64 s1, s3, v14
	v_mov_b32_e32 v14, 0
	v_mov_b32_e32 v15, 0
	s_and_b32 s18, vcc_lo, s1
	s_and_saveexec_b32 s1, s18
	s_cbranch_execz .LBB352_8
; %bb.7:                                ;   in Loop: Header=BB352_6 Depth=1
	flat_load_dwordx2 v[14:15], v[8:9]
.LBB352_8:                              ;   in Loop: Header=BB352_6 Depth=1
	s_or_b32 exec_lo, exec_lo, s1
	v_add_nc_u32_e32 v16, s9, v18
	s_waitcnt vmcnt(0) lgkmcnt(0)
	ds_write_b64 v20, v[14:15]
	v_cmp_gt_i32_e64 s1, s3, v16
	v_mov_b32_e32 v16, 0
	v_mov_b32_e32 v17, 0
	s_and_b32 s18, s1, s0
	s_and_saveexec_b32 s1, s18
	s_cbranch_execz .LBB352_5
; %bb.9:                                ;   in Loop: Header=BB352_6 Depth=1
	flat_load_dwordx2 v[16:17], v[10:11]
	s_branch .LBB352_5
.LBB352_10:
	s_clause 0x1
	s_load_dword s3, s[4:5], 0x50
	s_load_dwordx2 s[4:5], s[4:5], 0x58
	v_cmp_neq_f64_e64 s6, s[14:15], 0
	v_add_nc_u32_e32 v15, s28, v1
	v_add_nc_u32_e32 v0, s8, v0
	v_cmp_le_i32_e32 vcc_lo, v15, v0
	v_cmp_gt_i32_e64 s0, s2, v0
	v_ashrrev_i32_e32 v1, 31, v0
	s_waitcnt lgkmcnt(0)
	v_mad_i64_i32 v[8:9], null, v15, s3, 0
	s_lshl_b64 s[4:5], s[4:5], 3
	s_add_u32 s4, s10, s4
	s_addc_u32 s5, s11, s5
	v_cndmask_b32_e64 v14, 0, 1, s6
	s_and_b32 s7, vcc_lo, s0
	v_lshlrev_b64 v[8:9], 3, v[8:9]
	v_add_co_u32 v16, s1, s4, v8
	v_add_co_ci_u32_e64 v17, null, s5, v9, s1
	s_and_saveexec_b32 s1, s7
	s_cbranch_execz .LBB352_14
; %bb.11:
	v_mul_f64 v[8:9], s[16:17], v[12:13]
	v_lshlrev_b64 v[10:11], 3, v[0:1]
	v_add_co_u32 v10, vcc_lo, v16, v10
	v_add_co_ci_u32_e64 v11, null, v17, v11, vcc_lo
	s_andn2_b32 vcc_lo, exec_lo, s6
	s_cbranch_vccnz .LBB352_13
; %bb.12:
	flat_load_dwordx2 v[12:13], v[10:11]
	s_waitcnt vmcnt(0) lgkmcnt(0)
	v_fma_f64 v[8:9], s[14:15], v[12:13], v[8:9]
.LBB352_13:
	flat_store_dwordx2 v[10:11], v[8:9]
.LBB352_14:
	s_or_b32 exec_lo, exec_lo, s1
	v_add_nc_u32_e32 v8, 16, v0
	v_cmp_le_i32_e32 vcc_lo, v15, v8
	v_cmp_gt_i32_e64 s1, s2, v8
	v_ashrrev_i32_e32 v9, 31, v8
	s_and_b32 s2, vcc_lo, s1
	s_and_saveexec_b32 s6, s2
	s_cbranch_execz .LBB352_18
; %bb.15:
	v_mul_f64 v[6:7], s[16:17], v[6:7]
	v_lshlrev_b64 v[10:11], 3, v[8:9]
	v_cmp_ne_u32_e32 vcc_lo, 1, v14
	v_add_co_u32 v10, s2, v16, v10
	v_add_co_ci_u32_e64 v11, null, v17, v11, s2
	s_cbranch_vccnz .LBB352_17
; %bb.16:
	flat_load_dwordx2 v[12:13], v[10:11]
	s_waitcnt vmcnt(0) lgkmcnt(0)
	v_fma_f64 v[6:7], s[14:15], v[12:13], v[6:7]
.LBB352_17:
	flat_store_dwordx2 v[10:11], v[6:7]
.LBB352_18:
	s_or_b32 exec_lo, exec_lo, s6
	v_add_nc_u32_e32 v10, 16, v15
	v_mad_i64_i32 v[6:7], null, v10, s3, 0
	v_cmp_le_i32_e32 vcc_lo, v10, v0
	s_and_b32 s0, vcc_lo, s0
	v_lshlrev_b64 v[6:7], 3, v[6:7]
	v_add_co_u32 v6, s2, s4, v6
	v_add_co_ci_u32_e64 v7, null, s5, v7, s2
	s_and_saveexec_b32 s2, s0
	s_cbranch_execz .LBB352_22
; %bb.19:
	v_mul_f64 v[4:5], s[16:17], v[4:5]
	v_lshlrev_b64 v[0:1], 3, v[0:1]
	v_cmp_ne_u32_e32 vcc_lo, 1, v14
	v_add_co_u32 v0, s0, v6, v0
	v_add_co_ci_u32_e64 v1, null, v7, v1, s0
	s_cbranch_vccnz .LBB352_21
; %bb.20:
	flat_load_dwordx2 v[11:12], v[0:1]
	s_waitcnt vmcnt(0) lgkmcnt(0)
	v_fma_f64 v[4:5], s[14:15], v[11:12], v[4:5]
.LBB352_21:
	flat_store_dwordx2 v[0:1], v[4:5]
.LBB352_22:
	s_or_b32 exec_lo, exec_lo, s2
	v_cmp_le_i32_e32 vcc_lo, v10, v8
	s_and_b32 s0, vcc_lo, s1
	s_and_saveexec_b32 s1, s0
	s_cbranch_execz .LBB352_26
; %bb.23:
	v_mul_f64 v[0:1], s[16:17], v[2:3]
	v_lshlrev_b64 v[2:3], 3, v[8:9]
	v_cmp_ne_u32_e32 vcc_lo, 1, v14
	v_add_co_u32 v2, s0, v6, v2
	v_add_co_ci_u32_e64 v3, null, v7, v3, s0
	s_cbranch_vccnz .LBB352_25
; %bb.24:
	flat_load_dwordx2 v[4:5], v[2:3]
	s_waitcnt vmcnt(0) lgkmcnt(0)
	v_fma_f64 v[0:1], s[14:15], v[4:5], v[0:1]
.LBB352_25:
	flat_store_dwordx2 v[2:3], v[0:1]
.LBB352_26:
	s_endpgm
	.section	.rodata,"a",@progbits
	.p2align	6, 0x0
	.amdhsa_kernel _ZL29rocblas_internal_gemmt_kernelIiLi16ELi32ELi8ELc78ELc84ELc76ELb0ELb0EddPKPKdPKPdEviT_T9_T10_S7_lS9_S7_lS8_T11_S7_li
		.amdhsa_group_segment_fixed_size 4096
		.amdhsa_private_segment_fixed_size 0
		.amdhsa_kernarg_size 100
		.amdhsa_user_sgpr_count 6
		.amdhsa_user_sgpr_private_segment_buffer 1
		.amdhsa_user_sgpr_dispatch_ptr 0
		.amdhsa_user_sgpr_queue_ptr 0
		.amdhsa_user_sgpr_kernarg_segment_ptr 1
		.amdhsa_user_sgpr_dispatch_id 0
		.amdhsa_user_sgpr_flat_scratch_init 0
		.amdhsa_user_sgpr_private_segment_size 0
		.amdhsa_wavefront_size32 1
		.amdhsa_uses_dynamic_stack 0
		.amdhsa_system_sgpr_private_segment_wavefront_offset 0
		.amdhsa_system_sgpr_workgroup_id_x 1
		.amdhsa_system_sgpr_workgroup_id_y 1
		.amdhsa_system_sgpr_workgroup_id_z 1
		.amdhsa_system_sgpr_workgroup_info 0
		.amdhsa_system_vgpr_workitem_id 1
		.amdhsa_next_free_vgpr 44
		.amdhsa_next_free_sgpr 29
		.amdhsa_reserve_vcc 1
		.amdhsa_reserve_flat_scratch 0
		.amdhsa_float_round_mode_32 0
		.amdhsa_float_round_mode_16_64 0
		.amdhsa_float_denorm_mode_32 3
		.amdhsa_float_denorm_mode_16_64 3
		.amdhsa_dx10_clamp 1
		.amdhsa_ieee_mode 1
		.amdhsa_fp16_overflow 0
		.amdhsa_workgroup_processor_mode 1
		.amdhsa_memory_ordered 1
		.amdhsa_forward_progress 1
		.amdhsa_shared_vgpr_count 0
		.amdhsa_exception_fp_ieee_invalid_op 0
		.amdhsa_exception_fp_denorm_src 0
		.amdhsa_exception_fp_ieee_div_zero 0
		.amdhsa_exception_fp_ieee_overflow 0
		.amdhsa_exception_fp_ieee_underflow 0
		.amdhsa_exception_fp_ieee_inexact 0
		.amdhsa_exception_int_div_zero 0
	.end_amdhsa_kernel
	.section	.text._ZL29rocblas_internal_gemmt_kernelIiLi16ELi32ELi8ELc78ELc84ELc76ELb0ELb0EddPKPKdPKPdEviT_T9_T10_S7_lS9_S7_lS8_T11_S7_li,"axG",@progbits,_ZL29rocblas_internal_gemmt_kernelIiLi16ELi32ELi8ELc78ELc84ELc76ELb0ELb0EddPKPKdPKPdEviT_T9_T10_S7_lS9_S7_lS8_T11_S7_li,comdat
.Lfunc_end352:
	.size	_ZL29rocblas_internal_gemmt_kernelIiLi16ELi32ELi8ELc78ELc84ELc76ELb0ELb0EddPKPKdPKPdEviT_T9_T10_S7_lS9_S7_lS8_T11_S7_li, .Lfunc_end352-_ZL29rocblas_internal_gemmt_kernelIiLi16ELi32ELi8ELc78ELc84ELc76ELb0ELb0EddPKPKdPKPdEviT_T9_T10_S7_lS9_S7_lS8_T11_S7_li
                                        ; -- End function
	.set _ZL29rocblas_internal_gemmt_kernelIiLi16ELi32ELi8ELc78ELc84ELc76ELb0ELb0EddPKPKdPKPdEviT_T9_T10_S7_lS9_S7_lS8_T11_S7_li.num_vgpr, 44
	.set _ZL29rocblas_internal_gemmt_kernelIiLi16ELi32ELi8ELc78ELc84ELc76ELb0ELb0EddPKPKdPKPdEviT_T9_T10_S7_lS9_S7_lS8_T11_S7_li.num_agpr, 0
	.set _ZL29rocblas_internal_gemmt_kernelIiLi16ELi32ELi8ELc78ELc84ELc76ELb0ELb0EddPKPKdPKPdEviT_T9_T10_S7_lS9_S7_lS8_T11_S7_li.numbered_sgpr, 29
	.set _ZL29rocblas_internal_gemmt_kernelIiLi16ELi32ELi8ELc78ELc84ELc76ELb0ELb0EddPKPKdPKPdEviT_T9_T10_S7_lS9_S7_lS8_T11_S7_li.num_named_barrier, 0
	.set _ZL29rocblas_internal_gemmt_kernelIiLi16ELi32ELi8ELc78ELc84ELc76ELb0ELb0EddPKPKdPKPdEviT_T9_T10_S7_lS9_S7_lS8_T11_S7_li.private_seg_size, 0
	.set _ZL29rocblas_internal_gemmt_kernelIiLi16ELi32ELi8ELc78ELc84ELc76ELb0ELb0EddPKPKdPKPdEviT_T9_T10_S7_lS9_S7_lS8_T11_S7_li.uses_vcc, 1
	.set _ZL29rocblas_internal_gemmt_kernelIiLi16ELi32ELi8ELc78ELc84ELc76ELb0ELb0EddPKPKdPKPdEviT_T9_T10_S7_lS9_S7_lS8_T11_S7_li.uses_flat_scratch, 0
	.set _ZL29rocblas_internal_gemmt_kernelIiLi16ELi32ELi8ELc78ELc84ELc76ELb0ELb0EddPKPKdPKPdEviT_T9_T10_S7_lS9_S7_lS8_T11_S7_li.has_dyn_sized_stack, 0
	.set _ZL29rocblas_internal_gemmt_kernelIiLi16ELi32ELi8ELc78ELc84ELc76ELb0ELb0EddPKPKdPKPdEviT_T9_T10_S7_lS9_S7_lS8_T11_S7_li.has_recursion, 0
	.set _ZL29rocblas_internal_gemmt_kernelIiLi16ELi32ELi8ELc78ELc84ELc76ELb0ELb0EddPKPKdPKPdEviT_T9_T10_S7_lS9_S7_lS8_T11_S7_li.has_indirect_call, 0
	.section	.AMDGPU.csdata,"",@progbits
; Kernel info:
; codeLenInByte = 1672
; TotalNumSgprs: 31
; NumVgprs: 44
; ScratchSize: 0
; MemoryBound: 0
; FloatMode: 240
; IeeeMode: 1
; LDSByteSize: 4096 bytes/workgroup (compile time only)
; SGPRBlocks: 0
; VGPRBlocks: 5
; NumSGPRsForWavesPerEU: 31
; NumVGPRsForWavesPerEU: 44
; Occupancy: 16
; WaveLimiterHint : 1
; COMPUTE_PGM_RSRC2:SCRATCH_EN: 0
; COMPUTE_PGM_RSRC2:USER_SGPR: 6
; COMPUTE_PGM_RSRC2:TRAP_HANDLER: 0
; COMPUTE_PGM_RSRC2:TGID_X_EN: 1
; COMPUTE_PGM_RSRC2:TGID_Y_EN: 1
; COMPUTE_PGM_RSRC2:TGID_Z_EN: 1
; COMPUTE_PGM_RSRC2:TIDIG_COMP_CNT: 1
	.section	.text._ZL29rocblas_internal_gemmt_kernelIiLi16ELi32ELi8ELc78ELc67ELc76ELb0ELb0EddPKPKdPKPdEviT_T9_T10_S7_lS9_S7_lS8_T11_S7_li,"axG",@progbits,_ZL29rocblas_internal_gemmt_kernelIiLi16ELi32ELi8ELc78ELc67ELc76ELb0ELb0EddPKPKdPKPdEviT_T9_T10_S7_lS9_S7_lS8_T11_S7_li,comdat
	.globl	_ZL29rocblas_internal_gemmt_kernelIiLi16ELi32ELi8ELc78ELc67ELc76ELb0ELb0EddPKPKdPKPdEviT_T9_T10_S7_lS9_S7_lS8_T11_S7_li ; -- Begin function _ZL29rocblas_internal_gemmt_kernelIiLi16ELi32ELi8ELc78ELc67ELc76ELb0ELb0EddPKPKdPKPdEviT_T9_T10_S7_lS9_S7_lS8_T11_S7_li
	.p2align	8
	.type	_ZL29rocblas_internal_gemmt_kernelIiLi16ELi32ELi8ELc78ELc67ELc76ELb0ELb0EddPKPKdPKPdEviT_T9_T10_S7_lS9_S7_lS8_T11_S7_li,@function
_ZL29rocblas_internal_gemmt_kernelIiLi16ELi32ELi8ELc78ELc67ELc76ELb0ELb0EddPKPKdPKPdEviT_T9_T10_S7_lS9_S7_lS8_T11_S7_li: ; @_ZL29rocblas_internal_gemmt_kernelIiLi16ELi32ELi8ELc78ELc67ELc76ELb0ELb0EddPKPKdPKPdEviT_T9_T10_S7_lS9_S7_lS8_T11_S7_li
; %bb.0:
	s_clause 0x2
	s_load_dwordx4 s[12:15], s[4:5], 0x38
	s_load_dwordx2 s[2:3], s[4:5], 0x0
	s_load_dwordx4 s[16:19], s[4:5], 0x8
	s_waitcnt lgkmcnt(0)
	v_cmp_neq_f64_e64 s0, s[14:15], 1.0
	s_and_b32 vcc_lo, exec_lo, s0
	s_cbranch_vccnz .LBB353_2
; %bb.1:
	v_cmp_neq_f64_e64 s0, s[16:17], 0
	s_cmp_lg_u32 s3, 0
	s_cselect_b32 s1, -1, 0
	s_and_b32 s0, s1, s0
.LBB353_2:
	s_andn2_b32 vcc_lo, exec_lo, s0
	s_cbranch_vccnz .LBB353_26
; %bb.3:
	s_load_dwordx2 s[0:1], s[4:5], 0x48
	s_mov_b32 s9, 0
	v_cmp_eq_f64_e64 s20, s[16:17], 0
	s_lshl_b64 s[26:27], s[8:9], 3
	v_mov_b32_e32 v12, 0
	v_mov_b32_e32 v6, 0
	;; [unrolled: 1-line block ×8, first 2 shown]
	s_waitcnt lgkmcnt(0)
	s_add_u32 s0, s0, s26
	s_addc_u32 s1, s1, s27
	s_lshl_b32 s8, s6, 5
	s_load_dwordx2 s[10:11], s[0:1], 0x0
	s_lshl_b32 s28, s7, 5
	s_cmp_lt_i32 s3, 1
	s_cselect_b32 s0, -1, 0
	s_or_b32 s0, s20, s0
	s_and_b32 vcc_lo, exec_lo, s0
	s_cbranch_vccnz .LBB353_10
; %bb.4:
	s_clause 0x2
	s_load_dword s6, s[4:5], 0x18
	s_load_dword s24, s[4:5], 0x30
	s_load_dwordx4 s[20:23], s[4:5], 0x20
	v_lshl_add_u32 v2, v1, 4, v0
	v_and_b32_e32 v18, 7, v0
	v_mov_b32_e32 v12, 0
	v_lshlrev_b32_e32 v22, 3, v0
	v_lshl_add_u32 v23, v1, 6, 0x800
	v_and_b32_e32 v3, 31, v2
	v_lshrrev_b32_e32 v4, 3, v2
	v_lshlrev_b32_e32 v5, 3, v18
	v_lshrrev_b32_e32 v19, 5, v2
	v_mov_b32_e32 v13, 0
	v_or_b32_e32 v6, s8, v3
	v_lshlrev_b32_e32 v7, 3, v3
	v_lshl_or_b32 v8, v4, 6, v5
	v_add_nc_u32_e32 v2, s28, v4
	v_add_nc_u32_e32 v4, s8, v3
	v_cmp_gt_i32_e32 vcc_lo, s2, v6
	v_lshl_or_b32 v20, v19, 8, v7
	s_waitcnt lgkmcnt(0)
	s_ashr_i32 s7, s6, 31
	s_ashr_i32 s25, s24, 31
	v_mad_i64_i32 v[5:6], null, v19, s6, 0
	s_add_u32 s22, s22, s26
	s_addc_u32 s23, s23, s27
	s_add_u32 s18, s18, s26
	s_addc_u32 s19, s19, s27
	s_load_dwordx2 s[22:23], s[22:23], 0x0
	s_load_dwordx2 s[18:19], s[18:19], 0x0
	v_add_nc_u32_e32 v21, 0x800, v8
	v_lshlrev_b64 v[6:7], 3, v[5:6]
	v_mad_i64_i32 v[8:9], null, s24, v18, 0
	v_ashrrev_i32_e32 v5, 31, v4
	s_lshl_b64 s[20:21], s[20:21], 3
	v_ashrrev_i32_e32 v3, 31, v2
	v_add_co_u32 v10, s1, v6, s20
	v_lshlrev_b64 v[4:5], 3, v[4:5]
	v_add_co_ci_u32_e64 v11, null, s21, v7, s1
	v_lshlrev_b64 v[6:7], 3, v[8:9]
	s_lshl_b64 s[12:13], s[12:13], 3
	v_cmp_gt_i32_e64 s0, s2, v2
	v_add_co_u32 v4, s1, v10, v4
	v_lshlrev_b64 v[2:3], 3, v[2:3]
	v_add_co_ci_u32_e64 v5, null, v11, v5, s1
	v_add_co_u32 v6, s1, v6, s12
	v_add_co_ci_u32_e64 v7, null, s13, v7, s1
	s_waitcnt lgkmcnt(0)
	v_add_co_u32 v8, s1, s18, v4
	v_add_co_ci_u32_e64 v9, null, s19, v5, s1
	v_add_co_u32 v10, s1, v6, v2
	v_add_co_ci_u32_e64 v11, null, v7, v3, s1
	v_mov_b32_e32 v2, 0
	v_add_co_u32 v10, s1, s22, v10
	v_mov_b32_e32 v4, 0
	v_mov_b32_e32 v6, 0
	;; [unrolled: 1-line block ×5, first 2 shown]
	v_add_co_ci_u32_e64 v11, null, s23, v11, s1
	s_lshl_b64 s[6:7], s[6:7], 6
	s_lshl_b64 s[12:13], s[24:25], 6
	s_branch .LBB353_6
.LBB353_5:                              ;   in Loop: Header=BB353_6 Depth=1
	s_or_b32 exec_lo, exec_lo, s1
	s_waitcnt vmcnt(0) lgkmcnt(0)
	ds_write_b64 v21, v[16:17]
	s_waitcnt lgkmcnt(0)
	s_barrier
	buffer_gl0_inv
	ds_read_b128 v[14:17], v23
	ds_read2_b64 v[24:27], v22 offset1:16
	ds_read_b128 v[28:31], v23 offset:1024
	ds_read_b128 v[32:35], v23 offset:16
	ds_read2_b64 v[36:39], v22 offset0:32 offset1:48
	ds_read_b128 v[40:43], v23 offset:1040
	v_add_co_u32 v8, s1, v8, s6
	v_add_co_ci_u32_e64 v9, null, s7, v9, s1
	v_add_co_u32 v10, s1, v10, s12
	v_add_co_ci_u32_e64 v11, null, s13, v11, s1
	s_add_i32 s9, s9, 8
	s_cmp_lt_i32 s9, s3
	s_waitcnt lgkmcnt(4)
	v_fma_f64 v[12:13], v[24:25], v[14:15], v[12:13]
	v_fma_f64 v[6:7], v[26:27], v[14:15], v[6:7]
	s_waitcnt lgkmcnt(3)
	v_fma_f64 v[14:15], v[24:25], v[28:29], v[4:5]
	v_fma_f64 v[24:25], v[26:27], v[28:29], v[2:3]
	ds_read2_b64 v[2:5], v22 offset0:64 offset1:80
	s_waitcnt lgkmcnt(2)
	v_fma_f64 v[26:27], v[36:37], v[16:17], v[12:13]
	v_fma_f64 v[6:7], v[38:39], v[16:17], v[6:7]
	;; [unrolled: 1-line block ×4, first 2 shown]
	ds_read2_b64 v[12:15], v22 offset0:96 offset1:112
	s_waitcnt lgkmcnt(1)
	v_fma_f64 v[28:29], v[2:3], v[32:33], v[26:27]
	v_fma_f64 v[6:7], v[4:5], v[32:33], v[6:7]
	;; [unrolled: 1-line block ×4, first 2 shown]
	ds_read_b128 v[2:5], v23 offset:32
	ds_read2_b64 v[24:27], v22 offset0:128 offset1:144
	s_waitcnt lgkmcnt(2)
	v_fma_f64 v[40:41], v[12:13], v[34:35], v[28:29]
	v_fma_f64 v[6:7], v[14:15], v[34:35], v[6:7]
	;; [unrolled: 1-line block ×4, first 2 shown]
	ds_read_b128 v[12:15], v23 offset:1056
	ds_read_b128 v[28:31], v23 offset:48
	ds_read2_b64 v[32:35], v22 offset0:160 offset1:176
	ds_read_b128 v[36:39], v23 offset:1072
	s_waitcnt lgkmcnt(4)
	v_fma_f64 v[40:41], v[24:25], v[2:3], v[40:41]
	v_fma_f64 v[2:3], v[26:27], v[2:3], v[6:7]
	s_waitcnt lgkmcnt(3)
	v_fma_f64 v[6:7], v[24:25], v[12:13], v[16:17]
	v_fma_f64 v[12:13], v[26:27], v[12:13], v[42:43]
	ds_read2_b64 v[24:27], v22 offset0:192 offset1:208
	s_waitcnt lgkmcnt(2)
	v_fma_f64 v[40:41], v[32:33], v[4:5], v[40:41]
	v_fma_f64 v[2:3], v[34:35], v[4:5], v[2:3]
	;; [unrolled: 1-line block ×4, first 2 shown]
	ds_read2_b64 v[14:17], v22 offset0:224 offset1:240
	s_waitcnt lgkmcnt(0)
	s_barrier
	buffer_gl0_inv
	v_fma_f64 v[12:13], v[24:25], v[28:29], v[40:41]
	v_fma_f64 v[2:3], v[26:27], v[28:29], v[2:3]
	;; [unrolled: 1-line block ×8, first 2 shown]
	s_cbranch_scc0 .LBB353_10
.LBB353_6:                              ; =>This Inner Loop Header: Depth=1
	v_add_nc_u32_e32 v14, s9, v19
	v_cmp_gt_i32_e64 s1, s3, v14
	v_mov_b32_e32 v14, 0
	v_mov_b32_e32 v15, 0
	s_and_b32 s18, vcc_lo, s1
	s_and_saveexec_b32 s1, s18
	s_cbranch_execz .LBB353_8
; %bb.7:                                ;   in Loop: Header=BB353_6 Depth=1
	flat_load_dwordx2 v[14:15], v[8:9]
.LBB353_8:                              ;   in Loop: Header=BB353_6 Depth=1
	s_or_b32 exec_lo, exec_lo, s1
	v_add_nc_u32_e32 v16, s9, v18
	s_waitcnt vmcnt(0) lgkmcnt(0)
	ds_write_b64 v20, v[14:15]
	v_cmp_gt_i32_e64 s1, s3, v16
	v_mov_b32_e32 v16, 0
	v_mov_b32_e32 v17, 0
	s_and_b32 s18, s1, s0
	s_and_saveexec_b32 s1, s18
	s_cbranch_execz .LBB353_5
; %bb.9:                                ;   in Loop: Header=BB353_6 Depth=1
	flat_load_dwordx2 v[16:17], v[10:11]
	s_branch .LBB353_5
.LBB353_10:
	s_clause 0x1
	s_load_dword s3, s[4:5], 0x50
	s_load_dwordx2 s[4:5], s[4:5], 0x58
	v_cmp_neq_f64_e64 s6, s[14:15], 0
	v_add_nc_u32_e32 v15, s28, v1
	v_add_nc_u32_e32 v0, s8, v0
	v_cmp_le_i32_e32 vcc_lo, v15, v0
	v_cmp_gt_i32_e64 s0, s2, v0
	v_ashrrev_i32_e32 v1, 31, v0
	s_waitcnt lgkmcnt(0)
	v_mad_i64_i32 v[8:9], null, v15, s3, 0
	s_lshl_b64 s[4:5], s[4:5], 3
	s_add_u32 s4, s10, s4
	s_addc_u32 s5, s11, s5
	v_cndmask_b32_e64 v14, 0, 1, s6
	s_and_b32 s7, vcc_lo, s0
	v_lshlrev_b64 v[8:9], 3, v[8:9]
	v_add_co_u32 v16, s1, s4, v8
	v_add_co_ci_u32_e64 v17, null, s5, v9, s1
	s_and_saveexec_b32 s1, s7
	s_cbranch_execz .LBB353_14
; %bb.11:
	v_mul_f64 v[8:9], s[16:17], v[12:13]
	v_lshlrev_b64 v[10:11], 3, v[0:1]
	v_add_co_u32 v10, vcc_lo, v16, v10
	v_add_co_ci_u32_e64 v11, null, v17, v11, vcc_lo
	s_andn2_b32 vcc_lo, exec_lo, s6
	s_cbranch_vccnz .LBB353_13
; %bb.12:
	flat_load_dwordx2 v[12:13], v[10:11]
	s_waitcnt vmcnt(0) lgkmcnt(0)
	v_fma_f64 v[8:9], s[14:15], v[12:13], v[8:9]
.LBB353_13:
	flat_store_dwordx2 v[10:11], v[8:9]
.LBB353_14:
	s_or_b32 exec_lo, exec_lo, s1
	v_add_nc_u32_e32 v8, 16, v0
	v_cmp_le_i32_e32 vcc_lo, v15, v8
	v_cmp_gt_i32_e64 s1, s2, v8
	v_ashrrev_i32_e32 v9, 31, v8
	s_and_b32 s2, vcc_lo, s1
	s_and_saveexec_b32 s6, s2
	s_cbranch_execz .LBB353_18
; %bb.15:
	v_mul_f64 v[6:7], s[16:17], v[6:7]
	v_lshlrev_b64 v[10:11], 3, v[8:9]
	v_cmp_ne_u32_e32 vcc_lo, 1, v14
	v_add_co_u32 v10, s2, v16, v10
	v_add_co_ci_u32_e64 v11, null, v17, v11, s2
	s_cbranch_vccnz .LBB353_17
; %bb.16:
	flat_load_dwordx2 v[12:13], v[10:11]
	s_waitcnt vmcnt(0) lgkmcnt(0)
	v_fma_f64 v[6:7], s[14:15], v[12:13], v[6:7]
.LBB353_17:
	flat_store_dwordx2 v[10:11], v[6:7]
.LBB353_18:
	s_or_b32 exec_lo, exec_lo, s6
	v_add_nc_u32_e32 v10, 16, v15
	v_mad_i64_i32 v[6:7], null, v10, s3, 0
	v_cmp_le_i32_e32 vcc_lo, v10, v0
	s_and_b32 s0, vcc_lo, s0
	v_lshlrev_b64 v[6:7], 3, v[6:7]
	v_add_co_u32 v6, s2, s4, v6
	v_add_co_ci_u32_e64 v7, null, s5, v7, s2
	s_and_saveexec_b32 s2, s0
	s_cbranch_execz .LBB353_22
; %bb.19:
	v_mul_f64 v[4:5], s[16:17], v[4:5]
	v_lshlrev_b64 v[0:1], 3, v[0:1]
	v_cmp_ne_u32_e32 vcc_lo, 1, v14
	v_add_co_u32 v0, s0, v6, v0
	v_add_co_ci_u32_e64 v1, null, v7, v1, s0
	s_cbranch_vccnz .LBB353_21
; %bb.20:
	flat_load_dwordx2 v[11:12], v[0:1]
	s_waitcnt vmcnt(0) lgkmcnt(0)
	v_fma_f64 v[4:5], s[14:15], v[11:12], v[4:5]
.LBB353_21:
	flat_store_dwordx2 v[0:1], v[4:5]
.LBB353_22:
	s_or_b32 exec_lo, exec_lo, s2
	v_cmp_le_i32_e32 vcc_lo, v10, v8
	s_and_b32 s0, vcc_lo, s1
	s_and_saveexec_b32 s1, s0
	s_cbranch_execz .LBB353_26
; %bb.23:
	v_mul_f64 v[0:1], s[16:17], v[2:3]
	v_lshlrev_b64 v[2:3], 3, v[8:9]
	v_cmp_ne_u32_e32 vcc_lo, 1, v14
	v_add_co_u32 v2, s0, v6, v2
	v_add_co_ci_u32_e64 v3, null, v7, v3, s0
	s_cbranch_vccnz .LBB353_25
; %bb.24:
	flat_load_dwordx2 v[4:5], v[2:3]
	s_waitcnt vmcnt(0) lgkmcnt(0)
	v_fma_f64 v[0:1], s[14:15], v[4:5], v[0:1]
.LBB353_25:
	flat_store_dwordx2 v[2:3], v[0:1]
.LBB353_26:
	s_endpgm
	.section	.rodata,"a",@progbits
	.p2align	6, 0x0
	.amdhsa_kernel _ZL29rocblas_internal_gemmt_kernelIiLi16ELi32ELi8ELc78ELc67ELc76ELb0ELb0EddPKPKdPKPdEviT_T9_T10_S7_lS9_S7_lS8_T11_S7_li
		.amdhsa_group_segment_fixed_size 4096
		.amdhsa_private_segment_fixed_size 0
		.amdhsa_kernarg_size 100
		.amdhsa_user_sgpr_count 6
		.amdhsa_user_sgpr_private_segment_buffer 1
		.amdhsa_user_sgpr_dispatch_ptr 0
		.amdhsa_user_sgpr_queue_ptr 0
		.amdhsa_user_sgpr_kernarg_segment_ptr 1
		.amdhsa_user_sgpr_dispatch_id 0
		.amdhsa_user_sgpr_flat_scratch_init 0
		.amdhsa_user_sgpr_private_segment_size 0
		.amdhsa_wavefront_size32 1
		.amdhsa_uses_dynamic_stack 0
		.amdhsa_system_sgpr_private_segment_wavefront_offset 0
		.amdhsa_system_sgpr_workgroup_id_x 1
		.amdhsa_system_sgpr_workgroup_id_y 1
		.amdhsa_system_sgpr_workgroup_id_z 1
		.amdhsa_system_sgpr_workgroup_info 0
		.amdhsa_system_vgpr_workitem_id 1
		.amdhsa_next_free_vgpr 44
		.amdhsa_next_free_sgpr 29
		.amdhsa_reserve_vcc 1
		.amdhsa_reserve_flat_scratch 0
		.amdhsa_float_round_mode_32 0
		.amdhsa_float_round_mode_16_64 0
		.amdhsa_float_denorm_mode_32 3
		.amdhsa_float_denorm_mode_16_64 3
		.amdhsa_dx10_clamp 1
		.amdhsa_ieee_mode 1
		.amdhsa_fp16_overflow 0
		.amdhsa_workgroup_processor_mode 1
		.amdhsa_memory_ordered 1
		.amdhsa_forward_progress 1
		.amdhsa_shared_vgpr_count 0
		.amdhsa_exception_fp_ieee_invalid_op 0
		.amdhsa_exception_fp_denorm_src 0
		.amdhsa_exception_fp_ieee_div_zero 0
		.amdhsa_exception_fp_ieee_overflow 0
		.amdhsa_exception_fp_ieee_underflow 0
		.amdhsa_exception_fp_ieee_inexact 0
		.amdhsa_exception_int_div_zero 0
	.end_amdhsa_kernel
	.section	.text._ZL29rocblas_internal_gemmt_kernelIiLi16ELi32ELi8ELc78ELc67ELc76ELb0ELb0EddPKPKdPKPdEviT_T9_T10_S7_lS9_S7_lS8_T11_S7_li,"axG",@progbits,_ZL29rocblas_internal_gemmt_kernelIiLi16ELi32ELi8ELc78ELc67ELc76ELb0ELb0EddPKPKdPKPdEviT_T9_T10_S7_lS9_S7_lS8_T11_S7_li,comdat
.Lfunc_end353:
	.size	_ZL29rocblas_internal_gemmt_kernelIiLi16ELi32ELi8ELc78ELc67ELc76ELb0ELb0EddPKPKdPKPdEviT_T9_T10_S7_lS9_S7_lS8_T11_S7_li, .Lfunc_end353-_ZL29rocblas_internal_gemmt_kernelIiLi16ELi32ELi8ELc78ELc67ELc76ELb0ELb0EddPKPKdPKPdEviT_T9_T10_S7_lS9_S7_lS8_T11_S7_li
                                        ; -- End function
	.set _ZL29rocblas_internal_gemmt_kernelIiLi16ELi32ELi8ELc78ELc67ELc76ELb0ELb0EddPKPKdPKPdEviT_T9_T10_S7_lS9_S7_lS8_T11_S7_li.num_vgpr, 44
	.set _ZL29rocblas_internal_gemmt_kernelIiLi16ELi32ELi8ELc78ELc67ELc76ELb0ELb0EddPKPKdPKPdEviT_T9_T10_S7_lS9_S7_lS8_T11_S7_li.num_agpr, 0
	.set _ZL29rocblas_internal_gemmt_kernelIiLi16ELi32ELi8ELc78ELc67ELc76ELb0ELb0EddPKPKdPKPdEviT_T9_T10_S7_lS9_S7_lS8_T11_S7_li.numbered_sgpr, 29
	.set _ZL29rocblas_internal_gemmt_kernelIiLi16ELi32ELi8ELc78ELc67ELc76ELb0ELb0EddPKPKdPKPdEviT_T9_T10_S7_lS9_S7_lS8_T11_S7_li.num_named_barrier, 0
	.set _ZL29rocblas_internal_gemmt_kernelIiLi16ELi32ELi8ELc78ELc67ELc76ELb0ELb0EddPKPKdPKPdEviT_T9_T10_S7_lS9_S7_lS8_T11_S7_li.private_seg_size, 0
	.set _ZL29rocblas_internal_gemmt_kernelIiLi16ELi32ELi8ELc78ELc67ELc76ELb0ELb0EddPKPKdPKPdEviT_T9_T10_S7_lS9_S7_lS8_T11_S7_li.uses_vcc, 1
	.set _ZL29rocblas_internal_gemmt_kernelIiLi16ELi32ELi8ELc78ELc67ELc76ELb0ELb0EddPKPKdPKPdEviT_T9_T10_S7_lS9_S7_lS8_T11_S7_li.uses_flat_scratch, 0
	.set _ZL29rocblas_internal_gemmt_kernelIiLi16ELi32ELi8ELc78ELc67ELc76ELb0ELb0EddPKPKdPKPdEviT_T9_T10_S7_lS9_S7_lS8_T11_S7_li.has_dyn_sized_stack, 0
	.set _ZL29rocblas_internal_gemmt_kernelIiLi16ELi32ELi8ELc78ELc67ELc76ELb0ELb0EddPKPKdPKPdEviT_T9_T10_S7_lS9_S7_lS8_T11_S7_li.has_recursion, 0
	.set _ZL29rocblas_internal_gemmt_kernelIiLi16ELi32ELi8ELc78ELc67ELc76ELb0ELb0EddPKPKdPKPdEviT_T9_T10_S7_lS9_S7_lS8_T11_S7_li.has_indirect_call, 0
	.section	.AMDGPU.csdata,"",@progbits
; Kernel info:
; codeLenInByte = 1672
; TotalNumSgprs: 31
; NumVgprs: 44
; ScratchSize: 0
; MemoryBound: 0
; FloatMode: 240
; IeeeMode: 1
; LDSByteSize: 4096 bytes/workgroup (compile time only)
; SGPRBlocks: 0
; VGPRBlocks: 5
; NumSGPRsForWavesPerEU: 31
; NumVGPRsForWavesPerEU: 44
; Occupancy: 16
; WaveLimiterHint : 1
; COMPUTE_PGM_RSRC2:SCRATCH_EN: 0
; COMPUTE_PGM_RSRC2:USER_SGPR: 6
; COMPUTE_PGM_RSRC2:TRAP_HANDLER: 0
; COMPUTE_PGM_RSRC2:TGID_X_EN: 1
; COMPUTE_PGM_RSRC2:TGID_Y_EN: 1
; COMPUTE_PGM_RSRC2:TGID_Z_EN: 1
; COMPUTE_PGM_RSRC2:TIDIG_COMP_CNT: 1
	.section	.text._ZL29rocblas_internal_gemmt_kernelIiLi16ELi32ELi8ELc84ELc78ELc76ELb0ELb0EddPKPKdPKPdEviT_T9_T10_S7_lS9_S7_lS8_T11_S7_li,"axG",@progbits,_ZL29rocblas_internal_gemmt_kernelIiLi16ELi32ELi8ELc84ELc78ELc76ELb0ELb0EddPKPKdPKPdEviT_T9_T10_S7_lS9_S7_lS8_T11_S7_li,comdat
	.globl	_ZL29rocblas_internal_gemmt_kernelIiLi16ELi32ELi8ELc84ELc78ELc76ELb0ELb0EddPKPKdPKPdEviT_T9_T10_S7_lS9_S7_lS8_T11_S7_li ; -- Begin function _ZL29rocblas_internal_gemmt_kernelIiLi16ELi32ELi8ELc84ELc78ELc76ELb0ELb0EddPKPKdPKPdEviT_T9_T10_S7_lS9_S7_lS8_T11_S7_li
	.p2align	8
	.type	_ZL29rocblas_internal_gemmt_kernelIiLi16ELi32ELi8ELc84ELc78ELc76ELb0ELb0EddPKPKdPKPdEviT_T9_T10_S7_lS9_S7_lS8_T11_S7_li,@function
_ZL29rocblas_internal_gemmt_kernelIiLi16ELi32ELi8ELc84ELc78ELc76ELb0ELb0EddPKPKdPKPdEviT_T9_T10_S7_lS9_S7_lS8_T11_S7_li: ; @_ZL29rocblas_internal_gemmt_kernelIiLi16ELi32ELi8ELc84ELc78ELc76ELb0ELb0EddPKPKdPKPdEviT_T9_T10_S7_lS9_S7_lS8_T11_S7_li
; %bb.0:
	s_clause 0x2
	s_load_dwordx4 s[12:15], s[4:5], 0x38
	s_load_dwordx2 s[2:3], s[4:5], 0x0
	s_load_dwordx4 s[16:19], s[4:5], 0x8
	s_waitcnt lgkmcnt(0)
	v_cmp_neq_f64_e64 s0, s[14:15], 1.0
	s_and_b32 vcc_lo, exec_lo, s0
	s_cbranch_vccnz .LBB354_2
; %bb.1:
	v_cmp_neq_f64_e64 s0, s[16:17], 0
	s_cmp_lg_u32 s3, 0
	s_cselect_b32 s1, -1, 0
	s_and_b32 s0, s1, s0
.LBB354_2:
	s_andn2_b32 vcc_lo, exec_lo, s0
	s_cbranch_vccnz .LBB354_26
; %bb.3:
	s_load_dwordx2 s[10:11], s[4:5], 0x48
	s_mov_b32 s9, 0
	v_cmp_eq_f64_e64 s20, s[16:17], 0
	s_lshl_b64 s[0:1], s[8:9], 3
	v_mov_b32_e32 v12, 0
	v_mov_b32_e32 v6, 0
	;; [unrolled: 1-line block ×8, first 2 shown]
	s_waitcnt lgkmcnt(0)
	s_add_u32 s10, s10, s0
	s_addc_u32 s11, s11, s1
	s_lshl_b32 s6, s6, 5
	s_load_dwordx2 s[10:11], s[10:11], 0x0
	s_lshl_b32 s7, s7, 5
	s_cmp_lt_i32 s3, 1
	s_cselect_b32 s8, -1, 0
	s_or_b32 s8, s20, s8
	s_and_b32 vcc_lo, exec_lo, s8
	s_cbranch_vccnz .LBB354_10
; %bb.4:
	s_clause 0x2
	s_load_dword s8, s[4:5], 0x18
	s_load_dwordx4 s[20:23], s[4:5], 0x20
	s_load_dword s24, s[4:5], 0x30
	v_lshl_add_u32 v2, v1, 4, v0
	v_and_b32_e32 v18, 7, v0
	v_mov_b32_e32 v12, 0
	v_lshlrev_b32_e32 v19, 3, v0
	v_lshl_add_u32 v20, v1, 6, 0x800
	v_and_b32_e32 v4, 31, v2
	v_lshrrev_b32_e32 v3, 3, v2
	v_lshrrev_b32_e32 v21, 5, v2
	v_lshlrev_b32_e32 v6, 3, v18
	v_mov_b32_e32 v13, 0
	v_or_b32_e32 v2, s6, v4
	v_lshlrev_b32_e32 v7, 3, v4
	v_add_nc_u32_e32 v4, s6, v4
	v_add_nc_u32_e32 v5, s7, v3
	v_lshl_or_b32 v8, v3, 6, v6
	v_cmp_gt_i32_e32 vcc_lo, s2, v2
	v_lshl_or_b32 v22, v21, 8, v7
	s_waitcnt lgkmcnt(0)
	v_mad_i64_i32 v[2:3], null, s8, v4, 0
	s_add_u32 s22, s22, s0
	s_addc_u32 s23, s23, s1
	s_add_u32 s18, s18, s0
	s_addc_u32 s19, s19, s1
	v_cmp_gt_i32_e64 s0, s2, v5
	s_load_dwordx2 s[18:19], s[18:19], 0x0
	v_lshlrev_b64 v[2:3], 3, v[2:3]
	v_mad_i64_i32 v[4:5], null, s24, v5, 0
	s_load_dwordx2 s[22:23], s[22:23], 0x0
	s_lshl_b64 s[20:21], s[20:21], 3
	v_lshlrev_b32_e32 v9, 3, v21
	v_add_co_u32 v7, s1, v2, s20
	v_add_nc_u32_e32 v23, 0x800, v8
	v_add_co_ci_u32_e64 v8, null, s21, v3, s1
	v_lshlrev_b64 v[2:3], 3, v[4:5]
	v_add_co_u32 v4, s1, v7, v9
	s_lshl_b64 s[12:13], s[12:13], 3
	v_add_co_ci_u32_e64 v5, null, 0, v8, s1
	v_add_co_u32 v2, s1, v2, s12
	v_add_co_ci_u32_e64 v3, null, s13, v3, s1
	s_waitcnt lgkmcnt(0)
	v_add_co_u32 v8, s1, s18, v4
	v_add_co_ci_u32_e64 v9, null, s19, v5, s1
	v_add_co_u32 v10, s1, v2, v6
	v_add_co_ci_u32_e64 v11, null, 0, v3, s1
	v_mov_b32_e32 v2, 0
	v_add_co_u32 v10, s1, s22, v10
	v_mov_b32_e32 v4, 0
	v_mov_b32_e32 v6, 0
	;; [unrolled: 1-line block ×5, first 2 shown]
	v_add_co_ci_u32_e64 v11, null, s23, v11, s1
	s_branch .LBB354_6
.LBB354_5:                              ;   in Loop: Header=BB354_6 Depth=1
	s_or_b32 exec_lo, exec_lo, s1
	s_waitcnt vmcnt(0) lgkmcnt(0)
	ds_write_b64 v23, v[16:17]
	s_waitcnt lgkmcnt(0)
	s_barrier
	buffer_gl0_inv
	ds_read_b128 v[14:17], v20
	ds_read2_b64 v[24:27], v19 offset1:16
	ds_read_b128 v[28:31], v20 offset:1024
	ds_read_b128 v[32:35], v20 offset:16
	ds_read2_b64 v[36:39], v19 offset0:32 offset1:48
	ds_read_b128 v[40:43], v20 offset:1040
	v_add_co_u32 v8, s1, v8, 64
	v_add_co_ci_u32_e64 v9, null, 0, v9, s1
	v_add_co_u32 v10, s1, v10, 64
	v_add_co_ci_u32_e64 v11, null, 0, v11, s1
	s_add_i32 s9, s9, 8
	s_cmp_lt_i32 s9, s3
	s_waitcnt lgkmcnt(4)
	v_fma_f64 v[12:13], v[24:25], v[14:15], v[12:13]
	v_fma_f64 v[6:7], v[26:27], v[14:15], v[6:7]
	s_waitcnt lgkmcnt(3)
	v_fma_f64 v[14:15], v[24:25], v[28:29], v[4:5]
	v_fma_f64 v[24:25], v[26:27], v[28:29], v[2:3]
	ds_read2_b64 v[2:5], v19 offset0:64 offset1:80
	s_waitcnt lgkmcnt(2)
	v_fma_f64 v[26:27], v[36:37], v[16:17], v[12:13]
	v_fma_f64 v[6:7], v[38:39], v[16:17], v[6:7]
	;; [unrolled: 1-line block ×4, first 2 shown]
	ds_read2_b64 v[12:15], v19 offset0:96 offset1:112
	s_waitcnt lgkmcnt(1)
	v_fma_f64 v[28:29], v[2:3], v[32:33], v[26:27]
	v_fma_f64 v[6:7], v[4:5], v[32:33], v[6:7]
	;; [unrolled: 1-line block ×4, first 2 shown]
	ds_read_b128 v[2:5], v20 offset:32
	ds_read2_b64 v[24:27], v19 offset0:128 offset1:144
	s_waitcnt lgkmcnt(2)
	v_fma_f64 v[40:41], v[12:13], v[34:35], v[28:29]
	v_fma_f64 v[6:7], v[14:15], v[34:35], v[6:7]
	;; [unrolled: 1-line block ×4, first 2 shown]
	ds_read_b128 v[12:15], v20 offset:1056
	ds_read_b128 v[28:31], v20 offset:48
	ds_read2_b64 v[32:35], v19 offset0:160 offset1:176
	ds_read_b128 v[36:39], v20 offset:1072
	s_waitcnt lgkmcnt(4)
	v_fma_f64 v[40:41], v[24:25], v[2:3], v[40:41]
	v_fma_f64 v[2:3], v[26:27], v[2:3], v[6:7]
	s_waitcnt lgkmcnt(3)
	v_fma_f64 v[6:7], v[24:25], v[12:13], v[16:17]
	v_fma_f64 v[12:13], v[26:27], v[12:13], v[42:43]
	ds_read2_b64 v[24:27], v19 offset0:192 offset1:208
	s_waitcnt lgkmcnt(2)
	v_fma_f64 v[40:41], v[32:33], v[4:5], v[40:41]
	v_fma_f64 v[2:3], v[34:35], v[4:5], v[2:3]
	;; [unrolled: 1-line block ×4, first 2 shown]
	ds_read2_b64 v[14:17], v19 offset0:224 offset1:240
	s_waitcnt lgkmcnt(0)
	s_barrier
	buffer_gl0_inv
	v_fma_f64 v[12:13], v[24:25], v[28:29], v[40:41]
	v_fma_f64 v[2:3], v[26:27], v[28:29], v[2:3]
	;; [unrolled: 1-line block ×8, first 2 shown]
	s_cbranch_scc0 .LBB354_10
.LBB354_6:                              ; =>This Inner Loop Header: Depth=1
	v_add_nc_u32_e32 v14, s9, v21
	v_cmp_gt_i32_e64 s1, s3, v14
	v_mov_b32_e32 v14, 0
	v_mov_b32_e32 v15, 0
	s_and_b32 s8, vcc_lo, s1
	s_and_saveexec_b32 s1, s8
	s_cbranch_execz .LBB354_8
; %bb.7:                                ;   in Loop: Header=BB354_6 Depth=1
	flat_load_dwordx2 v[14:15], v[8:9]
.LBB354_8:                              ;   in Loop: Header=BB354_6 Depth=1
	s_or_b32 exec_lo, exec_lo, s1
	v_add_nc_u32_e32 v16, s9, v18
	s_waitcnt vmcnt(0) lgkmcnt(0)
	ds_write_b64 v22, v[14:15]
	v_cmp_gt_i32_e64 s1, s3, v16
	v_mov_b32_e32 v16, 0
	v_mov_b32_e32 v17, 0
	s_and_b32 s8, s1, s0
	s_and_saveexec_b32 s1, s8
	s_cbranch_execz .LBB354_5
; %bb.9:                                ;   in Loop: Header=BB354_6 Depth=1
	flat_load_dwordx2 v[16:17], v[10:11]
	s_branch .LBB354_5
.LBB354_10:
	s_clause 0x1
	s_load_dword s3, s[4:5], 0x50
	s_load_dwordx2 s[4:5], s[4:5], 0x58
	v_add_nc_u32_e32 v0, s6, v0
	v_cmp_neq_f64_e64 s6, s[14:15], 0
	v_add_nc_u32_e32 v15, s7, v1
	v_cmp_gt_i32_e64 s0, s2, v0
	v_ashrrev_i32_e32 v1, 31, v0
	v_cmp_le_i32_e32 vcc_lo, v15, v0
	s_waitcnt lgkmcnt(0)
	v_mad_i64_i32 v[8:9], null, v15, s3, 0
	s_lshl_b64 s[4:5], s[4:5], 3
	s_add_u32 s4, s10, s4
	s_addc_u32 s5, s11, s5
	v_cndmask_b32_e64 v14, 0, 1, s6
	s_and_b32 s7, vcc_lo, s0
	v_lshlrev_b64 v[8:9], 3, v[8:9]
	v_add_co_u32 v16, s1, s4, v8
	v_add_co_ci_u32_e64 v17, null, s5, v9, s1
	s_and_saveexec_b32 s1, s7
	s_cbranch_execz .LBB354_14
; %bb.11:
	v_mul_f64 v[8:9], s[16:17], v[12:13]
	v_lshlrev_b64 v[10:11], 3, v[0:1]
	v_add_co_u32 v10, vcc_lo, v16, v10
	v_add_co_ci_u32_e64 v11, null, v17, v11, vcc_lo
	s_andn2_b32 vcc_lo, exec_lo, s6
	s_cbranch_vccnz .LBB354_13
; %bb.12:
	flat_load_dwordx2 v[12:13], v[10:11]
	s_waitcnt vmcnt(0) lgkmcnt(0)
	v_fma_f64 v[8:9], s[14:15], v[12:13], v[8:9]
.LBB354_13:
	flat_store_dwordx2 v[10:11], v[8:9]
.LBB354_14:
	s_or_b32 exec_lo, exec_lo, s1
	v_add_nc_u32_e32 v8, 16, v0
	v_cmp_le_i32_e32 vcc_lo, v15, v8
	v_cmp_gt_i32_e64 s1, s2, v8
	v_ashrrev_i32_e32 v9, 31, v8
	s_and_b32 s2, vcc_lo, s1
	s_and_saveexec_b32 s6, s2
	s_cbranch_execz .LBB354_18
; %bb.15:
	v_mul_f64 v[6:7], s[16:17], v[6:7]
	v_lshlrev_b64 v[10:11], 3, v[8:9]
	v_cmp_ne_u32_e32 vcc_lo, 1, v14
	v_add_co_u32 v10, s2, v16, v10
	v_add_co_ci_u32_e64 v11, null, v17, v11, s2
	s_cbranch_vccnz .LBB354_17
; %bb.16:
	flat_load_dwordx2 v[12:13], v[10:11]
	s_waitcnt vmcnt(0) lgkmcnt(0)
	v_fma_f64 v[6:7], s[14:15], v[12:13], v[6:7]
.LBB354_17:
	flat_store_dwordx2 v[10:11], v[6:7]
.LBB354_18:
	s_or_b32 exec_lo, exec_lo, s6
	v_add_nc_u32_e32 v10, 16, v15
	v_mad_i64_i32 v[6:7], null, v10, s3, 0
	v_cmp_le_i32_e32 vcc_lo, v10, v0
	s_and_b32 s0, vcc_lo, s0
	v_lshlrev_b64 v[6:7], 3, v[6:7]
	v_add_co_u32 v6, s2, s4, v6
	v_add_co_ci_u32_e64 v7, null, s5, v7, s2
	s_and_saveexec_b32 s2, s0
	s_cbranch_execz .LBB354_22
; %bb.19:
	v_mul_f64 v[4:5], s[16:17], v[4:5]
	v_lshlrev_b64 v[0:1], 3, v[0:1]
	v_cmp_ne_u32_e32 vcc_lo, 1, v14
	v_add_co_u32 v0, s0, v6, v0
	v_add_co_ci_u32_e64 v1, null, v7, v1, s0
	s_cbranch_vccnz .LBB354_21
; %bb.20:
	flat_load_dwordx2 v[11:12], v[0:1]
	s_waitcnt vmcnt(0) lgkmcnt(0)
	v_fma_f64 v[4:5], s[14:15], v[11:12], v[4:5]
.LBB354_21:
	flat_store_dwordx2 v[0:1], v[4:5]
.LBB354_22:
	s_or_b32 exec_lo, exec_lo, s2
	v_cmp_le_i32_e32 vcc_lo, v10, v8
	s_and_b32 s0, vcc_lo, s1
	s_and_saveexec_b32 s1, s0
	s_cbranch_execz .LBB354_26
; %bb.23:
	v_mul_f64 v[0:1], s[16:17], v[2:3]
	v_lshlrev_b64 v[2:3], 3, v[8:9]
	v_cmp_ne_u32_e32 vcc_lo, 1, v14
	v_add_co_u32 v2, s0, v6, v2
	v_add_co_ci_u32_e64 v3, null, v7, v3, s0
	s_cbranch_vccnz .LBB354_25
; %bb.24:
	flat_load_dwordx2 v[4:5], v[2:3]
	s_waitcnt vmcnt(0) lgkmcnt(0)
	v_fma_f64 v[0:1], s[14:15], v[4:5], v[0:1]
.LBB354_25:
	flat_store_dwordx2 v[2:3], v[0:1]
.LBB354_26:
	s_endpgm
	.section	.rodata,"a",@progbits
	.p2align	6, 0x0
	.amdhsa_kernel _ZL29rocblas_internal_gemmt_kernelIiLi16ELi32ELi8ELc84ELc78ELc76ELb0ELb0EddPKPKdPKPdEviT_T9_T10_S7_lS9_S7_lS8_T11_S7_li
		.amdhsa_group_segment_fixed_size 4096
		.amdhsa_private_segment_fixed_size 0
		.amdhsa_kernarg_size 100
		.amdhsa_user_sgpr_count 6
		.amdhsa_user_sgpr_private_segment_buffer 1
		.amdhsa_user_sgpr_dispatch_ptr 0
		.amdhsa_user_sgpr_queue_ptr 0
		.amdhsa_user_sgpr_kernarg_segment_ptr 1
		.amdhsa_user_sgpr_dispatch_id 0
		.amdhsa_user_sgpr_flat_scratch_init 0
		.amdhsa_user_sgpr_private_segment_size 0
		.amdhsa_wavefront_size32 1
		.amdhsa_uses_dynamic_stack 0
		.amdhsa_system_sgpr_private_segment_wavefront_offset 0
		.amdhsa_system_sgpr_workgroup_id_x 1
		.amdhsa_system_sgpr_workgroup_id_y 1
		.amdhsa_system_sgpr_workgroup_id_z 1
		.amdhsa_system_sgpr_workgroup_info 0
		.amdhsa_system_vgpr_workitem_id 1
		.amdhsa_next_free_vgpr 44
		.amdhsa_next_free_sgpr 25
		.amdhsa_reserve_vcc 1
		.amdhsa_reserve_flat_scratch 0
		.amdhsa_float_round_mode_32 0
		.amdhsa_float_round_mode_16_64 0
		.amdhsa_float_denorm_mode_32 3
		.amdhsa_float_denorm_mode_16_64 3
		.amdhsa_dx10_clamp 1
		.amdhsa_ieee_mode 1
		.amdhsa_fp16_overflow 0
		.amdhsa_workgroup_processor_mode 1
		.amdhsa_memory_ordered 1
		.amdhsa_forward_progress 1
		.amdhsa_shared_vgpr_count 0
		.amdhsa_exception_fp_ieee_invalid_op 0
		.amdhsa_exception_fp_denorm_src 0
		.amdhsa_exception_fp_ieee_div_zero 0
		.amdhsa_exception_fp_ieee_overflow 0
		.amdhsa_exception_fp_ieee_underflow 0
		.amdhsa_exception_fp_ieee_inexact 0
		.amdhsa_exception_int_div_zero 0
	.end_amdhsa_kernel
	.section	.text._ZL29rocblas_internal_gemmt_kernelIiLi16ELi32ELi8ELc84ELc78ELc76ELb0ELb0EddPKPKdPKPdEviT_T9_T10_S7_lS9_S7_lS8_T11_S7_li,"axG",@progbits,_ZL29rocblas_internal_gemmt_kernelIiLi16ELi32ELi8ELc84ELc78ELc76ELb0ELb0EddPKPKdPKPdEviT_T9_T10_S7_lS9_S7_lS8_T11_S7_li,comdat
.Lfunc_end354:
	.size	_ZL29rocblas_internal_gemmt_kernelIiLi16ELi32ELi8ELc84ELc78ELc76ELb0ELb0EddPKPKdPKPdEviT_T9_T10_S7_lS9_S7_lS8_T11_S7_li, .Lfunc_end354-_ZL29rocblas_internal_gemmt_kernelIiLi16ELi32ELi8ELc84ELc78ELc76ELb0ELb0EddPKPKdPKPdEviT_T9_T10_S7_lS9_S7_lS8_T11_S7_li
                                        ; -- End function
	.set _ZL29rocblas_internal_gemmt_kernelIiLi16ELi32ELi8ELc84ELc78ELc76ELb0ELb0EddPKPKdPKPdEviT_T9_T10_S7_lS9_S7_lS8_T11_S7_li.num_vgpr, 44
	.set _ZL29rocblas_internal_gemmt_kernelIiLi16ELi32ELi8ELc84ELc78ELc76ELb0ELb0EddPKPKdPKPdEviT_T9_T10_S7_lS9_S7_lS8_T11_S7_li.num_agpr, 0
	.set _ZL29rocblas_internal_gemmt_kernelIiLi16ELi32ELi8ELc84ELc78ELc76ELb0ELb0EddPKPKdPKPdEviT_T9_T10_S7_lS9_S7_lS8_T11_S7_li.numbered_sgpr, 25
	.set _ZL29rocblas_internal_gemmt_kernelIiLi16ELi32ELi8ELc84ELc78ELc76ELb0ELb0EddPKPKdPKPdEviT_T9_T10_S7_lS9_S7_lS8_T11_S7_li.num_named_barrier, 0
	.set _ZL29rocblas_internal_gemmt_kernelIiLi16ELi32ELi8ELc84ELc78ELc76ELb0ELb0EddPKPKdPKPdEviT_T9_T10_S7_lS9_S7_lS8_T11_S7_li.private_seg_size, 0
	.set _ZL29rocblas_internal_gemmt_kernelIiLi16ELi32ELi8ELc84ELc78ELc76ELb0ELb0EddPKPKdPKPdEviT_T9_T10_S7_lS9_S7_lS8_T11_S7_li.uses_vcc, 1
	.set _ZL29rocblas_internal_gemmt_kernelIiLi16ELi32ELi8ELc84ELc78ELc76ELb0ELb0EddPKPKdPKPdEviT_T9_T10_S7_lS9_S7_lS8_T11_S7_li.uses_flat_scratch, 0
	.set _ZL29rocblas_internal_gemmt_kernelIiLi16ELi32ELi8ELc84ELc78ELc76ELb0ELb0EddPKPKdPKPdEviT_T9_T10_S7_lS9_S7_lS8_T11_S7_li.has_dyn_sized_stack, 0
	.set _ZL29rocblas_internal_gemmt_kernelIiLi16ELi32ELi8ELc84ELc78ELc76ELb0ELb0EddPKPKdPKPdEviT_T9_T10_S7_lS9_S7_lS8_T11_S7_li.has_recursion, 0
	.set _ZL29rocblas_internal_gemmt_kernelIiLi16ELi32ELi8ELc84ELc78ELc76ELb0ELb0EddPKPKdPKPdEviT_T9_T10_S7_lS9_S7_lS8_T11_S7_li.has_indirect_call, 0
	.section	.AMDGPU.csdata,"",@progbits
; Kernel info:
; codeLenInByte = 1636
; TotalNumSgprs: 27
; NumVgprs: 44
; ScratchSize: 0
; MemoryBound: 0
; FloatMode: 240
; IeeeMode: 1
; LDSByteSize: 4096 bytes/workgroup (compile time only)
; SGPRBlocks: 0
; VGPRBlocks: 5
; NumSGPRsForWavesPerEU: 27
; NumVGPRsForWavesPerEU: 44
; Occupancy: 16
; WaveLimiterHint : 1
; COMPUTE_PGM_RSRC2:SCRATCH_EN: 0
; COMPUTE_PGM_RSRC2:USER_SGPR: 6
; COMPUTE_PGM_RSRC2:TRAP_HANDLER: 0
; COMPUTE_PGM_RSRC2:TGID_X_EN: 1
; COMPUTE_PGM_RSRC2:TGID_Y_EN: 1
; COMPUTE_PGM_RSRC2:TGID_Z_EN: 1
; COMPUTE_PGM_RSRC2:TIDIG_COMP_CNT: 1
	.section	.text._ZL29rocblas_internal_gemmt_kernelIiLi16ELi32ELi8ELc84ELc84ELc76ELb0ELb0EddPKPKdPKPdEviT_T9_T10_S7_lS9_S7_lS8_T11_S7_li,"axG",@progbits,_ZL29rocblas_internal_gemmt_kernelIiLi16ELi32ELi8ELc84ELc84ELc76ELb0ELb0EddPKPKdPKPdEviT_T9_T10_S7_lS9_S7_lS8_T11_S7_li,comdat
	.globl	_ZL29rocblas_internal_gemmt_kernelIiLi16ELi32ELi8ELc84ELc84ELc76ELb0ELb0EddPKPKdPKPdEviT_T9_T10_S7_lS9_S7_lS8_T11_S7_li ; -- Begin function _ZL29rocblas_internal_gemmt_kernelIiLi16ELi32ELi8ELc84ELc84ELc76ELb0ELb0EddPKPKdPKPdEviT_T9_T10_S7_lS9_S7_lS8_T11_S7_li
	.p2align	8
	.type	_ZL29rocblas_internal_gemmt_kernelIiLi16ELi32ELi8ELc84ELc84ELc76ELb0ELb0EddPKPKdPKPdEviT_T9_T10_S7_lS9_S7_lS8_T11_S7_li,@function
_ZL29rocblas_internal_gemmt_kernelIiLi16ELi32ELi8ELc84ELc84ELc76ELb0ELb0EddPKPKdPKPdEviT_T9_T10_S7_lS9_S7_lS8_T11_S7_li: ; @_ZL29rocblas_internal_gemmt_kernelIiLi16ELi32ELi8ELc84ELc84ELc76ELb0ELb0EddPKPKdPKPdEviT_T9_T10_S7_lS9_S7_lS8_T11_S7_li
; %bb.0:
	s_clause 0x2
	s_load_dwordx4 s[12:15], s[4:5], 0x38
	s_load_dwordx2 s[2:3], s[4:5], 0x0
	s_load_dwordx4 s[16:19], s[4:5], 0x8
	s_waitcnt lgkmcnt(0)
	v_cmp_neq_f64_e64 s0, s[14:15], 1.0
	s_and_b32 vcc_lo, exec_lo, s0
	s_cbranch_vccnz .LBB355_2
; %bb.1:
	v_cmp_neq_f64_e64 s0, s[16:17], 0
	s_cmp_lg_u32 s3, 0
	s_cselect_b32 s1, -1, 0
	s_and_b32 s0, s1, s0
.LBB355_2:
	s_andn2_b32 vcc_lo, exec_lo, s0
	s_cbranch_vccnz .LBB355_26
; %bb.3:
	s_load_dwordx2 s[0:1], s[4:5], 0x48
	s_mov_b32 s9, 0
	v_cmp_eq_f64_e64 s20, s[16:17], 0
	s_lshl_b64 s[24:25], s[8:9], 3
	v_mov_b32_e32 v12, 0
	v_mov_b32_e32 v6, 0
	;; [unrolled: 1-line block ×8, first 2 shown]
	s_waitcnt lgkmcnt(0)
	s_add_u32 s0, s0, s24
	s_addc_u32 s1, s1, s25
	s_lshl_b32 s8, s6, 5
	s_load_dwordx2 s[10:11], s[0:1], 0x0
	s_lshl_b32 s26, s7, 5
	s_cmp_lt_i32 s3, 1
	s_cselect_b32 s0, -1, 0
	s_or_b32 s0, s20, s0
	s_and_b32 vcc_lo, exec_lo, s0
	s_cbranch_vccnz .LBB355_10
; %bb.4:
	s_clause 0x2
	s_load_dword s6, s[4:5], 0x30
	s_load_dword s1, s[4:5], 0x18
	s_load_dwordx4 s[20:23], s[4:5], 0x20
	v_lshl_add_u32 v2, v1, 4, v0
	v_and_b32_e32 v18, 7, v0
	v_mov_b32_e32 v12, 0
	v_lshlrev_b32_e32 v22, 3, v0
	v_lshl_add_u32 v23, v1, 6, 0x800
	v_and_b32_e32 v3, 31, v2
	v_lshrrev_b32_e32 v4, 3, v2
	v_lshlrev_b32_e32 v5, 3, v18
	v_lshrrev_b32_e32 v19, 5, v2
	v_mov_b32_e32 v13, 0
	v_or_b32_e32 v6, s8, v3
	v_lshlrev_b32_e32 v7, 3, v3
	v_add_nc_u32_e32 v2, s26, v4
	v_lshl_or_b32 v4, v4, 6, v5
	v_add_nc_u32_e32 v3, s8, v3
	v_cmp_gt_i32_e32 vcc_lo, s2, v6
	v_lshl_or_b32 v20, v19, 8, v7
	v_lshlrev_b32_e32 v8, 3, v19
	v_add_nc_u32_e32 v21, 0x800, v4
	s_waitcnt lgkmcnt(0)
	s_ashr_i32 s7, s6, 31
	v_mad_i64_i32 v[4:5], null, s1, v3, 0
	s_add_u32 s22, s22, s24
	s_addc_u32 s23, s23, s25
	s_add_u32 s18, s18, s24
	s_addc_u32 s19, s19, s25
	s_load_dwordx2 s[22:23], s[22:23], 0x0
	s_load_dwordx2 s[18:19], s[18:19], 0x0
	v_mad_i64_i32 v[6:7], null, s6, v18, 0
	v_lshlrev_b64 v[4:5], 3, v[4:5]
	s_lshl_b64 s[20:21], s[20:21], 3
	v_ashrrev_i32_e32 v3, 31, v2
	s_lshl_b64 s[12:13], s[12:13], 3
	v_cmp_gt_i32_e64 s0, s2, v2
	s_lshl_b64 s[6:7], s[6:7], 6
	v_add_co_u32 v9, s1, v4, s20
	v_add_co_ci_u32_e64 v10, null, s21, v5, s1
	v_lshlrev_b64 v[4:5], 3, v[6:7]
	v_add_co_u32 v6, s1, v9, v8
	v_lshlrev_b64 v[2:3], 3, v[2:3]
	v_add_co_ci_u32_e64 v7, null, 0, v10, s1
	v_add_co_u32 v4, s1, v4, s12
	v_add_co_ci_u32_e64 v5, null, s13, v5, s1
	s_waitcnt lgkmcnt(0)
	v_add_co_u32 v8, s1, s18, v6
	v_add_co_ci_u32_e64 v9, null, s19, v7, s1
	v_add_co_u32 v10, s1, v4, v2
	v_add_co_ci_u32_e64 v11, null, v5, v3, s1
	v_mov_b32_e32 v2, 0
	v_add_co_u32 v10, s1, s22, v10
	v_mov_b32_e32 v4, 0
	v_mov_b32_e32 v6, 0
	;; [unrolled: 1-line block ×5, first 2 shown]
	v_add_co_ci_u32_e64 v11, null, s23, v11, s1
	s_branch .LBB355_6
.LBB355_5:                              ;   in Loop: Header=BB355_6 Depth=1
	s_or_b32 exec_lo, exec_lo, s1
	s_waitcnt vmcnt(0) lgkmcnt(0)
	ds_write_b64 v21, v[16:17]
	s_waitcnt lgkmcnt(0)
	s_barrier
	buffer_gl0_inv
	ds_read_b128 v[14:17], v23
	ds_read2_b64 v[24:27], v22 offset1:16
	ds_read_b128 v[28:31], v23 offset:1024
	ds_read_b128 v[32:35], v23 offset:16
	ds_read2_b64 v[36:39], v22 offset0:32 offset1:48
	ds_read_b128 v[40:43], v23 offset:1040
	v_add_co_u32 v8, s1, v8, 64
	v_add_co_ci_u32_e64 v9, null, 0, v9, s1
	v_add_co_u32 v10, s1, v10, s6
	v_add_co_ci_u32_e64 v11, null, s7, v11, s1
	s_add_i32 s9, s9, 8
	s_cmp_lt_i32 s9, s3
	s_waitcnt lgkmcnt(4)
	v_fma_f64 v[12:13], v[24:25], v[14:15], v[12:13]
	v_fma_f64 v[6:7], v[26:27], v[14:15], v[6:7]
	s_waitcnt lgkmcnt(3)
	v_fma_f64 v[14:15], v[24:25], v[28:29], v[4:5]
	v_fma_f64 v[24:25], v[26:27], v[28:29], v[2:3]
	ds_read2_b64 v[2:5], v22 offset0:64 offset1:80
	s_waitcnt lgkmcnt(2)
	v_fma_f64 v[26:27], v[36:37], v[16:17], v[12:13]
	v_fma_f64 v[6:7], v[38:39], v[16:17], v[6:7]
	;; [unrolled: 1-line block ×4, first 2 shown]
	ds_read2_b64 v[12:15], v22 offset0:96 offset1:112
	s_waitcnt lgkmcnt(1)
	v_fma_f64 v[28:29], v[2:3], v[32:33], v[26:27]
	v_fma_f64 v[6:7], v[4:5], v[32:33], v[6:7]
	v_fma_f64 v[16:17], v[2:3], v[40:41], v[16:17]
	v_fma_f64 v[30:31], v[4:5], v[40:41], v[24:25]
	ds_read_b128 v[2:5], v23 offset:32
	ds_read2_b64 v[24:27], v22 offset0:128 offset1:144
	s_waitcnt lgkmcnt(2)
	v_fma_f64 v[40:41], v[12:13], v[34:35], v[28:29]
	v_fma_f64 v[6:7], v[14:15], v[34:35], v[6:7]
	;; [unrolled: 1-line block ×4, first 2 shown]
	ds_read_b128 v[12:15], v23 offset:1056
	ds_read_b128 v[28:31], v23 offset:48
	ds_read2_b64 v[32:35], v22 offset0:160 offset1:176
	ds_read_b128 v[36:39], v23 offset:1072
	s_waitcnt lgkmcnt(4)
	v_fma_f64 v[40:41], v[24:25], v[2:3], v[40:41]
	v_fma_f64 v[2:3], v[26:27], v[2:3], v[6:7]
	s_waitcnt lgkmcnt(3)
	v_fma_f64 v[6:7], v[24:25], v[12:13], v[16:17]
	v_fma_f64 v[12:13], v[26:27], v[12:13], v[42:43]
	ds_read2_b64 v[24:27], v22 offset0:192 offset1:208
	s_waitcnt lgkmcnt(2)
	v_fma_f64 v[40:41], v[32:33], v[4:5], v[40:41]
	v_fma_f64 v[2:3], v[34:35], v[4:5], v[2:3]
	;; [unrolled: 1-line block ×4, first 2 shown]
	ds_read2_b64 v[14:17], v22 offset0:224 offset1:240
	s_waitcnt lgkmcnt(0)
	s_barrier
	buffer_gl0_inv
	v_fma_f64 v[12:13], v[24:25], v[28:29], v[40:41]
	v_fma_f64 v[2:3], v[26:27], v[28:29], v[2:3]
	;; [unrolled: 1-line block ×8, first 2 shown]
	s_cbranch_scc0 .LBB355_10
.LBB355_6:                              ; =>This Inner Loop Header: Depth=1
	v_add_nc_u32_e32 v14, s9, v19
	v_cmp_gt_i32_e64 s1, s3, v14
	v_mov_b32_e32 v14, 0
	v_mov_b32_e32 v15, 0
	s_and_b32 s12, vcc_lo, s1
	s_and_saveexec_b32 s1, s12
	s_cbranch_execz .LBB355_8
; %bb.7:                                ;   in Loop: Header=BB355_6 Depth=1
	flat_load_dwordx2 v[14:15], v[8:9]
.LBB355_8:                              ;   in Loop: Header=BB355_6 Depth=1
	s_or_b32 exec_lo, exec_lo, s1
	v_add_nc_u32_e32 v16, s9, v18
	s_waitcnt vmcnt(0) lgkmcnt(0)
	ds_write_b64 v20, v[14:15]
	v_cmp_gt_i32_e64 s1, s3, v16
	v_mov_b32_e32 v16, 0
	v_mov_b32_e32 v17, 0
	s_and_b32 s12, s1, s0
	s_and_saveexec_b32 s1, s12
	s_cbranch_execz .LBB355_5
; %bb.9:                                ;   in Loop: Header=BB355_6 Depth=1
	flat_load_dwordx2 v[16:17], v[10:11]
	s_branch .LBB355_5
.LBB355_10:
	s_clause 0x1
	s_load_dword s3, s[4:5], 0x50
	s_load_dwordx2 s[4:5], s[4:5], 0x58
	v_cmp_neq_f64_e64 s6, s[14:15], 0
	v_add_nc_u32_e32 v15, s26, v1
	v_add_nc_u32_e32 v0, s8, v0
	v_cmp_le_i32_e32 vcc_lo, v15, v0
	v_cmp_gt_i32_e64 s0, s2, v0
	v_ashrrev_i32_e32 v1, 31, v0
	s_waitcnt lgkmcnt(0)
	v_mad_i64_i32 v[8:9], null, v15, s3, 0
	s_lshl_b64 s[4:5], s[4:5], 3
	s_add_u32 s4, s10, s4
	s_addc_u32 s5, s11, s5
	v_cndmask_b32_e64 v14, 0, 1, s6
	s_and_b32 s7, vcc_lo, s0
	v_lshlrev_b64 v[8:9], 3, v[8:9]
	v_add_co_u32 v16, s1, s4, v8
	v_add_co_ci_u32_e64 v17, null, s5, v9, s1
	s_and_saveexec_b32 s1, s7
	s_cbranch_execz .LBB355_14
; %bb.11:
	v_mul_f64 v[8:9], s[16:17], v[12:13]
	v_lshlrev_b64 v[10:11], 3, v[0:1]
	v_add_co_u32 v10, vcc_lo, v16, v10
	v_add_co_ci_u32_e64 v11, null, v17, v11, vcc_lo
	s_andn2_b32 vcc_lo, exec_lo, s6
	s_cbranch_vccnz .LBB355_13
; %bb.12:
	flat_load_dwordx2 v[12:13], v[10:11]
	s_waitcnt vmcnt(0) lgkmcnt(0)
	v_fma_f64 v[8:9], s[14:15], v[12:13], v[8:9]
.LBB355_13:
	flat_store_dwordx2 v[10:11], v[8:9]
.LBB355_14:
	s_or_b32 exec_lo, exec_lo, s1
	v_add_nc_u32_e32 v8, 16, v0
	v_cmp_le_i32_e32 vcc_lo, v15, v8
	v_cmp_gt_i32_e64 s1, s2, v8
	v_ashrrev_i32_e32 v9, 31, v8
	s_and_b32 s2, vcc_lo, s1
	s_and_saveexec_b32 s6, s2
	s_cbranch_execz .LBB355_18
; %bb.15:
	v_mul_f64 v[6:7], s[16:17], v[6:7]
	v_lshlrev_b64 v[10:11], 3, v[8:9]
	v_cmp_ne_u32_e32 vcc_lo, 1, v14
	v_add_co_u32 v10, s2, v16, v10
	v_add_co_ci_u32_e64 v11, null, v17, v11, s2
	s_cbranch_vccnz .LBB355_17
; %bb.16:
	flat_load_dwordx2 v[12:13], v[10:11]
	s_waitcnt vmcnt(0) lgkmcnt(0)
	v_fma_f64 v[6:7], s[14:15], v[12:13], v[6:7]
.LBB355_17:
	flat_store_dwordx2 v[10:11], v[6:7]
.LBB355_18:
	s_or_b32 exec_lo, exec_lo, s6
	v_add_nc_u32_e32 v10, 16, v15
	v_mad_i64_i32 v[6:7], null, v10, s3, 0
	v_cmp_le_i32_e32 vcc_lo, v10, v0
	s_and_b32 s0, vcc_lo, s0
	v_lshlrev_b64 v[6:7], 3, v[6:7]
	v_add_co_u32 v6, s2, s4, v6
	v_add_co_ci_u32_e64 v7, null, s5, v7, s2
	s_and_saveexec_b32 s2, s0
	s_cbranch_execz .LBB355_22
; %bb.19:
	v_mul_f64 v[4:5], s[16:17], v[4:5]
	v_lshlrev_b64 v[0:1], 3, v[0:1]
	v_cmp_ne_u32_e32 vcc_lo, 1, v14
	v_add_co_u32 v0, s0, v6, v0
	v_add_co_ci_u32_e64 v1, null, v7, v1, s0
	s_cbranch_vccnz .LBB355_21
; %bb.20:
	flat_load_dwordx2 v[11:12], v[0:1]
	s_waitcnt vmcnt(0) lgkmcnt(0)
	v_fma_f64 v[4:5], s[14:15], v[11:12], v[4:5]
.LBB355_21:
	flat_store_dwordx2 v[0:1], v[4:5]
.LBB355_22:
	s_or_b32 exec_lo, exec_lo, s2
	v_cmp_le_i32_e32 vcc_lo, v10, v8
	s_and_b32 s0, vcc_lo, s1
	s_and_saveexec_b32 s1, s0
	s_cbranch_execz .LBB355_26
; %bb.23:
	v_mul_f64 v[0:1], s[16:17], v[2:3]
	v_lshlrev_b64 v[2:3], 3, v[8:9]
	v_cmp_ne_u32_e32 vcc_lo, 1, v14
	v_add_co_u32 v2, s0, v6, v2
	v_add_co_ci_u32_e64 v3, null, v7, v3, s0
	s_cbranch_vccnz .LBB355_25
; %bb.24:
	flat_load_dwordx2 v[4:5], v[2:3]
	s_waitcnt vmcnt(0) lgkmcnt(0)
	v_fma_f64 v[0:1], s[14:15], v[4:5], v[0:1]
.LBB355_25:
	flat_store_dwordx2 v[2:3], v[0:1]
.LBB355_26:
	s_endpgm
	.section	.rodata,"a",@progbits
	.p2align	6, 0x0
	.amdhsa_kernel _ZL29rocblas_internal_gemmt_kernelIiLi16ELi32ELi8ELc84ELc84ELc76ELb0ELb0EddPKPKdPKPdEviT_T9_T10_S7_lS9_S7_lS8_T11_S7_li
		.amdhsa_group_segment_fixed_size 4096
		.amdhsa_private_segment_fixed_size 0
		.amdhsa_kernarg_size 100
		.amdhsa_user_sgpr_count 6
		.amdhsa_user_sgpr_private_segment_buffer 1
		.amdhsa_user_sgpr_dispatch_ptr 0
		.amdhsa_user_sgpr_queue_ptr 0
		.amdhsa_user_sgpr_kernarg_segment_ptr 1
		.amdhsa_user_sgpr_dispatch_id 0
		.amdhsa_user_sgpr_flat_scratch_init 0
		.amdhsa_user_sgpr_private_segment_size 0
		.amdhsa_wavefront_size32 1
		.amdhsa_uses_dynamic_stack 0
		.amdhsa_system_sgpr_private_segment_wavefront_offset 0
		.amdhsa_system_sgpr_workgroup_id_x 1
		.amdhsa_system_sgpr_workgroup_id_y 1
		.amdhsa_system_sgpr_workgroup_id_z 1
		.amdhsa_system_sgpr_workgroup_info 0
		.amdhsa_system_vgpr_workitem_id 1
		.amdhsa_next_free_vgpr 44
		.amdhsa_next_free_sgpr 27
		.amdhsa_reserve_vcc 1
		.amdhsa_reserve_flat_scratch 0
		.amdhsa_float_round_mode_32 0
		.amdhsa_float_round_mode_16_64 0
		.amdhsa_float_denorm_mode_32 3
		.amdhsa_float_denorm_mode_16_64 3
		.amdhsa_dx10_clamp 1
		.amdhsa_ieee_mode 1
		.amdhsa_fp16_overflow 0
		.amdhsa_workgroup_processor_mode 1
		.amdhsa_memory_ordered 1
		.amdhsa_forward_progress 1
		.amdhsa_shared_vgpr_count 0
		.amdhsa_exception_fp_ieee_invalid_op 0
		.amdhsa_exception_fp_denorm_src 0
		.amdhsa_exception_fp_ieee_div_zero 0
		.amdhsa_exception_fp_ieee_overflow 0
		.amdhsa_exception_fp_ieee_underflow 0
		.amdhsa_exception_fp_ieee_inexact 0
		.amdhsa_exception_int_div_zero 0
	.end_amdhsa_kernel
	.section	.text._ZL29rocblas_internal_gemmt_kernelIiLi16ELi32ELi8ELc84ELc84ELc76ELb0ELb0EddPKPKdPKPdEviT_T9_T10_S7_lS9_S7_lS8_T11_S7_li,"axG",@progbits,_ZL29rocblas_internal_gemmt_kernelIiLi16ELi32ELi8ELc84ELc84ELc76ELb0ELb0EddPKPKdPKPdEviT_T9_T10_S7_lS9_S7_lS8_T11_S7_li,comdat
.Lfunc_end355:
	.size	_ZL29rocblas_internal_gemmt_kernelIiLi16ELi32ELi8ELc84ELc84ELc76ELb0ELb0EddPKPKdPKPdEviT_T9_T10_S7_lS9_S7_lS8_T11_S7_li, .Lfunc_end355-_ZL29rocblas_internal_gemmt_kernelIiLi16ELi32ELi8ELc84ELc84ELc76ELb0ELb0EddPKPKdPKPdEviT_T9_T10_S7_lS9_S7_lS8_T11_S7_li
                                        ; -- End function
	.set _ZL29rocblas_internal_gemmt_kernelIiLi16ELi32ELi8ELc84ELc84ELc76ELb0ELb0EddPKPKdPKPdEviT_T9_T10_S7_lS9_S7_lS8_T11_S7_li.num_vgpr, 44
	.set _ZL29rocblas_internal_gemmt_kernelIiLi16ELi32ELi8ELc84ELc84ELc76ELb0ELb0EddPKPKdPKPdEviT_T9_T10_S7_lS9_S7_lS8_T11_S7_li.num_agpr, 0
	.set _ZL29rocblas_internal_gemmt_kernelIiLi16ELi32ELi8ELc84ELc84ELc76ELb0ELb0EddPKPKdPKPdEviT_T9_T10_S7_lS9_S7_lS8_T11_S7_li.numbered_sgpr, 27
	.set _ZL29rocblas_internal_gemmt_kernelIiLi16ELi32ELi8ELc84ELc84ELc76ELb0ELb0EddPKPKdPKPdEviT_T9_T10_S7_lS9_S7_lS8_T11_S7_li.num_named_barrier, 0
	.set _ZL29rocblas_internal_gemmt_kernelIiLi16ELi32ELi8ELc84ELc84ELc76ELb0ELb0EddPKPKdPKPdEviT_T9_T10_S7_lS9_S7_lS8_T11_S7_li.private_seg_size, 0
	.set _ZL29rocblas_internal_gemmt_kernelIiLi16ELi32ELi8ELc84ELc84ELc76ELb0ELb0EddPKPKdPKPdEviT_T9_T10_S7_lS9_S7_lS8_T11_S7_li.uses_vcc, 1
	.set _ZL29rocblas_internal_gemmt_kernelIiLi16ELi32ELi8ELc84ELc84ELc76ELb0ELb0EddPKPKdPKPdEviT_T9_T10_S7_lS9_S7_lS8_T11_S7_li.uses_flat_scratch, 0
	.set _ZL29rocblas_internal_gemmt_kernelIiLi16ELi32ELi8ELc84ELc84ELc76ELb0ELb0EddPKPKdPKPdEviT_T9_T10_S7_lS9_S7_lS8_T11_S7_li.has_dyn_sized_stack, 0
	.set _ZL29rocblas_internal_gemmt_kernelIiLi16ELi32ELi8ELc84ELc84ELc76ELb0ELb0EddPKPKdPKPdEviT_T9_T10_S7_lS9_S7_lS8_T11_S7_li.has_recursion, 0
	.set _ZL29rocblas_internal_gemmt_kernelIiLi16ELi32ELi8ELc84ELc84ELc76ELb0ELb0EddPKPKdPKPdEviT_T9_T10_S7_lS9_S7_lS8_T11_S7_li.has_indirect_call, 0
	.section	.AMDGPU.csdata,"",@progbits
; Kernel info:
; codeLenInByte = 1656
; TotalNumSgprs: 29
; NumVgprs: 44
; ScratchSize: 0
; MemoryBound: 0
; FloatMode: 240
; IeeeMode: 1
; LDSByteSize: 4096 bytes/workgroup (compile time only)
; SGPRBlocks: 0
; VGPRBlocks: 5
; NumSGPRsForWavesPerEU: 29
; NumVGPRsForWavesPerEU: 44
; Occupancy: 16
; WaveLimiterHint : 1
; COMPUTE_PGM_RSRC2:SCRATCH_EN: 0
; COMPUTE_PGM_RSRC2:USER_SGPR: 6
; COMPUTE_PGM_RSRC2:TRAP_HANDLER: 0
; COMPUTE_PGM_RSRC2:TGID_X_EN: 1
; COMPUTE_PGM_RSRC2:TGID_Y_EN: 1
; COMPUTE_PGM_RSRC2:TGID_Z_EN: 1
; COMPUTE_PGM_RSRC2:TIDIG_COMP_CNT: 1
	.section	.text._ZL29rocblas_internal_gemmt_kernelIiLi16ELi32ELi8ELc84ELc67ELc76ELb0ELb0EddPKPKdPKPdEviT_T9_T10_S7_lS9_S7_lS8_T11_S7_li,"axG",@progbits,_ZL29rocblas_internal_gemmt_kernelIiLi16ELi32ELi8ELc84ELc67ELc76ELb0ELb0EddPKPKdPKPdEviT_T9_T10_S7_lS9_S7_lS8_T11_S7_li,comdat
	.globl	_ZL29rocblas_internal_gemmt_kernelIiLi16ELi32ELi8ELc84ELc67ELc76ELb0ELb0EddPKPKdPKPdEviT_T9_T10_S7_lS9_S7_lS8_T11_S7_li ; -- Begin function _ZL29rocblas_internal_gemmt_kernelIiLi16ELi32ELi8ELc84ELc67ELc76ELb0ELb0EddPKPKdPKPdEviT_T9_T10_S7_lS9_S7_lS8_T11_S7_li
	.p2align	8
	.type	_ZL29rocblas_internal_gemmt_kernelIiLi16ELi32ELi8ELc84ELc67ELc76ELb0ELb0EddPKPKdPKPdEviT_T9_T10_S7_lS9_S7_lS8_T11_S7_li,@function
_ZL29rocblas_internal_gemmt_kernelIiLi16ELi32ELi8ELc84ELc67ELc76ELb0ELb0EddPKPKdPKPdEviT_T9_T10_S7_lS9_S7_lS8_T11_S7_li: ; @_ZL29rocblas_internal_gemmt_kernelIiLi16ELi32ELi8ELc84ELc67ELc76ELb0ELb0EddPKPKdPKPdEviT_T9_T10_S7_lS9_S7_lS8_T11_S7_li
; %bb.0:
	s_clause 0x2
	s_load_dwordx4 s[12:15], s[4:5], 0x38
	s_load_dwordx2 s[2:3], s[4:5], 0x0
	s_load_dwordx4 s[16:19], s[4:5], 0x8
	s_waitcnt lgkmcnt(0)
	v_cmp_neq_f64_e64 s0, s[14:15], 1.0
	s_and_b32 vcc_lo, exec_lo, s0
	s_cbranch_vccnz .LBB356_2
; %bb.1:
	v_cmp_neq_f64_e64 s0, s[16:17], 0
	s_cmp_lg_u32 s3, 0
	s_cselect_b32 s1, -1, 0
	s_and_b32 s0, s1, s0
.LBB356_2:
	s_andn2_b32 vcc_lo, exec_lo, s0
	s_cbranch_vccnz .LBB356_26
; %bb.3:
	s_load_dwordx2 s[0:1], s[4:5], 0x48
	s_mov_b32 s9, 0
	v_cmp_eq_f64_e64 s20, s[16:17], 0
	s_lshl_b64 s[24:25], s[8:9], 3
	v_mov_b32_e32 v12, 0
	v_mov_b32_e32 v6, 0
	;; [unrolled: 1-line block ×8, first 2 shown]
	s_waitcnt lgkmcnt(0)
	s_add_u32 s0, s0, s24
	s_addc_u32 s1, s1, s25
	s_lshl_b32 s8, s6, 5
	s_load_dwordx2 s[10:11], s[0:1], 0x0
	s_lshl_b32 s26, s7, 5
	s_cmp_lt_i32 s3, 1
	s_cselect_b32 s0, -1, 0
	s_or_b32 s0, s20, s0
	s_and_b32 vcc_lo, exec_lo, s0
	s_cbranch_vccnz .LBB356_10
; %bb.4:
	s_clause 0x2
	s_load_dword s6, s[4:5], 0x30
	s_load_dword s1, s[4:5], 0x18
	s_load_dwordx4 s[20:23], s[4:5], 0x20
	v_lshl_add_u32 v2, v1, 4, v0
	v_and_b32_e32 v18, 7, v0
	v_mov_b32_e32 v12, 0
	v_lshlrev_b32_e32 v22, 3, v0
	v_lshl_add_u32 v23, v1, 6, 0x800
	v_and_b32_e32 v3, 31, v2
	v_lshrrev_b32_e32 v4, 3, v2
	v_lshlrev_b32_e32 v5, 3, v18
	v_lshrrev_b32_e32 v19, 5, v2
	v_mov_b32_e32 v13, 0
	v_or_b32_e32 v6, s8, v3
	v_lshlrev_b32_e32 v7, 3, v3
	v_add_nc_u32_e32 v2, s26, v4
	v_lshl_or_b32 v4, v4, 6, v5
	v_add_nc_u32_e32 v3, s8, v3
	v_cmp_gt_i32_e32 vcc_lo, s2, v6
	v_lshl_or_b32 v20, v19, 8, v7
	v_lshlrev_b32_e32 v8, 3, v19
	v_add_nc_u32_e32 v21, 0x800, v4
	s_waitcnt lgkmcnt(0)
	s_ashr_i32 s7, s6, 31
	v_mad_i64_i32 v[4:5], null, s1, v3, 0
	s_add_u32 s22, s22, s24
	s_addc_u32 s23, s23, s25
	s_add_u32 s18, s18, s24
	s_addc_u32 s19, s19, s25
	s_load_dwordx2 s[22:23], s[22:23], 0x0
	s_load_dwordx2 s[18:19], s[18:19], 0x0
	v_mad_i64_i32 v[6:7], null, s6, v18, 0
	v_lshlrev_b64 v[4:5], 3, v[4:5]
	s_lshl_b64 s[20:21], s[20:21], 3
	v_ashrrev_i32_e32 v3, 31, v2
	s_lshl_b64 s[12:13], s[12:13], 3
	v_cmp_gt_i32_e64 s0, s2, v2
	s_lshl_b64 s[6:7], s[6:7], 6
	v_add_co_u32 v9, s1, v4, s20
	v_add_co_ci_u32_e64 v10, null, s21, v5, s1
	v_lshlrev_b64 v[4:5], 3, v[6:7]
	v_add_co_u32 v6, s1, v9, v8
	v_lshlrev_b64 v[2:3], 3, v[2:3]
	v_add_co_ci_u32_e64 v7, null, 0, v10, s1
	v_add_co_u32 v4, s1, v4, s12
	v_add_co_ci_u32_e64 v5, null, s13, v5, s1
	s_waitcnt lgkmcnt(0)
	v_add_co_u32 v8, s1, s18, v6
	v_add_co_ci_u32_e64 v9, null, s19, v7, s1
	v_add_co_u32 v10, s1, v4, v2
	v_add_co_ci_u32_e64 v11, null, v5, v3, s1
	v_mov_b32_e32 v2, 0
	v_add_co_u32 v10, s1, s22, v10
	v_mov_b32_e32 v4, 0
	v_mov_b32_e32 v6, 0
	v_mov_b32_e32 v3, 0
	v_mov_b32_e32 v5, 0
	v_mov_b32_e32 v7, 0
	v_add_co_ci_u32_e64 v11, null, s23, v11, s1
	s_branch .LBB356_6
.LBB356_5:                              ;   in Loop: Header=BB356_6 Depth=1
	s_or_b32 exec_lo, exec_lo, s1
	s_waitcnt vmcnt(0) lgkmcnt(0)
	ds_write_b64 v21, v[16:17]
	s_waitcnt lgkmcnt(0)
	s_barrier
	buffer_gl0_inv
	ds_read_b128 v[14:17], v23
	ds_read2_b64 v[24:27], v22 offset1:16
	ds_read_b128 v[28:31], v23 offset:1024
	ds_read_b128 v[32:35], v23 offset:16
	ds_read2_b64 v[36:39], v22 offset0:32 offset1:48
	ds_read_b128 v[40:43], v23 offset:1040
	v_add_co_u32 v8, s1, v8, 64
	v_add_co_ci_u32_e64 v9, null, 0, v9, s1
	v_add_co_u32 v10, s1, v10, s6
	v_add_co_ci_u32_e64 v11, null, s7, v11, s1
	s_add_i32 s9, s9, 8
	s_cmp_lt_i32 s9, s3
	s_waitcnt lgkmcnt(4)
	v_fma_f64 v[12:13], v[24:25], v[14:15], v[12:13]
	v_fma_f64 v[6:7], v[26:27], v[14:15], v[6:7]
	s_waitcnt lgkmcnt(3)
	v_fma_f64 v[14:15], v[24:25], v[28:29], v[4:5]
	v_fma_f64 v[24:25], v[26:27], v[28:29], v[2:3]
	ds_read2_b64 v[2:5], v22 offset0:64 offset1:80
	s_waitcnt lgkmcnt(2)
	v_fma_f64 v[26:27], v[36:37], v[16:17], v[12:13]
	v_fma_f64 v[6:7], v[38:39], v[16:17], v[6:7]
	;; [unrolled: 1-line block ×4, first 2 shown]
	ds_read2_b64 v[12:15], v22 offset0:96 offset1:112
	s_waitcnt lgkmcnt(1)
	v_fma_f64 v[28:29], v[2:3], v[32:33], v[26:27]
	v_fma_f64 v[6:7], v[4:5], v[32:33], v[6:7]
	;; [unrolled: 1-line block ×4, first 2 shown]
	ds_read_b128 v[2:5], v23 offset:32
	ds_read2_b64 v[24:27], v22 offset0:128 offset1:144
	s_waitcnt lgkmcnt(2)
	v_fma_f64 v[40:41], v[12:13], v[34:35], v[28:29]
	v_fma_f64 v[6:7], v[14:15], v[34:35], v[6:7]
	;; [unrolled: 1-line block ×4, first 2 shown]
	ds_read_b128 v[12:15], v23 offset:1056
	ds_read_b128 v[28:31], v23 offset:48
	ds_read2_b64 v[32:35], v22 offset0:160 offset1:176
	ds_read_b128 v[36:39], v23 offset:1072
	s_waitcnt lgkmcnt(4)
	v_fma_f64 v[40:41], v[24:25], v[2:3], v[40:41]
	v_fma_f64 v[2:3], v[26:27], v[2:3], v[6:7]
	s_waitcnt lgkmcnt(3)
	v_fma_f64 v[6:7], v[24:25], v[12:13], v[16:17]
	v_fma_f64 v[12:13], v[26:27], v[12:13], v[42:43]
	ds_read2_b64 v[24:27], v22 offset0:192 offset1:208
	s_waitcnt lgkmcnt(2)
	v_fma_f64 v[40:41], v[32:33], v[4:5], v[40:41]
	v_fma_f64 v[2:3], v[34:35], v[4:5], v[2:3]
	;; [unrolled: 1-line block ×4, first 2 shown]
	ds_read2_b64 v[14:17], v22 offset0:224 offset1:240
	s_waitcnt lgkmcnt(0)
	s_barrier
	buffer_gl0_inv
	v_fma_f64 v[12:13], v[24:25], v[28:29], v[40:41]
	v_fma_f64 v[2:3], v[26:27], v[28:29], v[2:3]
	;; [unrolled: 1-line block ×8, first 2 shown]
	s_cbranch_scc0 .LBB356_10
.LBB356_6:                              ; =>This Inner Loop Header: Depth=1
	v_add_nc_u32_e32 v14, s9, v19
	v_cmp_gt_i32_e64 s1, s3, v14
	v_mov_b32_e32 v14, 0
	v_mov_b32_e32 v15, 0
	s_and_b32 s12, vcc_lo, s1
	s_and_saveexec_b32 s1, s12
	s_cbranch_execz .LBB356_8
; %bb.7:                                ;   in Loop: Header=BB356_6 Depth=1
	flat_load_dwordx2 v[14:15], v[8:9]
.LBB356_8:                              ;   in Loop: Header=BB356_6 Depth=1
	s_or_b32 exec_lo, exec_lo, s1
	v_add_nc_u32_e32 v16, s9, v18
	s_waitcnt vmcnt(0) lgkmcnt(0)
	ds_write_b64 v20, v[14:15]
	v_cmp_gt_i32_e64 s1, s3, v16
	v_mov_b32_e32 v16, 0
	v_mov_b32_e32 v17, 0
	s_and_b32 s12, s1, s0
	s_and_saveexec_b32 s1, s12
	s_cbranch_execz .LBB356_5
; %bb.9:                                ;   in Loop: Header=BB356_6 Depth=1
	flat_load_dwordx2 v[16:17], v[10:11]
	s_branch .LBB356_5
.LBB356_10:
	s_clause 0x1
	s_load_dword s3, s[4:5], 0x50
	s_load_dwordx2 s[4:5], s[4:5], 0x58
	v_cmp_neq_f64_e64 s6, s[14:15], 0
	v_add_nc_u32_e32 v15, s26, v1
	v_add_nc_u32_e32 v0, s8, v0
	v_cmp_le_i32_e32 vcc_lo, v15, v0
	v_cmp_gt_i32_e64 s0, s2, v0
	v_ashrrev_i32_e32 v1, 31, v0
	s_waitcnt lgkmcnt(0)
	v_mad_i64_i32 v[8:9], null, v15, s3, 0
	s_lshl_b64 s[4:5], s[4:5], 3
	s_add_u32 s4, s10, s4
	s_addc_u32 s5, s11, s5
	v_cndmask_b32_e64 v14, 0, 1, s6
	s_and_b32 s7, vcc_lo, s0
	v_lshlrev_b64 v[8:9], 3, v[8:9]
	v_add_co_u32 v16, s1, s4, v8
	v_add_co_ci_u32_e64 v17, null, s5, v9, s1
	s_and_saveexec_b32 s1, s7
	s_cbranch_execz .LBB356_14
; %bb.11:
	v_mul_f64 v[8:9], s[16:17], v[12:13]
	v_lshlrev_b64 v[10:11], 3, v[0:1]
	v_add_co_u32 v10, vcc_lo, v16, v10
	v_add_co_ci_u32_e64 v11, null, v17, v11, vcc_lo
	s_andn2_b32 vcc_lo, exec_lo, s6
	s_cbranch_vccnz .LBB356_13
; %bb.12:
	flat_load_dwordx2 v[12:13], v[10:11]
	s_waitcnt vmcnt(0) lgkmcnt(0)
	v_fma_f64 v[8:9], s[14:15], v[12:13], v[8:9]
.LBB356_13:
	flat_store_dwordx2 v[10:11], v[8:9]
.LBB356_14:
	s_or_b32 exec_lo, exec_lo, s1
	v_add_nc_u32_e32 v8, 16, v0
	v_cmp_le_i32_e32 vcc_lo, v15, v8
	v_cmp_gt_i32_e64 s1, s2, v8
	v_ashrrev_i32_e32 v9, 31, v8
	s_and_b32 s2, vcc_lo, s1
	s_and_saveexec_b32 s6, s2
	s_cbranch_execz .LBB356_18
; %bb.15:
	v_mul_f64 v[6:7], s[16:17], v[6:7]
	v_lshlrev_b64 v[10:11], 3, v[8:9]
	v_cmp_ne_u32_e32 vcc_lo, 1, v14
	v_add_co_u32 v10, s2, v16, v10
	v_add_co_ci_u32_e64 v11, null, v17, v11, s2
	s_cbranch_vccnz .LBB356_17
; %bb.16:
	flat_load_dwordx2 v[12:13], v[10:11]
	s_waitcnt vmcnt(0) lgkmcnt(0)
	v_fma_f64 v[6:7], s[14:15], v[12:13], v[6:7]
.LBB356_17:
	flat_store_dwordx2 v[10:11], v[6:7]
.LBB356_18:
	s_or_b32 exec_lo, exec_lo, s6
	v_add_nc_u32_e32 v10, 16, v15
	v_mad_i64_i32 v[6:7], null, v10, s3, 0
	v_cmp_le_i32_e32 vcc_lo, v10, v0
	s_and_b32 s0, vcc_lo, s0
	v_lshlrev_b64 v[6:7], 3, v[6:7]
	v_add_co_u32 v6, s2, s4, v6
	v_add_co_ci_u32_e64 v7, null, s5, v7, s2
	s_and_saveexec_b32 s2, s0
	s_cbranch_execz .LBB356_22
; %bb.19:
	v_mul_f64 v[4:5], s[16:17], v[4:5]
	v_lshlrev_b64 v[0:1], 3, v[0:1]
	v_cmp_ne_u32_e32 vcc_lo, 1, v14
	v_add_co_u32 v0, s0, v6, v0
	v_add_co_ci_u32_e64 v1, null, v7, v1, s0
	s_cbranch_vccnz .LBB356_21
; %bb.20:
	flat_load_dwordx2 v[11:12], v[0:1]
	s_waitcnt vmcnt(0) lgkmcnt(0)
	v_fma_f64 v[4:5], s[14:15], v[11:12], v[4:5]
.LBB356_21:
	flat_store_dwordx2 v[0:1], v[4:5]
.LBB356_22:
	s_or_b32 exec_lo, exec_lo, s2
	v_cmp_le_i32_e32 vcc_lo, v10, v8
	s_and_b32 s0, vcc_lo, s1
	s_and_saveexec_b32 s1, s0
	s_cbranch_execz .LBB356_26
; %bb.23:
	v_mul_f64 v[0:1], s[16:17], v[2:3]
	v_lshlrev_b64 v[2:3], 3, v[8:9]
	v_cmp_ne_u32_e32 vcc_lo, 1, v14
	v_add_co_u32 v2, s0, v6, v2
	v_add_co_ci_u32_e64 v3, null, v7, v3, s0
	s_cbranch_vccnz .LBB356_25
; %bb.24:
	flat_load_dwordx2 v[4:5], v[2:3]
	s_waitcnt vmcnt(0) lgkmcnt(0)
	v_fma_f64 v[0:1], s[14:15], v[4:5], v[0:1]
.LBB356_25:
	flat_store_dwordx2 v[2:3], v[0:1]
.LBB356_26:
	s_endpgm
	.section	.rodata,"a",@progbits
	.p2align	6, 0x0
	.amdhsa_kernel _ZL29rocblas_internal_gemmt_kernelIiLi16ELi32ELi8ELc84ELc67ELc76ELb0ELb0EddPKPKdPKPdEviT_T9_T10_S7_lS9_S7_lS8_T11_S7_li
		.amdhsa_group_segment_fixed_size 4096
		.amdhsa_private_segment_fixed_size 0
		.amdhsa_kernarg_size 100
		.amdhsa_user_sgpr_count 6
		.amdhsa_user_sgpr_private_segment_buffer 1
		.amdhsa_user_sgpr_dispatch_ptr 0
		.amdhsa_user_sgpr_queue_ptr 0
		.amdhsa_user_sgpr_kernarg_segment_ptr 1
		.amdhsa_user_sgpr_dispatch_id 0
		.amdhsa_user_sgpr_flat_scratch_init 0
		.amdhsa_user_sgpr_private_segment_size 0
		.amdhsa_wavefront_size32 1
		.amdhsa_uses_dynamic_stack 0
		.amdhsa_system_sgpr_private_segment_wavefront_offset 0
		.amdhsa_system_sgpr_workgroup_id_x 1
		.amdhsa_system_sgpr_workgroup_id_y 1
		.amdhsa_system_sgpr_workgroup_id_z 1
		.amdhsa_system_sgpr_workgroup_info 0
		.amdhsa_system_vgpr_workitem_id 1
		.amdhsa_next_free_vgpr 44
		.amdhsa_next_free_sgpr 27
		.amdhsa_reserve_vcc 1
		.amdhsa_reserve_flat_scratch 0
		.amdhsa_float_round_mode_32 0
		.amdhsa_float_round_mode_16_64 0
		.amdhsa_float_denorm_mode_32 3
		.amdhsa_float_denorm_mode_16_64 3
		.amdhsa_dx10_clamp 1
		.amdhsa_ieee_mode 1
		.amdhsa_fp16_overflow 0
		.amdhsa_workgroup_processor_mode 1
		.amdhsa_memory_ordered 1
		.amdhsa_forward_progress 1
		.amdhsa_shared_vgpr_count 0
		.amdhsa_exception_fp_ieee_invalid_op 0
		.amdhsa_exception_fp_denorm_src 0
		.amdhsa_exception_fp_ieee_div_zero 0
		.amdhsa_exception_fp_ieee_overflow 0
		.amdhsa_exception_fp_ieee_underflow 0
		.amdhsa_exception_fp_ieee_inexact 0
		.amdhsa_exception_int_div_zero 0
	.end_amdhsa_kernel
	.section	.text._ZL29rocblas_internal_gemmt_kernelIiLi16ELi32ELi8ELc84ELc67ELc76ELb0ELb0EddPKPKdPKPdEviT_T9_T10_S7_lS9_S7_lS8_T11_S7_li,"axG",@progbits,_ZL29rocblas_internal_gemmt_kernelIiLi16ELi32ELi8ELc84ELc67ELc76ELb0ELb0EddPKPKdPKPdEviT_T9_T10_S7_lS9_S7_lS8_T11_S7_li,comdat
.Lfunc_end356:
	.size	_ZL29rocblas_internal_gemmt_kernelIiLi16ELi32ELi8ELc84ELc67ELc76ELb0ELb0EddPKPKdPKPdEviT_T9_T10_S7_lS9_S7_lS8_T11_S7_li, .Lfunc_end356-_ZL29rocblas_internal_gemmt_kernelIiLi16ELi32ELi8ELc84ELc67ELc76ELb0ELb0EddPKPKdPKPdEviT_T9_T10_S7_lS9_S7_lS8_T11_S7_li
                                        ; -- End function
	.set _ZL29rocblas_internal_gemmt_kernelIiLi16ELi32ELi8ELc84ELc67ELc76ELb0ELb0EddPKPKdPKPdEviT_T9_T10_S7_lS9_S7_lS8_T11_S7_li.num_vgpr, 44
	.set _ZL29rocblas_internal_gemmt_kernelIiLi16ELi32ELi8ELc84ELc67ELc76ELb0ELb0EddPKPKdPKPdEviT_T9_T10_S7_lS9_S7_lS8_T11_S7_li.num_agpr, 0
	.set _ZL29rocblas_internal_gemmt_kernelIiLi16ELi32ELi8ELc84ELc67ELc76ELb0ELb0EddPKPKdPKPdEviT_T9_T10_S7_lS9_S7_lS8_T11_S7_li.numbered_sgpr, 27
	.set _ZL29rocblas_internal_gemmt_kernelIiLi16ELi32ELi8ELc84ELc67ELc76ELb0ELb0EddPKPKdPKPdEviT_T9_T10_S7_lS9_S7_lS8_T11_S7_li.num_named_barrier, 0
	.set _ZL29rocblas_internal_gemmt_kernelIiLi16ELi32ELi8ELc84ELc67ELc76ELb0ELb0EddPKPKdPKPdEviT_T9_T10_S7_lS9_S7_lS8_T11_S7_li.private_seg_size, 0
	.set _ZL29rocblas_internal_gemmt_kernelIiLi16ELi32ELi8ELc84ELc67ELc76ELb0ELb0EddPKPKdPKPdEviT_T9_T10_S7_lS9_S7_lS8_T11_S7_li.uses_vcc, 1
	.set _ZL29rocblas_internal_gemmt_kernelIiLi16ELi32ELi8ELc84ELc67ELc76ELb0ELb0EddPKPKdPKPdEviT_T9_T10_S7_lS9_S7_lS8_T11_S7_li.uses_flat_scratch, 0
	.set _ZL29rocblas_internal_gemmt_kernelIiLi16ELi32ELi8ELc84ELc67ELc76ELb0ELb0EddPKPKdPKPdEviT_T9_T10_S7_lS9_S7_lS8_T11_S7_li.has_dyn_sized_stack, 0
	.set _ZL29rocblas_internal_gemmt_kernelIiLi16ELi32ELi8ELc84ELc67ELc76ELb0ELb0EddPKPKdPKPdEviT_T9_T10_S7_lS9_S7_lS8_T11_S7_li.has_recursion, 0
	.set _ZL29rocblas_internal_gemmt_kernelIiLi16ELi32ELi8ELc84ELc67ELc76ELb0ELb0EddPKPKdPKPdEviT_T9_T10_S7_lS9_S7_lS8_T11_S7_li.has_indirect_call, 0
	.section	.AMDGPU.csdata,"",@progbits
; Kernel info:
; codeLenInByte = 1656
; TotalNumSgprs: 29
; NumVgprs: 44
; ScratchSize: 0
; MemoryBound: 0
; FloatMode: 240
; IeeeMode: 1
; LDSByteSize: 4096 bytes/workgroup (compile time only)
; SGPRBlocks: 0
; VGPRBlocks: 5
; NumSGPRsForWavesPerEU: 29
; NumVGPRsForWavesPerEU: 44
; Occupancy: 16
; WaveLimiterHint : 1
; COMPUTE_PGM_RSRC2:SCRATCH_EN: 0
; COMPUTE_PGM_RSRC2:USER_SGPR: 6
; COMPUTE_PGM_RSRC2:TRAP_HANDLER: 0
; COMPUTE_PGM_RSRC2:TGID_X_EN: 1
; COMPUTE_PGM_RSRC2:TGID_Y_EN: 1
; COMPUTE_PGM_RSRC2:TGID_Z_EN: 1
; COMPUTE_PGM_RSRC2:TIDIG_COMP_CNT: 1
	.section	.text._ZL29rocblas_internal_gemmt_kernelIiLi16ELi32ELi8ELc67ELc78ELc76ELb0ELb0EddPKPKdPKPdEviT_T9_T10_S7_lS9_S7_lS8_T11_S7_li,"axG",@progbits,_ZL29rocblas_internal_gemmt_kernelIiLi16ELi32ELi8ELc67ELc78ELc76ELb0ELb0EddPKPKdPKPdEviT_T9_T10_S7_lS9_S7_lS8_T11_S7_li,comdat
	.globl	_ZL29rocblas_internal_gemmt_kernelIiLi16ELi32ELi8ELc67ELc78ELc76ELb0ELb0EddPKPKdPKPdEviT_T9_T10_S7_lS9_S7_lS8_T11_S7_li ; -- Begin function _ZL29rocblas_internal_gemmt_kernelIiLi16ELi32ELi8ELc67ELc78ELc76ELb0ELb0EddPKPKdPKPdEviT_T9_T10_S7_lS9_S7_lS8_T11_S7_li
	.p2align	8
	.type	_ZL29rocblas_internal_gemmt_kernelIiLi16ELi32ELi8ELc67ELc78ELc76ELb0ELb0EddPKPKdPKPdEviT_T9_T10_S7_lS9_S7_lS8_T11_S7_li,@function
_ZL29rocblas_internal_gemmt_kernelIiLi16ELi32ELi8ELc67ELc78ELc76ELb0ELb0EddPKPKdPKPdEviT_T9_T10_S7_lS9_S7_lS8_T11_S7_li: ; @_ZL29rocblas_internal_gemmt_kernelIiLi16ELi32ELi8ELc67ELc78ELc76ELb0ELb0EddPKPKdPKPdEviT_T9_T10_S7_lS9_S7_lS8_T11_S7_li
; %bb.0:
	s_clause 0x2
	s_load_dwordx4 s[12:15], s[4:5], 0x38
	s_load_dwordx2 s[2:3], s[4:5], 0x0
	s_load_dwordx4 s[16:19], s[4:5], 0x8
	s_waitcnt lgkmcnt(0)
	v_cmp_neq_f64_e64 s0, s[14:15], 1.0
	s_and_b32 vcc_lo, exec_lo, s0
	s_cbranch_vccnz .LBB357_2
; %bb.1:
	v_cmp_neq_f64_e64 s0, s[16:17], 0
	s_cmp_lg_u32 s3, 0
	s_cselect_b32 s1, -1, 0
	s_and_b32 s0, s1, s0
.LBB357_2:
	s_andn2_b32 vcc_lo, exec_lo, s0
	s_cbranch_vccnz .LBB357_26
; %bb.3:
	s_load_dwordx2 s[10:11], s[4:5], 0x48
	s_mov_b32 s9, 0
	v_cmp_eq_f64_e64 s20, s[16:17], 0
	s_lshl_b64 s[0:1], s[8:9], 3
	v_mov_b32_e32 v12, 0
	v_mov_b32_e32 v6, 0
	;; [unrolled: 1-line block ×8, first 2 shown]
	s_waitcnt lgkmcnt(0)
	s_add_u32 s10, s10, s0
	s_addc_u32 s11, s11, s1
	s_lshl_b32 s6, s6, 5
	s_load_dwordx2 s[10:11], s[10:11], 0x0
	s_lshl_b32 s7, s7, 5
	s_cmp_lt_i32 s3, 1
	s_cselect_b32 s8, -1, 0
	s_or_b32 s8, s20, s8
	s_and_b32 vcc_lo, exec_lo, s8
	s_cbranch_vccnz .LBB357_10
; %bb.4:
	s_clause 0x2
	s_load_dword s8, s[4:5], 0x18
	s_load_dwordx4 s[20:23], s[4:5], 0x20
	s_load_dword s24, s[4:5], 0x30
	v_lshl_add_u32 v2, v1, 4, v0
	v_and_b32_e32 v18, 7, v0
	v_mov_b32_e32 v12, 0
	v_lshlrev_b32_e32 v19, 3, v0
	v_lshl_add_u32 v20, v1, 6, 0x800
	v_and_b32_e32 v4, 31, v2
	v_lshrrev_b32_e32 v3, 3, v2
	v_lshrrev_b32_e32 v21, 5, v2
	v_lshlrev_b32_e32 v6, 3, v18
	v_mov_b32_e32 v13, 0
	v_or_b32_e32 v2, s6, v4
	v_lshlrev_b32_e32 v7, 3, v4
	v_add_nc_u32_e32 v4, s6, v4
	v_add_nc_u32_e32 v5, s7, v3
	v_lshl_or_b32 v8, v3, 6, v6
	v_cmp_gt_i32_e32 vcc_lo, s2, v2
	v_lshl_or_b32 v22, v21, 8, v7
	s_waitcnt lgkmcnt(0)
	v_mad_i64_i32 v[2:3], null, s8, v4, 0
	s_add_u32 s22, s22, s0
	s_addc_u32 s23, s23, s1
	s_add_u32 s18, s18, s0
	s_addc_u32 s19, s19, s1
	v_cmp_gt_i32_e64 s0, s2, v5
	s_load_dwordx2 s[18:19], s[18:19], 0x0
	v_lshlrev_b64 v[2:3], 3, v[2:3]
	v_mad_i64_i32 v[4:5], null, s24, v5, 0
	s_load_dwordx2 s[22:23], s[22:23], 0x0
	s_lshl_b64 s[20:21], s[20:21], 3
	v_lshlrev_b32_e32 v9, 3, v21
	v_add_co_u32 v7, s1, v2, s20
	v_add_nc_u32_e32 v23, 0x800, v8
	v_add_co_ci_u32_e64 v8, null, s21, v3, s1
	v_lshlrev_b64 v[2:3], 3, v[4:5]
	v_add_co_u32 v4, s1, v7, v9
	s_lshl_b64 s[12:13], s[12:13], 3
	v_add_co_ci_u32_e64 v5, null, 0, v8, s1
	v_add_co_u32 v2, s1, v2, s12
	v_add_co_ci_u32_e64 v3, null, s13, v3, s1
	s_waitcnt lgkmcnt(0)
	v_add_co_u32 v8, s1, s18, v4
	v_add_co_ci_u32_e64 v9, null, s19, v5, s1
	v_add_co_u32 v10, s1, v2, v6
	v_add_co_ci_u32_e64 v11, null, 0, v3, s1
	v_mov_b32_e32 v2, 0
	v_add_co_u32 v10, s1, s22, v10
	v_mov_b32_e32 v4, 0
	v_mov_b32_e32 v6, 0
	;; [unrolled: 1-line block ×5, first 2 shown]
	v_add_co_ci_u32_e64 v11, null, s23, v11, s1
	s_branch .LBB357_6
.LBB357_5:                              ;   in Loop: Header=BB357_6 Depth=1
	s_or_b32 exec_lo, exec_lo, s1
	s_waitcnt vmcnt(0) lgkmcnt(0)
	ds_write_b64 v23, v[16:17]
	s_waitcnt lgkmcnt(0)
	s_barrier
	buffer_gl0_inv
	ds_read_b128 v[14:17], v20
	ds_read2_b64 v[24:27], v19 offset1:16
	ds_read_b128 v[28:31], v20 offset:1024
	ds_read_b128 v[32:35], v20 offset:16
	ds_read2_b64 v[36:39], v19 offset0:32 offset1:48
	ds_read_b128 v[40:43], v20 offset:1040
	v_add_co_u32 v8, s1, v8, 64
	v_add_co_ci_u32_e64 v9, null, 0, v9, s1
	v_add_co_u32 v10, s1, v10, 64
	v_add_co_ci_u32_e64 v11, null, 0, v11, s1
	s_add_i32 s9, s9, 8
	s_cmp_lt_i32 s9, s3
	s_waitcnt lgkmcnt(4)
	v_fma_f64 v[12:13], v[24:25], v[14:15], v[12:13]
	v_fma_f64 v[6:7], v[26:27], v[14:15], v[6:7]
	s_waitcnt lgkmcnt(3)
	v_fma_f64 v[14:15], v[24:25], v[28:29], v[4:5]
	v_fma_f64 v[24:25], v[26:27], v[28:29], v[2:3]
	ds_read2_b64 v[2:5], v19 offset0:64 offset1:80
	s_waitcnt lgkmcnt(2)
	v_fma_f64 v[26:27], v[36:37], v[16:17], v[12:13]
	v_fma_f64 v[6:7], v[38:39], v[16:17], v[6:7]
	;; [unrolled: 1-line block ×4, first 2 shown]
	ds_read2_b64 v[12:15], v19 offset0:96 offset1:112
	s_waitcnt lgkmcnt(1)
	v_fma_f64 v[28:29], v[2:3], v[32:33], v[26:27]
	v_fma_f64 v[6:7], v[4:5], v[32:33], v[6:7]
	;; [unrolled: 1-line block ×4, first 2 shown]
	ds_read_b128 v[2:5], v20 offset:32
	ds_read2_b64 v[24:27], v19 offset0:128 offset1:144
	s_waitcnt lgkmcnt(2)
	v_fma_f64 v[40:41], v[12:13], v[34:35], v[28:29]
	v_fma_f64 v[6:7], v[14:15], v[34:35], v[6:7]
	;; [unrolled: 1-line block ×4, first 2 shown]
	ds_read_b128 v[12:15], v20 offset:1056
	ds_read_b128 v[28:31], v20 offset:48
	ds_read2_b64 v[32:35], v19 offset0:160 offset1:176
	ds_read_b128 v[36:39], v20 offset:1072
	s_waitcnt lgkmcnt(4)
	v_fma_f64 v[40:41], v[24:25], v[2:3], v[40:41]
	v_fma_f64 v[2:3], v[26:27], v[2:3], v[6:7]
	s_waitcnt lgkmcnt(3)
	v_fma_f64 v[6:7], v[24:25], v[12:13], v[16:17]
	v_fma_f64 v[12:13], v[26:27], v[12:13], v[42:43]
	ds_read2_b64 v[24:27], v19 offset0:192 offset1:208
	s_waitcnt lgkmcnt(2)
	v_fma_f64 v[40:41], v[32:33], v[4:5], v[40:41]
	v_fma_f64 v[2:3], v[34:35], v[4:5], v[2:3]
	v_fma_f64 v[4:5], v[32:33], v[14:15], v[6:7]
	v_fma_f64 v[6:7], v[34:35], v[14:15], v[12:13]
	ds_read2_b64 v[14:17], v19 offset0:224 offset1:240
	s_waitcnt lgkmcnt(0)
	s_barrier
	buffer_gl0_inv
	v_fma_f64 v[12:13], v[24:25], v[28:29], v[40:41]
	v_fma_f64 v[2:3], v[26:27], v[28:29], v[2:3]
	;; [unrolled: 1-line block ×8, first 2 shown]
	s_cbranch_scc0 .LBB357_10
.LBB357_6:                              ; =>This Inner Loop Header: Depth=1
	v_add_nc_u32_e32 v14, s9, v21
	v_cmp_gt_i32_e64 s1, s3, v14
	v_mov_b32_e32 v14, 0
	v_mov_b32_e32 v15, 0
	s_and_b32 s8, vcc_lo, s1
	s_and_saveexec_b32 s1, s8
	s_cbranch_execz .LBB357_8
; %bb.7:                                ;   in Loop: Header=BB357_6 Depth=1
	flat_load_dwordx2 v[14:15], v[8:9]
.LBB357_8:                              ;   in Loop: Header=BB357_6 Depth=1
	s_or_b32 exec_lo, exec_lo, s1
	v_add_nc_u32_e32 v16, s9, v18
	s_waitcnt vmcnt(0) lgkmcnt(0)
	ds_write_b64 v22, v[14:15]
	v_cmp_gt_i32_e64 s1, s3, v16
	v_mov_b32_e32 v16, 0
	v_mov_b32_e32 v17, 0
	s_and_b32 s8, s1, s0
	s_and_saveexec_b32 s1, s8
	s_cbranch_execz .LBB357_5
; %bb.9:                                ;   in Loop: Header=BB357_6 Depth=1
	flat_load_dwordx2 v[16:17], v[10:11]
	s_branch .LBB357_5
.LBB357_10:
	s_clause 0x1
	s_load_dword s3, s[4:5], 0x50
	s_load_dwordx2 s[4:5], s[4:5], 0x58
	v_add_nc_u32_e32 v0, s6, v0
	v_cmp_neq_f64_e64 s6, s[14:15], 0
	v_add_nc_u32_e32 v15, s7, v1
	v_cmp_gt_i32_e64 s0, s2, v0
	v_ashrrev_i32_e32 v1, 31, v0
	v_cmp_le_i32_e32 vcc_lo, v15, v0
	s_waitcnt lgkmcnt(0)
	v_mad_i64_i32 v[8:9], null, v15, s3, 0
	s_lshl_b64 s[4:5], s[4:5], 3
	s_add_u32 s4, s10, s4
	s_addc_u32 s5, s11, s5
	v_cndmask_b32_e64 v14, 0, 1, s6
	s_and_b32 s7, vcc_lo, s0
	v_lshlrev_b64 v[8:9], 3, v[8:9]
	v_add_co_u32 v16, s1, s4, v8
	v_add_co_ci_u32_e64 v17, null, s5, v9, s1
	s_and_saveexec_b32 s1, s7
	s_cbranch_execz .LBB357_14
; %bb.11:
	v_mul_f64 v[8:9], s[16:17], v[12:13]
	v_lshlrev_b64 v[10:11], 3, v[0:1]
	v_add_co_u32 v10, vcc_lo, v16, v10
	v_add_co_ci_u32_e64 v11, null, v17, v11, vcc_lo
	s_andn2_b32 vcc_lo, exec_lo, s6
	s_cbranch_vccnz .LBB357_13
; %bb.12:
	flat_load_dwordx2 v[12:13], v[10:11]
	s_waitcnt vmcnt(0) lgkmcnt(0)
	v_fma_f64 v[8:9], s[14:15], v[12:13], v[8:9]
.LBB357_13:
	flat_store_dwordx2 v[10:11], v[8:9]
.LBB357_14:
	s_or_b32 exec_lo, exec_lo, s1
	v_add_nc_u32_e32 v8, 16, v0
	v_cmp_le_i32_e32 vcc_lo, v15, v8
	v_cmp_gt_i32_e64 s1, s2, v8
	v_ashrrev_i32_e32 v9, 31, v8
	s_and_b32 s2, vcc_lo, s1
	s_and_saveexec_b32 s6, s2
	s_cbranch_execz .LBB357_18
; %bb.15:
	v_mul_f64 v[6:7], s[16:17], v[6:7]
	v_lshlrev_b64 v[10:11], 3, v[8:9]
	v_cmp_ne_u32_e32 vcc_lo, 1, v14
	v_add_co_u32 v10, s2, v16, v10
	v_add_co_ci_u32_e64 v11, null, v17, v11, s2
	s_cbranch_vccnz .LBB357_17
; %bb.16:
	flat_load_dwordx2 v[12:13], v[10:11]
	s_waitcnt vmcnt(0) lgkmcnt(0)
	v_fma_f64 v[6:7], s[14:15], v[12:13], v[6:7]
.LBB357_17:
	flat_store_dwordx2 v[10:11], v[6:7]
.LBB357_18:
	s_or_b32 exec_lo, exec_lo, s6
	v_add_nc_u32_e32 v10, 16, v15
	v_mad_i64_i32 v[6:7], null, v10, s3, 0
	v_cmp_le_i32_e32 vcc_lo, v10, v0
	s_and_b32 s0, vcc_lo, s0
	v_lshlrev_b64 v[6:7], 3, v[6:7]
	v_add_co_u32 v6, s2, s4, v6
	v_add_co_ci_u32_e64 v7, null, s5, v7, s2
	s_and_saveexec_b32 s2, s0
	s_cbranch_execz .LBB357_22
; %bb.19:
	v_mul_f64 v[4:5], s[16:17], v[4:5]
	v_lshlrev_b64 v[0:1], 3, v[0:1]
	v_cmp_ne_u32_e32 vcc_lo, 1, v14
	v_add_co_u32 v0, s0, v6, v0
	v_add_co_ci_u32_e64 v1, null, v7, v1, s0
	s_cbranch_vccnz .LBB357_21
; %bb.20:
	flat_load_dwordx2 v[11:12], v[0:1]
	s_waitcnt vmcnt(0) lgkmcnt(0)
	v_fma_f64 v[4:5], s[14:15], v[11:12], v[4:5]
.LBB357_21:
	flat_store_dwordx2 v[0:1], v[4:5]
.LBB357_22:
	s_or_b32 exec_lo, exec_lo, s2
	v_cmp_le_i32_e32 vcc_lo, v10, v8
	s_and_b32 s0, vcc_lo, s1
	s_and_saveexec_b32 s1, s0
	s_cbranch_execz .LBB357_26
; %bb.23:
	v_mul_f64 v[0:1], s[16:17], v[2:3]
	v_lshlrev_b64 v[2:3], 3, v[8:9]
	v_cmp_ne_u32_e32 vcc_lo, 1, v14
	v_add_co_u32 v2, s0, v6, v2
	v_add_co_ci_u32_e64 v3, null, v7, v3, s0
	s_cbranch_vccnz .LBB357_25
; %bb.24:
	flat_load_dwordx2 v[4:5], v[2:3]
	s_waitcnt vmcnt(0) lgkmcnt(0)
	v_fma_f64 v[0:1], s[14:15], v[4:5], v[0:1]
.LBB357_25:
	flat_store_dwordx2 v[2:3], v[0:1]
.LBB357_26:
	s_endpgm
	.section	.rodata,"a",@progbits
	.p2align	6, 0x0
	.amdhsa_kernel _ZL29rocblas_internal_gemmt_kernelIiLi16ELi32ELi8ELc67ELc78ELc76ELb0ELb0EddPKPKdPKPdEviT_T9_T10_S7_lS9_S7_lS8_T11_S7_li
		.amdhsa_group_segment_fixed_size 4096
		.amdhsa_private_segment_fixed_size 0
		.amdhsa_kernarg_size 100
		.amdhsa_user_sgpr_count 6
		.amdhsa_user_sgpr_private_segment_buffer 1
		.amdhsa_user_sgpr_dispatch_ptr 0
		.amdhsa_user_sgpr_queue_ptr 0
		.amdhsa_user_sgpr_kernarg_segment_ptr 1
		.amdhsa_user_sgpr_dispatch_id 0
		.amdhsa_user_sgpr_flat_scratch_init 0
		.amdhsa_user_sgpr_private_segment_size 0
		.amdhsa_wavefront_size32 1
		.amdhsa_uses_dynamic_stack 0
		.amdhsa_system_sgpr_private_segment_wavefront_offset 0
		.amdhsa_system_sgpr_workgroup_id_x 1
		.amdhsa_system_sgpr_workgroup_id_y 1
		.amdhsa_system_sgpr_workgroup_id_z 1
		.amdhsa_system_sgpr_workgroup_info 0
		.amdhsa_system_vgpr_workitem_id 1
		.amdhsa_next_free_vgpr 44
		.amdhsa_next_free_sgpr 25
		.amdhsa_reserve_vcc 1
		.amdhsa_reserve_flat_scratch 0
		.amdhsa_float_round_mode_32 0
		.amdhsa_float_round_mode_16_64 0
		.amdhsa_float_denorm_mode_32 3
		.amdhsa_float_denorm_mode_16_64 3
		.amdhsa_dx10_clamp 1
		.amdhsa_ieee_mode 1
		.amdhsa_fp16_overflow 0
		.amdhsa_workgroup_processor_mode 1
		.amdhsa_memory_ordered 1
		.amdhsa_forward_progress 1
		.amdhsa_shared_vgpr_count 0
		.amdhsa_exception_fp_ieee_invalid_op 0
		.amdhsa_exception_fp_denorm_src 0
		.amdhsa_exception_fp_ieee_div_zero 0
		.amdhsa_exception_fp_ieee_overflow 0
		.amdhsa_exception_fp_ieee_underflow 0
		.amdhsa_exception_fp_ieee_inexact 0
		.amdhsa_exception_int_div_zero 0
	.end_amdhsa_kernel
	.section	.text._ZL29rocblas_internal_gemmt_kernelIiLi16ELi32ELi8ELc67ELc78ELc76ELb0ELb0EddPKPKdPKPdEviT_T9_T10_S7_lS9_S7_lS8_T11_S7_li,"axG",@progbits,_ZL29rocblas_internal_gemmt_kernelIiLi16ELi32ELi8ELc67ELc78ELc76ELb0ELb0EddPKPKdPKPdEviT_T9_T10_S7_lS9_S7_lS8_T11_S7_li,comdat
.Lfunc_end357:
	.size	_ZL29rocblas_internal_gemmt_kernelIiLi16ELi32ELi8ELc67ELc78ELc76ELb0ELb0EddPKPKdPKPdEviT_T9_T10_S7_lS9_S7_lS8_T11_S7_li, .Lfunc_end357-_ZL29rocblas_internal_gemmt_kernelIiLi16ELi32ELi8ELc67ELc78ELc76ELb0ELb0EddPKPKdPKPdEviT_T9_T10_S7_lS9_S7_lS8_T11_S7_li
                                        ; -- End function
	.set _ZL29rocblas_internal_gemmt_kernelIiLi16ELi32ELi8ELc67ELc78ELc76ELb0ELb0EddPKPKdPKPdEviT_T9_T10_S7_lS9_S7_lS8_T11_S7_li.num_vgpr, 44
	.set _ZL29rocblas_internal_gemmt_kernelIiLi16ELi32ELi8ELc67ELc78ELc76ELb0ELb0EddPKPKdPKPdEviT_T9_T10_S7_lS9_S7_lS8_T11_S7_li.num_agpr, 0
	.set _ZL29rocblas_internal_gemmt_kernelIiLi16ELi32ELi8ELc67ELc78ELc76ELb0ELb0EddPKPKdPKPdEviT_T9_T10_S7_lS9_S7_lS8_T11_S7_li.numbered_sgpr, 25
	.set _ZL29rocblas_internal_gemmt_kernelIiLi16ELi32ELi8ELc67ELc78ELc76ELb0ELb0EddPKPKdPKPdEviT_T9_T10_S7_lS9_S7_lS8_T11_S7_li.num_named_barrier, 0
	.set _ZL29rocblas_internal_gemmt_kernelIiLi16ELi32ELi8ELc67ELc78ELc76ELb0ELb0EddPKPKdPKPdEviT_T9_T10_S7_lS9_S7_lS8_T11_S7_li.private_seg_size, 0
	.set _ZL29rocblas_internal_gemmt_kernelIiLi16ELi32ELi8ELc67ELc78ELc76ELb0ELb0EddPKPKdPKPdEviT_T9_T10_S7_lS9_S7_lS8_T11_S7_li.uses_vcc, 1
	.set _ZL29rocblas_internal_gemmt_kernelIiLi16ELi32ELi8ELc67ELc78ELc76ELb0ELb0EddPKPKdPKPdEviT_T9_T10_S7_lS9_S7_lS8_T11_S7_li.uses_flat_scratch, 0
	.set _ZL29rocblas_internal_gemmt_kernelIiLi16ELi32ELi8ELc67ELc78ELc76ELb0ELb0EddPKPKdPKPdEviT_T9_T10_S7_lS9_S7_lS8_T11_S7_li.has_dyn_sized_stack, 0
	.set _ZL29rocblas_internal_gemmt_kernelIiLi16ELi32ELi8ELc67ELc78ELc76ELb0ELb0EddPKPKdPKPdEviT_T9_T10_S7_lS9_S7_lS8_T11_S7_li.has_recursion, 0
	.set _ZL29rocblas_internal_gemmt_kernelIiLi16ELi32ELi8ELc67ELc78ELc76ELb0ELb0EddPKPKdPKPdEviT_T9_T10_S7_lS9_S7_lS8_T11_S7_li.has_indirect_call, 0
	.section	.AMDGPU.csdata,"",@progbits
; Kernel info:
; codeLenInByte = 1636
; TotalNumSgprs: 27
; NumVgprs: 44
; ScratchSize: 0
; MemoryBound: 0
; FloatMode: 240
; IeeeMode: 1
; LDSByteSize: 4096 bytes/workgroup (compile time only)
; SGPRBlocks: 0
; VGPRBlocks: 5
; NumSGPRsForWavesPerEU: 27
; NumVGPRsForWavesPerEU: 44
; Occupancy: 16
; WaveLimiterHint : 1
; COMPUTE_PGM_RSRC2:SCRATCH_EN: 0
; COMPUTE_PGM_RSRC2:USER_SGPR: 6
; COMPUTE_PGM_RSRC2:TRAP_HANDLER: 0
; COMPUTE_PGM_RSRC2:TGID_X_EN: 1
; COMPUTE_PGM_RSRC2:TGID_Y_EN: 1
; COMPUTE_PGM_RSRC2:TGID_Z_EN: 1
; COMPUTE_PGM_RSRC2:TIDIG_COMP_CNT: 1
	.section	.text._ZL29rocblas_internal_gemmt_kernelIiLi16ELi32ELi8ELc67ELc84ELc76ELb0ELb0EddPKPKdPKPdEviT_T9_T10_S7_lS9_S7_lS8_T11_S7_li,"axG",@progbits,_ZL29rocblas_internal_gemmt_kernelIiLi16ELi32ELi8ELc67ELc84ELc76ELb0ELb0EddPKPKdPKPdEviT_T9_T10_S7_lS9_S7_lS8_T11_S7_li,comdat
	.globl	_ZL29rocblas_internal_gemmt_kernelIiLi16ELi32ELi8ELc67ELc84ELc76ELb0ELb0EddPKPKdPKPdEviT_T9_T10_S7_lS9_S7_lS8_T11_S7_li ; -- Begin function _ZL29rocblas_internal_gemmt_kernelIiLi16ELi32ELi8ELc67ELc84ELc76ELb0ELb0EddPKPKdPKPdEviT_T9_T10_S7_lS9_S7_lS8_T11_S7_li
	.p2align	8
	.type	_ZL29rocblas_internal_gemmt_kernelIiLi16ELi32ELi8ELc67ELc84ELc76ELb0ELb0EddPKPKdPKPdEviT_T9_T10_S7_lS9_S7_lS8_T11_S7_li,@function
_ZL29rocblas_internal_gemmt_kernelIiLi16ELi32ELi8ELc67ELc84ELc76ELb0ELb0EddPKPKdPKPdEviT_T9_T10_S7_lS9_S7_lS8_T11_S7_li: ; @_ZL29rocblas_internal_gemmt_kernelIiLi16ELi32ELi8ELc67ELc84ELc76ELb0ELb0EddPKPKdPKPdEviT_T9_T10_S7_lS9_S7_lS8_T11_S7_li
; %bb.0:
	s_clause 0x2
	s_load_dwordx4 s[12:15], s[4:5], 0x38
	s_load_dwordx2 s[2:3], s[4:5], 0x0
	s_load_dwordx4 s[16:19], s[4:5], 0x8
	s_waitcnt lgkmcnt(0)
	v_cmp_neq_f64_e64 s0, s[14:15], 1.0
	s_and_b32 vcc_lo, exec_lo, s0
	s_cbranch_vccnz .LBB358_2
; %bb.1:
	v_cmp_neq_f64_e64 s0, s[16:17], 0
	s_cmp_lg_u32 s3, 0
	s_cselect_b32 s1, -1, 0
	s_and_b32 s0, s1, s0
.LBB358_2:
	s_andn2_b32 vcc_lo, exec_lo, s0
	s_cbranch_vccnz .LBB358_26
; %bb.3:
	s_load_dwordx2 s[0:1], s[4:5], 0x48
	s_mov_b32 s9, 0
	v_cmp_eq_f64_e64 s20, s[16:17], 0
	s_lshl_b64 s[24:25], s[8:9], 3
	v_mov_b32_e32 v12, 0
	v_mov_b32_e32 v6, 0
	;; [unrolled: 1-line block ×8, first 2 shown]
	s_waitcnt lgkmcnt(0)
	s_add_u32 s0, s0, s24
	s_addc_u32 s1, s1, s25
	s_lshl_b32 s8, s6, 5
	s_load_dwordx2 s[10:11], s[0:1], 0x0
	s_lshl_b32 s26, s7, 5
	s_cmp_lt_i32 s3, 1
	s_cselect_b32 s0, -1, 0
	s_or_b32 s0, s20, s0
	s_and_b32 vcc_lo, exec_lo, s0
	s_cbranch_vccnz .LBB358_10
; %bb.4:
	s_clause 0x2
	s_load_dword s6, s[4:5], 0x30
	s_load_dword s1, s[4:5], 0x18
	s_load_dwordx4 s[20:23], s[4:5], 0x20
	v_lshl_add_u32 v2, v1, 4, v0
	v_and_b32_e32 v18, 7, v0
	v_mov_b32_e32 v12, 0
	v_lshlrev_b32_e32 v22, 3, v0
	v_lshl_add_u32 v23, v1, 6, 0x800
	v_and_b32_e32 v3, 31, v2
	v_lshrrev_b32_e32 v4, 3, v2
	v_lshlrev_b32_e32 v5, 3, v18
	v_lshrrev_b32_e32 v19, 5, v2
	v_mov_b32_e32 v13, 0
	v_or_b32_e32 v6, s8, v3
	v_lshlrev_b32_e32 v7, 3, v3
	v_add_nc_u32_e32 v2, s26, v4
	v_lshl_or_b32 v4, v4, 6, v5
	v_add_nc_u32_e32 v3, s8, v3
	v_cmp_gt_i32_e32 vcc_lo, s2, v6
	v_lshl_or_b32 v20, v19, 8, v7
	v_lshlrev_b32_e32 v8, 3, v19
	v_add_nc_u32_e32 v21, 0x800, v4
	s_waitcnt lgkmcnt(0)
	s_ashr_i32 s7, s6, 31
	v_mad_i64_i32 v[4:5], null, s1, v3, 0
	s_add_u32 s22, s22, s24
	s_addc_u32 s23, s23, s25
	s_add_u32 s18, s18, s24
	s_addc_u32 s19, s19, s25
	s_load_dwordx2 s[22:23], s[22:23], 0x0
	s_load_dwordx2 s[18:19], s[18:19], 0x0
	v_mad_i64_i32 v[6:7], null, s6, v18, 0
	v_lshlrev_b64 v[4:5], 3, v[4:5]
	s_lshl_b64 s[20:21], s[20:21], 3
	v_ashrrev_i32_e32 v3, 31, v2
	s_lshl_b64 s[12:13], s[12:13], 3
	v_cmp_gt_i32_e64 s0, s2, v2
	s_lshl_b64 s[6:7], s[6:7], 6
	v_add_co_u32 v9, s1, v4, s20
	v_add_co_ci_u32_e64 v10, null, s21, v5, s1
	v_lshlrev_b64 v[4:5], 3, v[6:7]
	v_add_co_u32 v6, s1, v9, v8
	v_lshlrev_b64 v[2:3], 3, v[2:3]
	v_add_co_ci_u32_e64 v7, null, 0, v10, s1
	v_add_co_u32 v4, s1, v4, s12
	v_add_co_ci_u32_e64 v5, null, s13, v5, s1
	s_waitcnt lgkmcnt(0)
	v_add_co_u32 v8, s1, s18, v6
	v_add_co_ci_u32_e64 v9, null, s19, v7, s1
	v_add_co_u32 v10, s1, v4, v2
	v_add_co_ci_u32_e64 v11, null, v5, v3, s1
	v_mov_b32_e32 v2, 0
	v_add_co_u32 v10, s1, s22, v10
	v_mov_b32_e32 v4, 0
	v_mov_b32_e32 v6, 0
	v_mov_b32_e32 v3, 0
	v_mov_b32_e32 v5, 0
	v_mov_b32_e32 v7, 0
	v_add_co_ci_u32_e64 v11, null, s23, v11, s1
	s_branch .LBB358_6
.LBB358_5:                              ;   in Loop: Header=BB358_6 Depth=1
	s_or_b32 exec_lo, exec_lo, s1
	s_waitcnt vmcnt(0) lgkmcnt(0)
	ds_write_b64 v21, v[16:17]
	s_waitcnt lgkmcnt(0)
	s_barrier
	buffer_gl0_inv
	ds_read_b128 v[14:17], v23
	ds_read2_b64 v[24:27], v22 offset1:16
	ds_read_b128 v[28:31], v23 offset:1024
	ds_read_b128 v[32:35], v23 offset:16
	ds_read2_b64 v[36:39], v22 offset0:32 offset1:48
	ds_read_b128 v[40:43], v23 offset:1040
	v_add_co_u32 v8, s1, v8, 64
	v_add_co_ci_u32_e64 v9, null, 0, v9, s1
	v_add_co_u32 v10, s1, v10, s6
	v_add_co_ci_u32_e64 v11, null, s7, v11, s1
	s_add_i32 s9, s9, 8
	s_cmp_lt_i32 s9, s3
	s_waitcnt lgkmcnt(4)
	v_fma_f64 v[12:13], v[24:25], v[14:15], v[12:13]
	v_fma_f64 v[6:7], v[26:27], v[14:15], v[6:7]
	s_waitcnt lgkmcnt(3)
	v_fma_f64 v[14:15], v[24:25], v[28:29], v[4:5]
	v_fma_f64 v[24:25], v[26:27], v[28:29], v[2:3]
	ds_read2_b64 v[2:5], v22 offset0:64 offset1:80
	s_waitcnt lgkmcnt(2)
	v_fma_f64 v[26:27], v[36:37], v[16:17], v[12:13]
	v_fma_f64 v[6:7], v[38:39], v[16:17], v[6:7]
	;; [unrolled: 1-line block ×4, first 2 shown]
	ds_read2_b64 v[12:15], v22 offset0:96 offset1:112
	s_waitcnt lgkmcnt(1)
	v_fma_f64 v[28:29], v[2:3], v[32:33], v[26:27]
	v_fma_f64 v[6:7], v[4:5], v[32:33], v[6:7]
	;; [unrolled: 1-line block ×4, first 2 shown]
	ds_read_b128 v[2:5], v23 offset:32
	ds_read2_b64 v[24:27], v22 offset0:128 offset1:144
	s_waitcnt lgkmcnt(2)
	v_fma_f64 v[40:41], v[12:13], v[34:35], v[28:29]
	v_fma_f64 v[6:7], v[14:15], v[34:35], v[6:7]
	;; [unrolled: 1-line block ×4, first 2 shown]
	ds_read_b128 v[12:15], v23 offset:1056
	ds_read_b128 v[28:31], v23 offset:48
	ds_read2_b64 v[32:35], v22 offset0:160 offset1:176
	ds_read_b128 v[36:39], v23 offset:1072
	s_waitcnt lgkmcnt(4)
	v_fma_f64 v[40:41], v[24:25], v[2:3], v[40:41]
	v_fma_f64 v[2:3], v[26:27], v[2:3], v[6:7]
	s_waitcnt lgkmcnt(3)
	v_fma_f64 v[6:7], v[24:25], v[12:13], v[16:17]
	v_fma_f64 v[12:13], v[26:27], v[12:13], v[42:43]
	ds_read2_b64 v[24:27], v22 offset0:192 offset1:208
	s_waitcnt lgkmcnt(2)
	v_fma_f64 v[40:41], v[32:33], v[4:5], v[40:41]
	v_fma_f64 v[2:3], v[34:35], v[4:5], v[2:3]
	;; [unrolled: 1-line block ×4, first 2 shown]
	ds_read2_b64 v[14:17], v22 offset0:224 offset1:240
	s_waitcnt lgkmcnt(0)
	s_barrier
	buffer_gl0_inv
	v_fma_f64 v[12:13], v[24:25], v[28:29], v[40:41]
	v_fma_f64 v[2:3], v[26:27], v[28:29], v[2:3]
	;; [unrolled: 1-line block ×8, first 2 shown]
	s_cbranch_scc0 .LBB358_10
.LBB358_6:                              ; =>This Inner Loop Header: Depth=1
	v_add_nc_u32_e32 v14, s9, v19
	v_cmp_gt_i32_e64 s1, s3, v14
	v_mov_b32_e32 v14, 0
	v_mov_b32_e32 v15, 0
	s_and_b32 s12, vcc_lo, s1
	s_and_saveexec_b32 s1, s12
	s_cbranch_execz .LBB358_8
; %bb.7:                                ;   in Loop: Header=BB358_6 Depth=1
	flat_load_dwordx2 v[14:15], v[8:9]
.LBB358_8:                              ;   in Loop: Header=BB358_6 Depth=1
	s_or_b32 exec_lo, exec_lo, s1
	v_add_nc_u32_e32 v16, s9, v18
	s_waitcnt vmcnt(0) lgkmcnt(0)
	ds_write_b64 v20, v[14:15]
	v_cmp_gt_i32_e64 s1, s3, v16
	v_mov_b32_e32 v16, 0
	v_mov_b32_e32 v17, 0
	s_and_b32 s12, s1, s0
	s_and_saveexec_b32 s1, s12
	s_cbranch_execz .LBB358_5
; %bb.9:                                ;   in Loop: Header=BB358_6 Depth=1
	flat_load_dwordx2 v[16:17], v[10:11]
	s_branch .LBB358_5
.LBB358_10:
	s_clause 0x1
	s_load_dword s3, s[4:5], 0x50
	s_load_dwordx2 s[4:5], s[4:5], 0x58
	v_cmp_neq_f64_e64 s6, s[14:15], 0
	v_add_nc_u32_e32 v15, s26, v1
	v_add_nc_u32_e32 v0, s8, v0
	v_cmp_le_i32_e32 vcc_lo, v15, v0
	v_cmp_gt_i32_e64 s0, s2, v0
	v_ashrrev_i32_e32 v1, 31, v0
	s_waitcnt lgkmcnt(0)
	v_mad_i64_i32 v[8:9], null, v15, s3, 0
	s_lshl_b64 s[4:5], s[4:5], 3
	s_add_u32 s4, s10, s4
	s_addc_u32 s5, s11, s5
	v_cndmask_b32_e64 v14, 0, 1, s6
	s_and_b32 s7, vcc_lo, s0
	v_lshlrev_b64 v[8:9], 3, v[8:9]
	v_add_co_u32 v16, s1, s4, v8
	v_add_co_ci_u32_e64 v17, null, s5, v9, s1
	s_and_saveexec_b32 s1, s7
	s_cbranch_execz .LBB358_14
; %bb.11:
	v_mul_f64 v[8:9], s[16:17], v[12:13]
	v_lshlrev_b64 v[10:11], 3, v[0:1]
	v_add_co_u32 v10, vcc_lo, v16, v10
	v_add_co_ci_u32_e64 v11, null, v17, v11, vcc_lo
	s_andn2_b32 vcc_lo, exec_lo, s6
	s_cbranch_vccnz .LBB358_13
; %bb.12:
	flat_load_dwordx2 v[12:13], v[10:11]
	s_waitcnt vmcnt(0) lgkmcnt(0)
	v_fma_f64 v[8:9], s[14:15], v[12:13], v[8:9]
.LBB358_13:
	flat_store_dwordx2 v[10:11], v[8:9]
.LBB358_14:
	s_or_b32 exec_lo, exec_lo, s1
	v_add_nc_u32_e32 v8, 16, v0
	v_cmp_le_i32_e32 vcc_lo, v15, v8
	v_cmp_gt_i32_e64 s1, s2, v8
	v_ashrrev_i32_e32 v9, 31, v8
	s_and_b32 s2, vcc_lo, s1
	s_and_saveexec_b32 s6, s2
	s_cbranch_execz .LBB358_18
; %bb.15:
	v_mul_f64 v[6:7], s[16:17], v[6:7]
	v_lshlrev_b64 v[10:11], 3, v[8:9]
	v_cmp_ne_u32_e32 vcc_lo, 1, v14
	v_add_co_u32 v10, s2, v16, v10
	v_add_co_ci_u32_e64 v11, null, v17, v11, s2
	s_cbranch_vccnz .LBB358_17
; %bb.16:
	flat_load_dwordx2 v[12:13], v[10:11]
	s_waitcnt vmcnt(0) lgkmcnt(0)
	v_fma_f64 v[6:7], s[14:15], v[12:13], v[6:7]
.LBB358_17:
	flat_store_dwordx2 v[10:11], v[6:7]
.LBB358_18:
	s_or_b32 exec_lo, exec_lo, s6
	v_add_nc_u32_e32 v10, 16, v15
	v_mad_i64_i32 v[6:7], null, v10, s3, 0
	v_cmp_le_i32_e32 vcc_lo, v10, v0
	s_and_b32 s0, vcc_lo, s0
	v_lshlrev_b64 v[6:7], 3, v[6:7]
	v_add_co_u32 v6, s2, s4, v6
	v_add_co_ci_u32_e64 v7, null, s5, v7, s2
	s_and_saveexec_b32 s2, s0
	s_cbranch_execz .LBB358_22
; %bb.19:
	v_mul_f64 v[4:5], s[16:17], v[4:5]
	v_lshlrev_b64 v[0:1], 3, v[0:1]
	v_cmp_ne_u32_e32 vcc_lo, 1, v14
	v_add_co_u32 v0, s0, v6, v0
	v_add_co_ci_u32_e64 v1, null, v7, v1, s0
	s_cbranch_vccnz .LBB358_21
; %bb.20:
	flat_load_dwordx2 v[11:12], v[0:1]
	s_waitcnt vmcnt(0) lgkmcnt(0)
	v_fma_f64 v[4:5], s[14:15], v[11:12], v[4:5]
.LBB358_21:
	flat_store_dwordx2 v[0:1], v[4:5]
.LBB358_22:
	s_or_b32 exec_lo, exec_lo, s2
	v_cmp_le_i32_e32 vcc_lo, v10, v8
	s_and_b32 s0, vcc_lo, s1
	s_and_saveexec_b32 s1, s0
	s_cbranch_execz .LBB358_26
; %bb.23:
	v_mul_f64 v[0:1], s[16:17], v[2:3]
	v_lshlrev_b64 v[2:3], 3, v[8:9]
	v_cmp_ne_u32_e32 vcc_lo, 1, v14
	v_add_co_u32 v2, s0, v6, v2
	v_add_co_ci_u32_e64 v3, null, v7, v3, s0
	s_cbranch_vccnz .LBB358_25
; %bb.24:
	flat_load_dwordx2 v[4:5], v[2:3]
	s_waitcnt vmcnt(0) lgkmcnt(0)
	v_fma_f64 v[0:1], s[14:15], v[4:5], v[0:1]
.LBB358_25:
	flat_store_dwordx2 v[2:3], v[0:1]
.LBB358_26:
	s_endpgm
	.section	.rodata,"a",@progbits
	.p2align	6, 0x0
	.amdhsa_kernel _ZL29rocblas_internal_gemmt_kernelIiLi16ELi32ELi8ELc67ELc84ELc76ELb0ELb0EddPKPKdPKPdEviT_T9_T10_S7_lS9_S7_lS8_T11_S7_li
		.amdhsa_group_segment_fixed_size 4096
		.amdhsa_private_segment_fixed_size 0
		.amdhsa_kernarg_size 100
		.amdhsa_user_sgpr_count 6
		.amdhsa_user_sgpr_private_segment_buffer 1
		.amdhsa_user_sgpr_dispatch_ptr 0
		.amdhsa_user_sgpr_queue_ptr 0
		.amdhsa_user_sgpr_kernarg_segment_ptr 1
		.amdhsa_user_sgpr_dispatch_id 0
		.amdhsa_user_sgpr_flat_scratch_init 0
		.amdhsa_user_sgpr_private_segment_size 0
		.amdhsa_wavefront_size32 1
		.amdhsa_uses_dynamic_stack 0
		.amdhsa_system_sgpr_private_segment_wavefront_offset 0
		.amdhsa_system_sgpr_workgroup_id_x 1
		.amdhsa_system_sgpr_workgroup_id_y 1
		.amdhsa_system_sgpr_workgroup_id_z 1
		.amdhsa_system_sgpr_workgroup_info 0
		.amdhsa_system_vgpr_workitem_id 1
		.amdhsa_next_free_vgpr 44
		.amdhsa_next_free_sgpr 27
		.amdhsa_reserve_vcc 1
		.amdhsa_reserve_flat_scratch 0
		.amdhsa_float_round_mode_32 0
		.amdhsa_float_round_mode_16_64 0
		.amdhsa_float_denorm_mode_32 3
		.amdhsa_float_denorm_mode_16_64 3
		.amdhsa_dx10_clamp 1
		.amdhsa_ieee_mode 1
		.amdhsa_fp16_overflow 0
		.amdhsa_workgroup_processor_mode 1
		.amdhsa_memory_ordered 1
		.amdhsa_forward_progress 1
		.amdhsa_shared_vgpr_count 0
		.amdhsa_exception_fp_ieee_invalid_op 0
		.amdhsa_exception_fp_denorm_src 0
		.amdhsa_exception_fp_ieee_div_zero 0
		.amdhsa_exception_fp_ieee_overflow 0
		.amdhsa_exception_fp_ieee_underflow 0
		.amdhsa_exception_fp_ieee_inexact 0
		.amdhsa_exception_int_div_zero 0
	.end_amdhsa_kernel
	.section	.text._ZL29rocblas_internal_gemmt_kernelIiLi16ELi32ELi8ELc67ELc84ELc76ELb0ELb0EddPKPKdPKPdEviT_T9_T10_S7_lS9_S7_lS8_T11_S7_li,"axG",@progbits,_ZL29rocblas_internal_gemmt_kernelIiLi16ELi32ELi8ELc67ELc84ELc76ELb0ELb0EddPKPKdPKPdEviT_T9_T10_S7_lS9_S7_lS8_T11_S7_li,comdat
.Lfunc_end358:
	.size	_ZL29rocblas_internal_gemmt_kernelIiLi16ELi32ELi8ELc67ELc84ELc76ELb0ELb0EddPKPKdPKPdEviT_T9_T10_S7_lS9_S7_lS8_T11_S7_li, .Lfunc_end358-_ZL29rocblas_internal_gemmt_kernelIiLi16ELi32ELi8ELc67ELc84ELc76ELb0ELb0EddPKPKdPKPdEviT_T9_T10_S7_lS9_S7_lS8_T11_S7_li
                                        ; -- End function
	.set _ZL29rocblas_internal_gemmt_kernelIiLi16ELi32ELi8ELc67ELc84ELc76ELb0ELb0EddPKPKdPKPdEviT_T9_T10_S7_lS9_S7_lS8_T11_S7_li.num_vgpr, 44
	.set _ZL29rocblas_internal_gemmt_kernelIiLi16ELi32ELi8ELc67ELc84ELc76ELb0ELb0EddPKPKdPKPdEviT_T9_T10_S7_lS9_S7_lS8_T11_S7_li.num_agpr, 0
	.set _ZL29rocblas_internal_gemmt_kernelIiLi16ELi32ELi8ELc67ELc84ELc76ELb0ELb0EddPKPKdPKPdEviT_T9_T10_S7_lS9_S7_lS8_T11_S7_li.numbered_sgpr, 27
	.set _ZL29rocblas_internal_gemmt_kernelIiLi16ELi32ELi8ELc67ELc84ELc76ELb0ELb0EddPKPKdPKPdEviT_T9_T10_S7_lS9_S7_lS8_T11_S7_li.num_named_barrier, 0
	.set _ZL29rocblas_internal_gemmt_kernelIiLi16ELi32ELi8ELc67ELc84ELc76ELb0ELb0EddPKPKdPKPdEviT_T9_T10_S7_lS9_S7_lS8_T11_S7_li.private_seg_size, 0
	.set _ZL29rocblas_internal_gemmt_kernelIiLi16ELi32ELi8ELc67ELc84ELc76ELb0ELb0EddPKPKdPKPdEviT_T9_T10_S7_lS9_S7_lS8_T11_S7_li.uses_vcc, 1
	.set _ZL29rocblas_internal_gemmt_kernelIiLi16ELi32ELi8ELc67ELc84ELc76ELb0ELb0EddPKPKdPKPdEviT_T9_T10_S7_lS9_S7_lS8_T11_S7_li.uses_flat_scratch, 0
	.set _ZL29rocblas_internal_gemmt_kernelIiLi16ELi32ELi8ELc67ELc84ELc76ELb0ELb0EddPKPKdPKPdEviT_T9_T10_S7_lS9_S7_lS8_T11_S7_li.has_dyn_sized_stack, 0
	.set _ZL29rocblas_internal_gemmt_kernelIiLi16ELi32ELi8ELc67ELc84ELc76ELb0ELb0EddPKPKdPKPdEviT_T9_T10_S7_lS9_S7_lS8_T11_S7_li.has_recursion, 0
	.set _ZL29rocblas_internal_gemmt_kernelIiLi16ELi32ELi8ELc67ELc84ELc76ELb0ELb0EddPKPKdPKPdEviT_T9_T10_S7_lS9_S7_lS8_T11_S7_li.has_indirect_call, 0
	.section	.AMDGPU.csdata,"",@progbits
; Kernel info:
; codeLenInByte = 1656
; TotalNumSgprs: 29
; NumVgprs: 44
; ScratchSize: 0
; MemoryBound: 0
; FloatMode: 240
; IeeeMode: 1
; LDSByteSize: 4096 bytes/workgroup (compile time only)
; SGPRBlocks: 0
; VGPRBlocks: 5
; NumSGPRsForWavesPerEU: 29
; NumVGPRsForWavesPerEU: 44
; Occupancy: 16
; WaveLimiterHint : 1
; COMPUTE_PGM_RSRC2:SCRATCH_EN: 0
; COMPUTE_PGM_RSRC2:USER_SGPR: 6
; COMPUTE_PGM_RSRC2:TRAP_HANDLER: 0
; COMPUTE_PGM_RSRC2:TGID_X_EN: 1
; COMPUTE_PGM_RSRC2:TGID_Y_EN: 1
; COMPUTE_PGM_RSRC2:TGID_Z_EN: 1
; COMPUTE_PGM_RSRC2:TIDIG_COMP_CNT: 1
	.section	.text._ZL29rocblas_internal_gemmt_kernelIiLi16ELi32ELi8ELc67ELc67ELc76ELb0ELb0EddPKPKdPKPdEviT_T9_T10_S7_lS9_S7_lS8_T11_S7_li,"axG",@progbits,_ZL29rocblas_internal_gemmt_kernelIiLi16ELi32ELi8ELc67ELc67ELc76ELb0ELb0EddPKPKdPKPdEviT_T9_T10_S7_lS9_S7_lS8_T11_S7_li,comdat
	.globl	_ZL29rocblas_internal_gemmt_kernelIiLi16ELi32ELi8ELc67ELc67ELc76ELb0ELb0EddPKPKdPKPdEviT_T9_T10_S7_lS9_S7_lS8_T11_S7_li ; -- Begin function _ZL29rocblas_internal_gemmt_kernelIiLi16ELi32ELi8ELc67ELc67ELc76ELb0ELb0EddPKPKdPKPdEviT_T9_T10_S7_lS9_S7_lS8_T11_S7_li
	.p2align	8
	.type	_ZL29rocblas_internal_gemmt_kernelIiLi16ELi32ELi8ELc67ELc67ELc76ELb0ELb0EddPKPKdPKPdEviT_T9_T10_S7_lS9_S7_lS8_T11_S7_li,@function
_ZL29rocblas_internal_gemmt_kernelIiLi16ELi32ELi8ELc67ELc67ELc76ELb0ELb0EddPKPKdPKPdEviT_T9_T10_S7_lS9_S7_lS8_T11_S7_li: ; @_ZL29rocblas_internal_gemmt_kernelIiLi16ELi32ELi8ELc67ELc67ELc76ELb0ELb0EddPKPKdPKPdEviT_T9_T10_S7_lS9_S7_lS8_T11_S7_li
; %bb.0:
	s_clause 0x2
	s_load_dwordx4 s[12:15], s[4:5], 0x38
	s_load_dwordx2 s[2:3], s[4:5], 0x0
	s_load_dwordx4 s[16:19], s[4:5], 0x8
	s_waitcnt lgkmcnt(0)
	v_cmp_neq_f64_e64 s0, s[14:15], 1.0
	s_and_b32 vcc_lo, exec_lo, s0
	s_cbranch_vccnz .LBB359_2
; %bb.1:
	v_cmp_neq_f64_e64 s0, s[16:17], 0
	s_cmp_lg_u32 s3, 0
	s_cselect_b32 s1, -1, 0
	s_and_b32 s0, s1, s0
.LBB359_2:
	s_andn2_b32 vcc_lo, exec_lo, s0
	s_cbranch_vccnz .LBB359_26
; %bb.3:
	s_load_dwordx2 s[0:1], s[4:5], 0x48
	s_mov_b32 s9, 0
	v_cmp_eq_f64_e64 s20, s[16:17], 0
	s_lshl_b64 s[24:25], s[8:9], 3
	v_mov_b32_e32 v12, 0
	v_mov_b32_e32 v6, 0
	;; [unrolled: 1-line block ×8, first 2 shown]
	s_waitcnt lgkmcnt(0)
	s_add_u32 s0, s0, s24
	s_addc_u32 s1, s1, s25
	s_lshl_b32 s8, s6, 5
	s_load_dwordx2 s[10:11], s[0:1], 0x0
	s_lshl_b32 s26, s7, 5
	s_cmp_lt_i32 s3, 1
	s_cselect_b32 s0, -1, 0
	s_or_b32 s0, s20, s0
	s_and_b32 vcc_lo, exec_lo, s0
	s_cbranch_vccnz .LBB359_10
; %bb.4:
	s_clause 0x2
	s_load_dword s6, s[4:5], 0x30
	s_load_dword s1, s[4:5], 0x18
	s_load_dwordx4 s[20:23], s[4:5], 0x20
	v_lshl_add_u32 v2, v1, 4, v0
	v_and_b32_e32 v18, 7, v0
	v_mov_b32_e32 v12, 0
	v_lshlrev_b32_e32 v22, 3, v0
	v_lshl_add_u32 v23, v1, 6, 0x800
	v_and_b32_e32 v3, 31, v2
	v_lshrrev_b32_e32 v4, 3, v2
	v_lshlrev_b32_e32 v5, 3, v18
	v_lshrrev_b32_e32 v19, 5, v2
	v_mov_b32_e32 v13, 0
	v_or_b32_e32 v6, s8, v3
	v_lshlrev_b32_e32 v7, 3, v3
	v_add_nc_u32_e32 v2, s26, v4
	v_lshl_or_b32 v4, v4, 6, v5
	v_add_nc_u32_e32 v3, s8, v3
	v_cmp_gt_i32_e32 vcc_lo, s2, v6
	v_lshl_or_b32 v20, v19, 8, v7
	v_lshlrev_b32_e32 v8, 3, v19
	v_add_nc_u32_e32 v21, 0x800, v4
	s_waitcnt lgkmcnt(0)
	s_ashr_i32 s7, s6, 31
	v_mad_i64_i32 v[4:5], null, s1, v3, 0
	s_add_u32 s22, s22, s24
	s_addc_u32 s23, s23, s25
	s_add_u32 s18, s18, s24
	s_addc_u32 s19, s19, s25
	s_load_dwordx2 s[22:23], s[22:23], 0x0
	s_load_dwordx2 s[18:19], s[18:19], 0x0
	v_mad_i64_i32 v[6:7], null, s6, v18, 0
	v_lshlrev_b64 v[4:5], 3, v[4:5]
	s_lshl_b64 s[20:21], s[20:21], 3
	v_ashrrev_i32_e32 v3, 31, v2
	s_lshl_b64 s[12:13], s[12:13], 3
	v_cmp_gt_i32_e64 s0, s2, v2
	s_lshl_b64 s[6:7], s[6:7], 6
	v_add_co_u32 v9, s1, v4, s20
	v_add_co_ci_u32_e64 v10, null, s21, v5, s1
	v_lshlrev_b64 v[4:5], 3, v[6:7]
	v_add_co_u32 v6, s1, v9, v8
	v_lshlrev_b64 v[2:3], 3, v[2:3]
	v_add_co_ci_u32_e64 v7, null, 0, v10, s1
	v_add_co_u32 v4, s1, v4, s12
	v_add_co_ci_u32_e64 v5, null, s13, v5, s1
	s_waitcnt lgkmcnt(0)
	v_add_co_u32 v8, s1, s18, v6
	v_add_co_ci_u32_e64 v9, null, s19, v7, s1
	v_add_co_u32 v10, s1, v4, v2
	v_add_co_ci_u32_e64 v11, null, v5, v3, s1
	v_mov_b32_e32 v2, 0
	v_add_co_u32 v10, s1, s22, v10
	v_mov_b32_e32 v4, 0
	v_mov_b32_e32 v6, 0
	;; [unrolled: 1-line block ×5, first 2 shown]
	v_add_co_ci_u32_e64 v11, null, s23, v11, s1
	s_branch .LBB359_6
.LBB359_5:                              ;   in Loop: Header=BB359_6 Depth=1
	s_or_b32 exec_lo, exec_lo, s1
	s_waitcnt vmcnt(0) lgkmcnt(0)
	ds_write_b64 v21, v[16:17]
	s_waitcnt lgkmcnt(0)
	s_barrier
	buffer_gl0_inv
	ds_read_b128 v[14:17], v23
	ds_read2_b64 v[24:27], v22 offset1:16
	ds_read_b128 v[28:31], v23 offset:1024
	ds_read_b128 v[32:35], v23 offset:16
	ds_read2_b64 v[36:39], v22 offset0:32 offset1:48
	ds_read_b128 v[40:43], v23 offset:1040
	v_add_co_u32 v8, s1, v8, 64
	v_add_co_ci_u32_e64 v9, null, 0, v9, s1
	v_add_co_u32 v10, s1, v10, s6
	v_add_co_ci_u32_e64 v11, null, s7, v11, s1
	s_add_i32 s9, s9, 8
	s_cmp_lt_i32 s9, s3
	s_waitcnt lgkmcnt(4)
	v_fma_f64 v[12:13], v[24:25], v[14:15], v[12:13]
	v_fma_f64 v[6:7], v[26:27], v[14:15], v[6:7]
	s_waitcnt lgkmcnt(3)
	v_fma_f64 v[14:15], v[24:25], v[28:29], v[4:5]
	v_fma_f64 v[24:25], v[26:27], v[28:29], v[2:3]
	ds_read2_b64 v[2:5], v22 offset0:64 offset1:80
	s_waitcnt lgkmcnt(2)
	v_fma_f64 v[26:27], v[36:37], v[16:17], v[12:13]
	v_fma_f64 v[6:7], v[38:39], v[16:17], v[6:7]
	;; [unrolled: 1-line block ×4, first 2 shown]
	ds_read2_b64 v[12:15], v22 offset0:96 offset1:112
	s_waitcnt lgkmcnt(1)
	v_fma_f64 v[28:29], v[2:3], v[32:33], v[26:27]
	v_fma_f64 v[6:7], v[4:5], v[32:33], v[6:7]
	;; [unrolled: 1-line block ×4, first 2 shown]
	ds_read_b128 v[2:5], v23 offset:32
	ds_read2_b64 v[24:27], v22 offset0:128 offset1:144
	s_waitcnt lgkmcnt(2)
	v_fma_f64 v[40:41], v[12:13], v[34:35], v[28:29]
	v_fma_f64 v[6:7], v[14:15], v[34:35], v[6:7]
	;; [unrolled: 1-line block ×4, first 2 shown]
	ds_read_b128 v[12:15], v23 offset:1056
	ds_read_b128 v[28:31], v23 offset:48
	ds_read2_b64 v[32:35], v22 offset0:160 offset1:176
	ds_read_b128 v[36:39], v23 offset:1072
	s_waitcnt lgkmcnt(4)
	v_fma_f64 v[40:41], v[24:25], v[2:3], v[40:41]
	v_fma_f64 v[2:3], v[26:27], v[2:3], v[6:7]
	s_waitcnt lgkmcnt(3)
	v_fma_f64 v[6:7], v[24:25], v[12:13], v[16:17]
	v_fma_f64 v[12:13], v[26:27], v[12:13], v[42:43]
	ds_read2_b64 v[24:27], v22 offset0:192 offset1:208
	s_waitcnt lgkmcnt(2)
	v_fma_f64 v[40:41], v[32:33], v[4:5], v[40:41]
	v_fma_f64 v[2:3], v[34:35], v[4:5], v[2:3]
	v_fma_f64 v[4:5], v[32:33], v[14:15], v[6:7]
	v_fma_f64 v[6:7], v[34:35], v[14:15], v[12:13]
	ds_read2_b64 v[14:17], v22 offset0:224 offset1:240
	s_waitcnt lgkmcnt(0)
	s_barrier
	buffer_gl0_inv
	v_fma_f64 v[12:13], v[24:25], v[28:29], v[40:41]
	v_fma_f64 v[2:3], v[26:27], v[28:29], v[2:3]
	;; [unrolled: 1-line block ×8, first 2 shown]
	s_cbranch_scc0 .LBB359_10
.LBB359_6:                              ; =>This Inner Loop Header: Depth=1
	v_add_nc_u32_e32 v14, s9, v19
	v_cmp_gt_i32_e64 s1, s3, v14
	v_mov_b32_e32 v14, 0
	v_mov_b32_e32 v15, 0
	s_and_b32 s12, vcc_lo, s1
	s_and_saveexec_b32 s1, s12
	s_cbranch_execz .LBB359_8
; %bb.7:                                ;   in Loop: Header=BB359_6 Depth=1
	flat_load_dwordx2 v[14:15], v[8:9]
.LBB359_8:                              ;   in Loop: Header=BB359_6 Depth=1
	s_or_b32 exec_lo, exec_lo, s1
	v_add_nc_u32_e32 v16, s9, v18
	s_waitcnt vmcnt(0) lgkmcnt(0)
	ds_write_b64 v20, v[14:15]
	v_cmp_gt_i32_e64 s1, s3, v16
	v_mov_b32_e32 v16, 0
	v_mov_b32_e32 v17, 0
	s_and_b32 s12, s1, s0
	s_and_saveexec_b32 s1, s12
	s_cbranch_execz .LBB359_5
; %bb.9:                                ;   in Loop: Header=BB359_6 Depth=1
	flat_load_dwordx2 v[16:17], v[10:11]
	s_branch .LBB359_5
.LBB359_10:
	s_clause 0x1
	s_load_dword s3, s[4:5], 0x50
	s_load_dwordx2 s[4:5], s[4:5], 0x58
	v_cmp_neq_f64_e64 s6, s[14:15], 0
	v_add_nc_u32_e32 v15, s26, v1
	v_add_nc_u32_e32 v0, s8, v0
	v_cmp_le_i32_e32 vcc_lo, v15, v0
	v_cmp_gt_i32_e64 s0, s2, v0
	v_ashrrev_i32_e32 v1, 31, v0
	s_waitcnt lgkmcnt(0)
	v_mad_i64_i32 v[8:9], null, v15, s3, 0
	s_lshl_b64 s[4:5], s[4:5], 3
	s_add_u32 s4, s10, s4
	s_addc_u32 s5, s11, s5
	v_cndmask_b32_e64 v14, 0, 1, s6
	s_and_b32 s7, vcc_lo, s0
	v_lshlrev_b64 v[8:9], 3, v[8:9]
	v_add_co_u32 v16, s1, s4, v8
	v_add_co_ci_u32_e64 v17, null, s5, v9, s1
	s_and_saveexec_b32 s1, s7
	s_cbranch_execz .LBB359_14
; %bb.11:
	v_mul_f64 v[8:9], s[16:17], v[12:13]
	v_lshlrev_b64 v[10:11], 3, v[0:1]
	v_add_co_u32 v10, vcc_lo, v16, v10
	v_add_co_ci_u32_e64 v11, null, v17, v11, vcc_lo
	s_andn2_b32 vcc_lo, exec_lo, s6
	s_cbranch_vccnz .LBB359_13
; %bb.12:
	flat_load_dwordx2 v[12:13], v[10:11]
	s_waitcnt vmcnt(0) lgkmcnt(0)
	v_fma_f64 v[8:9], s[14:15], v[12:13], v[8:9]
.LBB359_13:
	flat_store_dwordx2 v[10:11], v[8:9]
.LBB359_14:
	s_or_b32 exec_lo, exec_lo, s1
	v_add_nc_u32_e32 v8, 16, v0
	v_cmp_le_i32_e32 vcc_lo, v15, v8
	v_cmp_gt_i32_e64 s1, s2, v8
	v_ashrrev_i32_e32 v9, 31, v8
	s_and_b32 s2, vcc_lo, s1
	s_and_saveexec_b32 s6, s2
	s_cbranch_execz .LBB359_18
; %bb.15:
	v_mul_f64 v[6:7], s[16:17], v[6:7]
	v_lshlrev_b64 v[10:11], 3, v[8:9]
	v_cmp_ne_u32_e32 vcc_lo, 1, v14
	v_add_co_u32 v10, s2, v16, v10
	v_add_co_ci_u32_e64 v11, null, v17, v11, s2
	s_cbranch_vccnz .LBB359_17
; %bb.16:
	flat_load_dwordx2 v[12:13], v[10:11]
	s_waitcnt vmcnt(0) lgkmcnt(0)
	v_fma_f64 v[6:7], s[14:15], v[12:13], v[6:7]
.LBB359_17:
	flat_store_dwordx2 v[10:11], v[6:7]
.LBB359_18:
	s_or_b32 exec_lo, exec_lo, s6
	v_add_nc_u32_e32 v10, 16, v15
	v_mad_i64_i32 v[6:7], null, v10, s3, 0
	v_cmp_le_i32_e32 vcc_lo, v10, v0
	s_and_b32 s0, vcc_lo, s0
	v_lshlrev_b64 v[6:7], 3, v[6:7]
	v_add_co_u32 v6, s2, s4, v6
	v_add_co_ci_u32_e64 v7, null, s5, v7, s2
	s_and_saveexec_b32 s2, s0
	s_cbranch_execz .LBB359_22
; %bb.19:
	v_mul_f64 v[4:5], s[16:17], v[4:5]
	v_lshlrev_b64 v[0:1], 3, v[0:1]
	v_cmp_ne_u32_e32 vcc_lo, 1, v14
	v_add_co_u32 v0, s0, v6, v0
	v_add_co_ci_u32_e64 v1, null, v7, v1, s0
	s_cbranch_vccnz .LBB359_21
; %bb.20:
	flat_load_dwordx2 v[11:12], v[0:1]
	s_waitcnt vmcnt(0) lgkmcnt(0)
	v_fma_f64 v[4:5], s[14:15], v[11:12], v[4:5]
.LBB359_21:
	flat_store_dwordx2 v[0:1], v[4:5]
.LBB359_22:
	s_or_b32 exec_lo, exec_lo, s2
	v_cmp_le_i32_e32 vcc_lo, v10, v8
	s_and_b32 s0, vcc_lo, s1
	s_and_saveexec_b32 s1, s0
	s_cbranch_execz .LBB359_26
; %bb.23:
	v_mul_f64 v[0:1], s[16:17], v[2:3]
	v_lshlrev_b64 v[2:3], 3, v[8:9]
	v_cmp_ne_u32_e32 vcc_lo, 1, v14
	v_add_co_u32 v2, s0, v6, v2
	v_add_co_ci_u32_e64 v3, null, v7, v3, s0
	s_cbranch_vccnz .LBB359_25
; %bb.24:
	flat_load_dwordx2 v[4:5], v[2:3]
	s_waitcnt vmcnt(0) lgkmcnt(0)
	v_fma_f64 v[0:1], s[14:15], v[4:5], v[0:1]
.LBB359_25:
	flat_store_dwordx2 v[2:3], v[0:1]
.LBB359_26:
	s_endpgm
	.section	.rodata,"a",@progbits
	.p2align	6, 0x0
	.amdhsa_kernel _ZL29rocblas_internal_gemmt_kernelIiLi16ELi32ELi8ELc67ELc67ELc76ELb0ELb0EddPKPKdPKPdEviT_T9_T10_S7_lS9_S7_lS8_T11_S7_li
		.amdhsa_group_segment_fixed_size 4096
		.amdhsa_private_segment_fixed_size 0
		.amdhsa_kernarg_size 100
		.amdhsa_user_sgpr_count 6
		.amdhsa_user_sgpr_private_segment_buffer 1
		.amdhsa_user_sgpr_dispatch_ptr 0
		.amdhsa_user_sgpr_queue_ptr 0
		.amdhsa_user_sgpr_kernarg_segment_ptr 1
		.amdhsa_user_sgpr_dispatch_id 0
		.amdhsa_user_sgpr_flat_scratch_init 0
		.amdhsa_user_sgpr_private_segment_size 0
		.amdhsa_wavefront_size32 1
		.amdhsa_uses_dynamic_stack 0
		.amdhsa_system_sgpr_private_segment_wavefront_offset 0
		.amdhsa_system_sgpr_workgroup_id_x 1
		.amdhsa_system_sgpr_workgroup_id_y 1
		.amdhsa_system_sgpr_workgroup_id_z 1
		.amdhsa_system_sgpr_workgroup_info 0
		.amdhsa_system_vgpr_workitem_id 1
		.amdhsa_next_free_vgpr 44
		.amdhsa_next_free_sgpr 27
		.amdhsa_reserve_vcc 1
		.amdhsa_reserve_flat_scratch 0
		.amdhsa_float_round_mode_32 0
		.amdhsa_float_round_mode_16_64 0
		.amdhsa_float_denorm_mode_32 3
		.amdhsa_float_denorm_mode_16_64 3
		.amdhsa_dx10_clamp 1
		.amdhsa_ieee_mode 1
		.amdhsa_fp16_overflow 0
		.amdhsa_workgroup_processor_mode 1
		.amdhsa_memory_ordered 1
		.amdhsa_forward_progress 1
		.amdhsa_shared_vgpr_count 0
		.amdhsa_exception_fp_ieee_invalid_op 0
		.amdhsa_exception_fp_denorm_src 0
		.amdhsa_exception_fp_ieee_div_zero 0
		.amdhsa_exception_fp_ieee_overflow 0
		.amdhsa_exception_fp_ieee_underflow 0
		.amdhsa_exception_fp_ieee_inexact 0
		.amdhsa_exception_int_div_zero 0
	.end_amdhsa_kernel
	.section	.text._ZL29rocblas_internal_gemmt_kernelIiLi16ELi32ELi8ELc67ELc67ELc76ELb0ELb0EddPKPKdPKPdEviT_T9_T10_S7_lS9_S7_lS8_T11_S7_li,"axG",@progbits,_ZL29rocblas_internal_gemmt_kernelIiLi16ELi32ELi8ELc67ELc67ELc76ELb0ELb0EddPKPKdPKPdEviT_T9_T10_S7_lS9_S7_lS8_T11_S7_li,comdat
.Lfunc_end359:
	.size	_ZL29rocblas_internal_gemmt_kernelIiLi16ELi32ELi8ELc67ELc67ELc76ELb0ELb0EddPKPKdPKPdEviT_T9_T10_S7_lS9_S7_lS8_T11_S7_li, .Lfunc_end359-_ZL29rocblas_internal_gemmt_kernelIiLi16ELi32ELi8ELc67ELc67ELc76ELb0ELb0EddPKPKdPKPdEviT_T9_T10_S7_lS9_S7_lS8_T11_S7_li
                                        ; -- End function
	.set _ZL29rocblas_internal_gemmt_kernelIiLi16ELi32ELi8ELc67ELc67ELc76ELb0ELb0EddPKPKdPKPdEviT_T9_T10_S7_lS9_S7_lS8_T11_S7_li.num_vgpr, 44
	.set _ZL29rocblas_internal_gemmt_kernelIiLi16ELi32ELi8ELc67ELc67ELc76ELb0ELb0EddPKPKdPKPdEviT_T9_T10_S7_lS9_S7_lS8_T11_S7_li.num_agpr, 0
	.set _ZL29rocblas_internal_gemmt_kernelIiLi16ELi32ELi8ELc67ELc67ELc76ELb0ELb0EddPKPKdPKPdEviT_T9_T10_S7_lS9_S7_lS8_T11_S7_li.numbered_sgpr, 27
	.set _ZL29rocblas_internal_gemmt_kernelIiLi16ELi32ELi8ELc67ELc67ELc76ELb0ELb0EddPKPKdPKPdEviT_T9_T10_S7_lS9_S7_lS8_T11_S7_li.num_named_barrier, 0
	.set _ZL29rocblas_internal_gemmt_kernelIiLi16ELi32ELi8ELc67ELc67ELc76ELb0ELb0EddPKPKdPKPdEviT_T9_T10_S7_lS9_S7_lS8_T11_S7_li.private_seg_size, 0
	.set _ZL29rocblas_internal_gemmt_kernelIiLi16ELi32ELi8ELc67ELc67ELc76ELb0ELb0EddPKPKdPKPdEviT_T9_T10_S7_lS9_S7_lS8_T11_S7_li.uses_vcc, 1
	.set _ZL29rocblas_internal_gemmt_kernelIiLi16ELi32ELi8ELc67ELc67ELc76ELb0ELb0EddPKPKdPKPdEviT_T9_T10_S7_lS9_S7_lS8_T11_S7_li.uses_flat_scratch, 0
	.set _ZL29rocblas_internal_gemmt_kernelIiLi16ELi32ELi8ELc67ELc67ELc76ELb0ELb0EddPKPKdPKPdEviT_T9_T10_S7_lS9_S7_lS8_T11_S7_li.has_dyn_sized_stack, 0
	.set _ZL29rocblas_internal_gemmt_kernelIiLi16ELi32ELi8ELc67ELc67ELc76ELb0ELb0EddPKPKdPKPdEviT_T9_T10_S7_lS9_S7_lS8_T11_S7_li.has_recursion, 0
	.set _ZL29rocblas_internal_gemmt_kernelIiLi16ELi32ELi8ELc67ELc67ELc76ELb0ELb0EddPKPKdPKPdEviT_T9_T10_S7_lS9_S7_lS8_T11_S7_li.has_indirect_call, 0
	.section	.AMDGPU.csdata,"",@progbits
; Kernel info:
; codeLenInByte = 1656
; TotalNumSgprs: 29
; NumVgprs: 44
; ScratchSize: 0
; MemoryBound: 0
; FloatMode: 240
; IeeeMode: 1
; LDSByteSize: 4096 bytes/workgroup (compile time only)
; SGPRBlocks: 0
; VGPRBlocks: 5
; NumSGPRsForWavesPerEU: 29
; NumVGPRsForWavesPerEU: 44
; Occupancy: 16
; WaveLimiterHint : 1
; COMPUTE_PGM_RSRC2:SCRATCH_EN: 0
; COMPUTE_PGM_RSRC2:USER_SGPR: 6
; COMPUTE_PGM_RSRC2:TRAP_HANDLER: 0
; COMPUTE_PGM_RSRC2:TGID_X_EN: 1
; COMPUTE_PGM_RSRC2:TGID_Y_EN: 1
; COMPUTE_PGM_RSRC2:TGID_Z_EN: 1
; COMPUTE_PGM_RSRC2:TIDIG_COMP_CNT: 1
	.section	.text._ZL29rocblas_internal_gemmt_kernelIiLi16ELi32ELi8ELc78ELc78ELc85ELb0ELb0E19rocblas_complex_numIfEPKS1_PKS3_PKPS1_EviT_T9_T10_S9_lSB_S9_lSA_T11_S9_li,"axG",@progbits,_ZL29rocblas_internal_gemmt_kernelIiLi16ELi32ELi8ELc78ELc78ELc85ELb0ELb0E19rocblas_complex_numIfEPKS1_PKS3_PKPS1_EviT_T9_T10_S9_lSB_S9_lSA_T11_S9_li,comdat
	.globl	_ZL29rocblas_internal_gemmt_kernelIiLi16ELi32ELi8ELc78ELc78ELc85ELb0ELb0E19rocblas_complex_numIfEPKS1_PKS3_PKPS1_EviT_T9_T10_S9_lSB_S9_lSA_T11_S9_li ; -- Begin function _ZL29rocblas_internal_gemmt_kernelIiLi16ELi32ELi8ELc78ELc78ELc85ELb0ELb0E19rocblas_complex_numIfEPKS1_PKS3_PKPS1_EviT_T9_T10_S9_lSB_S9_lSA_T11_S9_li
	.p2align	8
	.type	_ZL29rocblas_internal_gemmt_kernelIiLi16ELi32ELi8ELc78ELc78ELc85ELb0ELb0E19rocblas_complex_numIfEPKS1_PKS3_PKPS1_EviT_T9_T10_S9_lSB_S9_lSA_T11_S9_li,@function
_ZL29rocblas_internal_gemmt_kernelIiLi16ELi32ELi8ELc78ELc78ELc85ELb0ELb0E19rocblas_complex_numIfEPKS1_PKS3_PKPS1_EviT_T9_T10_S9_lSB_S9_lSA_T11_S9_li: ; @_ZL29rocblas_internal_gemmt_kernelIiLi16ELi32ELi8ELc78ELc78ELc85ELb0ELb0E19rocblas_complex_numIfEPKS1_PKS3_PKPS1_EviT_T9_T10_S9_lSB_S9_lSA_T11_S9_li
; %bb.0:
	s_clause 0x1
	s_load_dwordx4 s[12:15], s[4:5], 0x38
	s_load_dwordx4 s[0:3], s[4:5], 0x8
	s_waitcnt lgkmcnt(0)
	s_load_dwordx2 s[10:11], s[14:15], 0x0
	s_load_dwordx2 s[20:21], s[4:5], 0x0
	;; [unrolled: 1-line block ×3, first 2 shown]
	s_waitcnt lgkmcnt(0)
	s_and_b32 s0, s11, 0x7fffffff
	v_cmp_eq_f32_e64 s1, s10, 1.0
	s_cmp_eq_u32 s0, 0
	s_mov_b32 s0, 0
	s_cselect_b32 s26, -1, 0
	s_and_b32 s1, s1, s26
	s_andn2_b32 vcc_lo, exec_lo, s1
	s_mov_b32 s1, -1
	s_cbranch_vccnz .LBB360_4
; %bb.1:
	s_cmp_lg_u32 s21, 0
	s_cbranch_scc0 .LBB360_3
; %bb.2:
	v_cmp_neq_f32_e64 s0, s14, 0
	v_cmp_neq_f32_e64 s1, s15, 0
	s_or_b32 s0, s0, s1
.LBB360_3:
	s_mov_b32 s1, s0
.LBB360_4:
	s_and_b32 vcc_lo, exec_lo, s1
	s_cbranch_vccz .LBB360_32
; %bb.5:
	s_load_dwordx2 s[0:1], s[4:5], 0x48
	s_mov_b32 s9, 0
	v_cmp_eq_f32_e64 s16, s14, 0
	s_lshl_b64 s[24:25], s[8:9], 3
	v_cmp_eq_f32_e64 s17, s15, 0
	v_mov_b32_e32 v20, 0
	v_mov_b32_e32 v21, 0
	;; [unrolled: 1-line block ×8, first 2 shown]
	s_waitcnt lgkmcnt(0)
	s_add_u32 s0, s0, s24
	s_addc_u32 s1, s1, s25
	s_lshl_b32 s8, s6, 5
	s_load_dwordx2 s[22:23], s[0:1], 0x0
	s_lshl_b32 s27, s7, 5
	s_and_b32 s0, s16, s17
	s_cmp_lt_i32 s21, 1
	s_cselect_b32 s1, -1, 0
	s_or_b32 s0, s0, s1
	s_and_b32 vcc_lo, exec_lo, s0
	s_cbranch_vccnz .LBB360_16
; %bb.6:
	s_clause 0x1
	s_load_dword s6, s[4:5], 0x18
	s_load_dwordx4 s[16:19], s[4:5], 0x20
	v_lshl_add_u32 v2, v1, 4, v0
	v_and_b32_e32 v8, 7, v0
	s_load_dword s1, s[4:5], 0x30
	v_lshlrev_b32_e32 v9, 3, v0
	v_lshl_add_u32 v13, v1, 6, 0x800
	v_lshrrev_b32_e32 v4, 3, v2
	v_lshlrev_b32_e32 v14, 3, v8
	v_and_b32_e32 v3, 31, v2
	v_lshrrev_b32_e32 v10, 5, v2
	v_mov_b32_e32 v17, 0
	v_add_nc_u32_e32 v7, s27, v4
	v_lshl_or_b32 v4, v4, 6, v14
	v_or_b32_e32 v5, s8, v3
	v_lshlrev_b32_e32 v6, 3, v3
	v_add_nc_u32_e32 v2, s8, v3
	v_cmp_gt_i32_e64 s0, s20, v7
	v_add_nc_u32_e32 v12, 0x800, v4
	v_cmp_gt_i32_e32 vcc_lo, s20, v5
	s_waitcnt lgkmcnt(0)
	v_mad_i64_i32 v[3:4], null, v10, s6, 0
	s_ashr_i32 s7, s6, 31
	s_add_u32 s18, s18, s24
	s_addc_u32 s19, s19, s25
	s_add_u32 s2, s2, s24
	s_addc_u32 s3, s3, s25
	s_load_dwordx2 s[18:19], s[18:19], 0x0
	s_load_dwordx2 s[2:3], s[2:3], 0x0
	v_lshl_or_b32 v11, v10, 8, v6
	v_lshlrev_b64 v[4:5], 3, v[3:4]
	v_mad_i64_i32 v[6:7], null, s1, v7, 0
	v_ashrrev_i32_e32 v3, 31, v2
	s_lshl_b64 s[16:17], s[16:17], 3
	s_lshl_b64 s[12:13], s[12:13], 3
	v_add_co_u32 v15, s1, v4, s16
	v_lshlrev_b64 v[2:3], 3, v[2:3]
	v_add_co_ci_u32_e64 v16, null, s17, v5, s1
	v_lshlrev_b64 v[4:5], 3, v[6:7]
	v_mov_b32_e32 v19, 0
	v_mov_b32_e32 v18, 0
	v_add_co_u32 v2, s1, v15, v2
	v_add_co_ci_u32_e64 v3, null, v16, v3, s1
	v_add_co_u32 v4, s1, v4, s12
	v_add_co_ci_u32_e64 v5, null, s13, v5, s1
	s_waitcnt lgkmcnt(0)
	v_add_co_u32 v2, s1, s2, v2
	v_add_co_ci_u32_e64 v3, null, s3, v3, s1
	v_add_co_u32 v6, s1, v4, v14
	v_add_co_ci_u32_e64 v5, null, 0, v5, s1
	v_mov_b32_e32 v4, 0
	v_add_co_u32 v6, s1, s18, v6
	v_add_co_ci_u32_e64 v7, null, s19, v5, s1
	v_mov_b32_e32 v15, 0
	v_mov_b32_e32 v14, 0
	;; [unrolled: 1-line block ×5, first 2 shown]
	s_lshl_b64 s[2:3], s[6:7], 6
	s_xor_b32 s1, vcc_lo, -1
	s_xor_b32 s0, s0, -1
	s_branch .LBB360_8
.LBB360_7:                              ;   in Loop: Header=BB360_8 Depth=1
	s_or_b32 exec_lo, exec_lo, s6
	s_waitcnt lgkmcnt(0)
	s_barrier
	buffer_gl0_inv
	ds_read_b128 v[22:25], v13
	ds_read2_b64 v[26:29], v9 offset1:16
	ds_read_b128 v[30:33], v13 offset:1024
	ds_read_b128 v[34:37], v13 offset:16
	;; [unrolled: 1-line block ×4, first 2 shown]
	ds_read2_b64 v[46:49], v9 offset0:32 offset1:48
	ds_read_b128 v[50:53], v13 offset:1040
	v_add_co_u32 v2, vcc_lo, v2, s2
	v_add_co_ci_u32_e64 v3, null, s3, v3, vcc_lo
	v_add_co_u32 v6, vcc_lo, v6, 64
	v_add_co_ci_u32_e64 v7, null, 0, v7, vcc_lo
	s_add_i32 s9, s9, 8
	s_cmp_lt_i32 s9, s21
	s_waitcnt lgkmcnt(6)
	v_mul_f32_e32 v5, v23, v27
	v_mul_f32_e32 v54, v22, v27
	;; [unrolled: 1-line block ×4, first 2 shown]
	s_waitcnt lgkmcnt(5)
	v_mul_f32_e32 v57, v31, v27
	v_mul_f32_e32 v27, v30, v27
	;; [unrolled: 1-line block ×3, first 2 shown]
	v_fma_f32 v5, v22, v26, -v5
	v_fmac_f32_e32 v54, v23, v26
	v_fma_f32 v22, v22, v28, -v55
	v_fmac_f32_e32 v56, v23, v28
	;; [unrolled: 2-line block ×3, first 2 shown]
	v_mul_f32_e32 v29, v30, v29
	v_fma_f32 v26, v30, v28, -v58
	v_add_f32_e32 v5, v20, v5
	v_add_f32_e32 v20, v21, v54
	v_add_f32_e32 v21, v18, v22
	v_add_f32_e32 v22, v19, v56
	v_add_f32_e32 v23, v16, v23
	v_add_f32_e32 v27, v17, v27
	s_waitcnt lgkmcnt(1)
	v_mul_f32_e32 v30, v25, v47
	ds_read2_b64 v[16:19], v9 offset0:64 offset1:80
	v_fmac_f32_e32 v29, v31, v28
	v_add_f32_e32 v14, v14, v26
	v_mul_f32_e32 v26, v24, v47
	v_fma_f32 v28, v24, v46, -v30
	v_mul_f32_e32 v30, v25, v49
	v_add_f32_e32 v15, v15, v29
	v_mul_f32_e32 v29, v24, v49
	v_fmac_f32_e32 v26, v25, v46
	v_add_f32_e32 v5, v5, v28
	v_fma_f32 v24, v24, v48, -v30
	v_mul_f32_e32 v28, v33, v47
	v_fmac_f32_e32 v29, v25, v48
	v_add_f32_e32 v26, v20, v26
	v_mul_f32_e32 v20, v32, v47
	v_add_f32_e32 v24, v21, v24
	v_fma_f32 v21, v32, v46, -v28
	v_mul_f32_e32 v25, v33, v49
	v_add_f32_e32 v28, v22, v29
	v_fmac_f32_e32 v20, v33, v46
	v_mul_f32_e32 v29, v32, v49
	v_add_f32_e32 v30, v23, v21
	v_fma_f32 v21, v32, v48, -v25
	s_waitcnt lgkmcnt(0)
	v_mul_f32_e32 v22, v35, v17
	v_add_f32_e32 v25, v27, v20
	v_fmac_f32_e32 v29, v33, v48
	v_mul_f32_e32 v27, v34, v17
	v_add_f32_e32 v14, v14, v21
	v_fma_f32 v31, v34, v16, -v22
	v_mul_f32_e32 v32, v35, v19
	ds_read2_b64 v[20:23], v9 offset0:96 offset1:112
	v_fmac_f32_e32 v27, v35, v16
	v_add_f32_e32 v29, v15, v29
	v_add_f32_e32 v5, v5, v31
	v_mul_f32_e32 v15, v34, v19
	v_fma_f32 v31, v34, v18, -v32
	v_add_f32_e32 v26, v26, v27
	v_mul_f32_e32 v27, v51, v17
	v_mul_f32_e32 v17, v50, v17
	v_fmac_f32_e32 v15, v35, v18
	v_add_f32_e32 v24, v24, v31
	v_mul_f32_e32 v31, v51, v19
	v_mul_f32_e32 v19, v50, v19
	v_fmac_f32_e32 v17, v51, v16
	v_add_f32_e32 v28, v28, v15
	v_fma_f32 v27, v50, v16, -v27
	v_fma_f32 v15, v50, v18, -v31
	v_fmac_f32_e32 v19, v51, v18
	v_add_f32_e32 v31, v25, v17
	s_waitcnt lgkmcnt(0)
	v_mul_f32_e32 v18, v37, v21
	v_add_f32_e32 v32, v14, v15
	ds_read2_b64 v[14:17], v9 offset0:128 offset1:144
	v_add_f32_e32 v30, v30, v27
	v_mul_f32_e32 v25, v36, v21
	v_fma_f32 v18, v36, v20, -v18
	v_mul_f32_e32 v27, v37, v23
	v_add_f32_e32 v29, v29, v19
	v_mul_f32_e32 v19, v36, v23
	v_fmac_f32_e32 v25, v37, v20
	v_add_f32_e32 v5, v5, v18
	v_mul_f32_e32 v18, v53, v21
	v_fma_f32 v27, v36, v22, -v27
	v_fmac_f32_e32 v19, v37, v22
	v_mul_f32_e32 v21, v52, v21
	v_mul_f32_e32 v35, v53, v23
	v_fma_f32 v18, v52, v20, -v18
	v_add_f32_e32 v33, v26, v25
	v_add_f32_e32 v34, v24, v27
	ds_read_b128 v[24:27], v13 offset:1056
	v_add_f32_e32 v36, v28, v19
	v_fmac_f32_e32 v21, v53, v20
	v_mul_f32_e32 v23, v52, v23
	v_fma_f32 v19, v52, v22, -v35
	v_add_f32_e32 v35, v30, v18
	s_waitcnt lgkmcnt(1)
	v_mul_f32_e32 v18, v39, v15
	v_add_f32_e32 v37, v31, v21
	v_fmac_f32_e32 v23, v53, v22
	v_add_f32_e32 v22, v32, v19
	v_mul_f32_e32 v32, v38, v15
	v_fma_f32 v28, v38, v14, -v18
	ds_read2_b64 v[18:21], v9 offset0:160 offset1:176
	v_mul_f32_e32 v30, v39, v17
	v_mul_f32_e32 v46, v38, v17
	v_fmac_f32_e32 v32, v39, v14
	v_add_f32_e32 v23, v29, v23
	v_add_f32_e32 v5, v5, v28
	v_fma_f32 v38, v38, v16, -v30
	ds_read_b128 v[28:31], v13 offset:1072
	s_waitcnt lgkmcnt(2)
	v_mul_f32_e32 v47, v25, v15
	v_add_f32_e32 v32, v33, v32
	v_mul_f32_e32 v15, v24, v15
	v_add_f32_e32 v33, v34, v38
	v_mul_f32_e32 v38, v25, v17
	v_fmac_f32_e32 v46, v39, v16
	v_fma_f32 v34, v24, v14, -v47
	v_fmac_f32_e32 v15, v25, v14
	v_mul_f32_e32 v39, v24, v17
	v_fma_f32 v14, v24, v16, -v38
	v_add_f32_e32 v36, v36, v46
	v_add_f32_e32 v34, v35, v34
	s_waitcnt lgkmcnt(1)
	v_mul_f32_e32 v17, v41, v19
	v_add_f32_e32 v24, v37, v15
	v_fmac_f32_e32 v39, v25, v16
	v_mul_f32_e32 v25, v40, v19
	v_add_f32_e32 v22, v22, v14
	v_fma_f32 v35, v40, v18, -v17
	ds_read2_b64 v[14:17], v9 offset0:192 offset1:208
	v_mul_f32_e32 v37, v41, v21
	v_fmac_f32_e32 v25, v41, v18
	v_add_f32_e32 v38, v23, v39
	v_add_f32_e32 v5, v5, v35
	v_mul_f32_e32 v23, v40, v21
	v_fma_f32 v35, v40, v20, -v37
	v_add_f32_e32 v32, v32, v25
	v_mul_f32_e32 v25, v27, v19
	v_mul_f32_e32 v19, v26, v19
	v_fmac_f32_e32 v23, v41, v20
	v_add_f32_e32 v33, v33, v35
	v_mul_f32_e32 v35, v27, v21
	v_fma_f32 v25, v26, v18, -v25
	v_fmac_f32_e32 v19, v27, v18
	v_add_f32_e32 v18, v36, v23
	v_mul_f32_e32 v21, v26, v21
	v_fma_f32 v23, v26, v20, -v35
	v_add_f32_e32 v26, v34, v25
	v_add_f32_e32 v19, v24, v19
	s_waitcnt lgkmcnt(0)
	v_mul_f32_e32 v34, v43, v15
	v_fmac_f32_e32 v21, v27, v20
	v_add_f32_e32 v20, v22, v23
	ds_read2_b64 v[22:25], v9 offset0:224 offset1:240
	v_mul_f32_e32 v27, v42, v15
	v_fma_f32 v34, v42, v14, -v34
	v_mul_f32_e32 v35, v43, v17
	v_mul_f32_e32 v36, v42, v17
	v_add_f32_e32 v21, v38, v21
	v_fmac_f32_e32 v27, v43, v14
	v_add_f32_e32 v5, v5, v34
	v_mul_f32_e32 v34, v29, v15
	v_fma_f32 v35, v42, v16, -v35
	v_fmac_f32_e32 v36, v43, v16
	v_add_f32_e32 v27, v32, v27
	v_mul_f32_e32 v15, v28, v15
	v_fma_f32 v32, v28, v14, -v34
	v_mul_f32_e32 v34, v29, v17
	v_add_f32_e32 v33, v33, v35
	v_add_f32_e32 v35, v18, v36
	v_fmac_f32_e32 v15, v29, v14
	v_add_f32_e32 v14, v26, v32
	v_mul_f32_e32 v17, v28, v17
	v_fma_f32 v18, v28, v16, -v34
	s_waitcnt lgkmcnt(0)
	v_mul_f32_e32 v26, v45, v23
	v_mul_f32_e32 v28, v44, v23
	v_add_f32_e32 v15, v19, v15
	v_fmac_f32_e32 v17, v29, v16
	v_add_f32_e32 v29, v20, v18
	v_fma_f32 v16, v44, v22, -v26
	v_mul_f32_e32 v18, v45, v25
	v_mul_f32_e32 v19, v44, v25
	v_add_f32_e32 v26, v21, v17
	v_mul_f32_e32 v17, v30, v23
	v_add_f32_e32 v20, v5, v16
	v_fma_f32 v5, v44, v24, -v18
	v_mul_f32_e32 v16, v31, v23
	v_mul_f32_e32 v23, v31, v25
	;; [unrolled: 1-line block ×3, first 2 shown]
	v_fmac_f32_e32 v28, v45, v22
	v_fmac_f32_e32 v19, v45, v24
	v_add_f32_e32 v18, v33, v5
	v_fma_f32 v5, v30, v22, -v16
	v_fmac_f32_e32 v17, v31, v22
	v_fma_f32 v22, v30, v24, -v23
	v_fmac_f32_e32 v25, v31, v24
	v_add_f32_e32 v21, v27, v28
	v_add_f32_e32 v19, v35, v19
	;; [unrolled: 1-line block ×6, first 2 shown]
	s_barrier
	buffer_gl0_inv
	s_cbranch_scc0 .LBB360_16
.LBB360_8:                              ; =>This Inner Loop Header: Depth=1
	v_add_nc_u32_e32 v5, s9, v10
	v_cmp_le_i32_e32 vcc_lo, s21, v5
	s_or_b32 s6, s1, vcc_lo
	s_and_saveexec_b32 s7, s6
	s_xor_b32 s6, exec_lo, s7
; %bb.9:                                ;   in Loop: Header=BB360_8 Depth=1
	v_mov_b32_e32 v5, v4
	ds_write_b64 v11, v[4:5]
; %bb.10:                               ;   in Loop: Header=BB360_8 Depth=1
	s_andn2_saveexec_b32 s6, s6
	s_cbranch_execz .LBB360_12
; %bb.11:                               ;   in Loop: Header=BB360_8 Depth=1
	flat_load_dwordx2 v[22:23], v[2:3]
	s_waitcnt vmcnt(0) lgkmcnt(0)
	ds_write_b64 v11, v[22:23]
.LBB360_12:                             ;   in Loop: Header=BB360_8 Depth=1
	s_or_b32 exec_lo, exec_lo, s6
	v_add_nc_u32_e32 v5, s9, v8
	v_cmp_le_i32_e32 vcc_lo, s21, v5
	s_or_b32 s6, vcc_lo, s0
	s_and_saveexec_b32 s7, s6
	s_xor_b32 s6, exec_lo, s7
; %bb.13:                               ;   in Loop: Header=BB360_8 Depth=1
	v_mov_b32_e32 v5, v4
	ds_write_b64 v12, v[4:5]
; %bb.14:                               ;   in Loop: Header=BB360_8 Depth=1
	s_andn2_saveexec_b32 s6, s6
	s_cbranch_execz .LBB360_7
; %bb.15:                               ;   in Loop: Header=BB360_8 Depth=1
	flat_load_dwordx2 v[22:23], v[6:7]
	s_waitcnt vmcnt(0) lgkmcnt(0)
	ds_write_b64 v12, v[22:23]
	s_branch .LBB360_7
.LBB360_16:
	s_clause 0x1
	s_load_dword s2, s[4:5], 0x50
	s_load_dwordx2 s[4:5], s[4:5], 0x58
	v_add_nc_u32_e32 v9, s27, v1
	v_add_nc_u32_e32 v0, s8, v0
	v_cmp_neq_f32_e64 s6, s10, 0
	v_cmp_gt_i32_e64 s0, s20, v9
	v_cmp_le_i32_e32 vcc_lo, v0, v9
	s_waitcnt lgkmcnt(0)
	v_mad_i64_i32 v[1:2], null, v9, s2, 0
	s_lshl_b64 s[4:5], s[4:5], 3
	s_add_u32 s3, s22, s4
	s_addc_u32 s4, s23, s5
	s_xor_b32 s5, s26, -1
	s_or_b32 s5, s6, s5
	v_lshlrev_b64 v[2:3], 3, v[1:2]
	v_ashrrev_i32_e32 v1, 31, v0
	v_cndmask_b32_e64 v8, 0, 1, s5
	s_and_b32 s6, s0, vcc_lo
	v_add_co_u32 v6, s1, s3, v2
	v_add_co_ci_u32_e64 v7, null, s4, v3, s1
	s_and_saveexec_b32 s1, s6
	s_cbranch_execz .LBB360_20
; %bb.17:
	v_lshlrev_b64 v[4:5], 3, v[0:1]
	v_mul_f32_e32 v2, s15, v21
	v_mul_f32_e32 v3, s14, v21
	v_fma_f32 v2, v20, s14, -v2
	v_add_co_u32 v4, vcc_lo, v6, v4
	v_fmac_f32_e32 v3, s15, v20
	v_add_co_ci_u32_e64 v5, null, v7, v5, vcc_lo
	s_andn2_b32 vcc_lo, exec_lo, s5
	s_cbranch_vccnz .LBB360_19
; %bb.18:
	flat_load_dwordx2 v[10:11], v[4:5]
	s_waitcnt vmcnt(0) lgkmcnt(0)
	v_mul_f32_e32 v12, s11, v11
	v_mul_f32_e32 v11, s10, v11
	v_fma_f32 v12, v10, s10, -v12
	v_fmac_f32_e32 v11, s11, v10
	v_add_f32_e32 v2, v2, v12
	v_add_f32_e32 v3, v3, v11
.LBB360_19:
	flat_store_dwordx2 v[4:5], v[2:3]
.LBB360_20:
	s_or_b32 exec_lo, exec_lo, s1
	v_add_nc_u32_e32 v2, 16, v0
	v_cmp_le_i32_e32 vcc_lo, v2, v9
	v_ashrrev_i32_e32 v3, 31, v2
	s_and_b32 s0, s0, vcc_lo
	s_and_saveexec_b32 s1, s0
	s_cbranch_execz .LBB360_24
; %bb.21:
	v_lshlrev_b64 v[10:11], 3, v[2:3]
	v_mul_f32_e32 v4, s15, v19
	v_mul_f32_e32 v5, s14, v19
	v_cmp_ne_u32_e32 vcc_lo, 1, v8
	v_fma_f32 v4, v18, s14, -v4
	v_add_co_u32 v6, s0, v6, v10
	v_fmac_f32_e32 v5, s15, v18
	v_add_co_ci_u32_e64 v7, null, v7, v11, s0
	s_cbranch_vccnz .LBB360_23
; %bb.22:
	flat_load_dwordx2 v[10:11], v[6:7]
	s_waitcnt vmcnt(0) lgkmcnt(0)
	v_mul_f32_e32 v12, s11, v11
	v_mul_f32_e32 v11, s10, v11
	v_fma_f32 v12, v10, s10, -v12
	v_fmac_f32_e32 v11, s11, v10
	v_add_f32_e32 v4, v4, v12
	v_add_f32_e32 v5, v5, v11
.LBB360_23:
	flat_store_dwordx2 v[6:7], v[4:5]
.LBB360_24:
	s_or_b32 exec_lo, exec_lo, s1
	v_add_nc_u32_e32 v9, 16, v9
	v_mad_i64_i32 v[4:5], null, v9, s2, 0
	v_cmp_gt_i32_e64 s0, s20, v9
	v_cmp_le_i32_e32 vcc_lo, v0, v9
	v_lshlrev_b64 v[4:5], 3, v[4:5]
	v_add_co_u32 v6, s1, s3, v4
	v_add_co_ci_u32_e64 v7, null, s4, v5, s1
	s_and_b32 s1, s0, vcc_lo
	s_and_saveexec_b32 s2, s1
	s_cbranch_execz .LBB360_28
; %bb.25:
	v_lshlrev_b64 v[0:1], 3, v[0:1]
	v_mul_f32_e32 v4, s15, v17
	v_mul_f32_e32 v5, s14, v17
	v_cmp_ne_u32_e32 vcc_lo, 1, v8
	v_fma_f32 v4, v16, s14, -v4
	v_add_co_u32 v0, s1, v6, v0
	v_fmac_f32_e32 v5, s15, v16
	v_add_co_ci_u32_e64 v1, null, v7, v1, s1
	s_cbranch_vccnz .LBB360_27
; %bb.26:
	flat_load_dwordx2 v[10:11], v[0:1]
	s_waitcnt vmcnt(0) lgkmcnt(0)
	v_mul_f32_e32 v12, s11, v11
	v_mul_f32_e32 v11, s10, v11
	v_fma_f32 v12, v10, s10, -v12
	v_fmac_f32_e32 v11, s11, v10
	v_add_f32_e32 v4, v4, v12
	v_add_f32_e32 v5, v5, v11
.LBB360_27:
	flat_store_dwordx2 v[0:1], v[4:5]
.LBB360_28:
	s_or_b32 exec_lo, exec_lo, s2
	v_cmp_le_i32_e32 vcc_lo, v2, v9
	s_and_b32 s0, s0, vcc_lo
	s_and_saveexec_b32 s1, s0
	s_cbranch_execz .LBB360_32
; %bb.29:
	v_lshlrev_b64 v[2:3], 3, v[2:3]
	v_mul_f32_e32 v0, s15, v15
	v_mul_f32_e32 v1, s14, v15
	v_cmp_ne_u32_e32 vcc_lo, 1, v8
	v_fma_f32 v0, v14, s14, -v0
	v_add_co_u32 v2, s0, v6, v2
	v_fmac_f32_e32 v1, s15, v14
	v_add_co_ci_u32_e64 v3, null, v7, v3, s0
	s_cbranch_vccnz .LBB360_31
; %bb.30:
	flat_load_dwordx2 v[4:5], v[2:3]
	s_waitcnt vmcnt(0) lgkmcnt(0)
	v_mul_f32_e32 v6, s11, v5
	v_mul_f32_e32 v5, s10, v5
	v_fma_f32 v6, v4, s10, -v6
	v_fmac_f32_e32 v5, s11, v4
	v_add_f32_e32 v0, v0, v6
	v_add_f32_e32 v1, v1, v5
.LBB360_31:
	flat_store_dwordx2 v[2:3], v[0:1]
.LBB360_32:
	s_endpgm
	.section	.rodata,"a",@progbits
	.p2align	6, 0x0
	.amdhsa_kernel _ZL29rocblas_internal_gemmt_kernelIiLi16ELi32ELi8ELc78ELc78ELc85ELb0ELb0E19rocblas_complex_numIfEPKS1_PKS3_PKPS1_EviT_T9_T10_S9_lSB_S9_lSA_T11_S9_li
		.amdhsa_group_segment_fixed_size 4096
		.amdhsa_private_segment_fixed_size 0
		.amdhsa_kernarg_size 100
		.amdhsa_user_sgpr_count 6
		.amdhsa_user_sgpr_private_segment_buffer 1
		.amdhsa_user_sgpr_dispatch_ptr 0
		.amdhsa_user_sgpr_queue_ptr 0
		.amdhsa_user_sgpr_kernarg_segment_ptr 1
		.amdhsa_user_sgpr_dispatch_id 0
		.amdhsa_user_sgpr_flat_scratch_init 0
		.amdhsa_user_sgpr_private_segment_size 0
		.amdhsa_wavefront_size32 1
		.amdhsa_uses_dynamic_stack 0
		.amdhsa_system_sgpr_private_segment_wavefront_offset 0
		.amdhsa_system_sgpr_workgroup_id_x 1
		.amdhsa_system_sgpr_workgroup_id_y 1
		.amdhsa_system_sgpr_workgroup_id_z 1
		.amdhsa_system_sgpr_workgroup_info 0
		.amdhsa_system_vgpr_workitem_id 1
		.amdhsa_next_free_vgpr 59
		.amdhsa_next_free_sgpr 28
		.amdhsa_reserve_vcc 1
		.amdhsa_reserve_flat_scratch 0
		.amdhsa_float_round_mode_32 0
		.amdhsa_float_round_mode_16_64 0
		.amdhsa_float_denorm_mode_32 3
		.amdhsa_float_denorm_mode_16_64 3
		.amdhsa_dx10_clamp 1
		.amdhsa_ieee_mode 1
		.amdhsa_fp16_overflow 0
		.amdhsa_workgroup_processor_mode 1
		.amdhsa_memory_ordered 1
		.amdhsa_forward_progress 1
		.amdhsa_shared_vgpr_count 0
		.amdhsa_exception_fp_ieee_invalid_op 0
		.amdhsa_exception_fp_denorm_src 0
		.amdhsa_exception_fp_ieee_div_zero 0
		.amdhsa_exception_fp_ieee_overflow 0
		.amdhsa_exception_fp_ieee_underflow 0
		.amdhsa_exception_fp_ieee_inexact 0
		.amdhsa_exception_int_div_zero 0
	.end_amdhsa_kernel
	.section	.text._ZL29rocblas_internal_gemmt_kernelIiLi16ELi32ELi8ELc78ELc78ELc85ELb0ELb0E19rocblas_complex_numIfEPKS1_PKS3_PKPS1_EviT_T9_T10_S9_lSB_S9_lSA_T11_S9_li,"axG",@progbits,_ZL29rocblas_internal_gemmt_kernelIiLi16ELi32ELi8ELc78ELc78ELc85ELb0ELb0E19rocblas_complex_numIfEPKS1_PKS3_PKPS1_EviT_T9_T10_S9_lSB_S9_lSA_T11_S9_li,comdat
.Lfunc_end360:
	.size	_ZL29rocblas_internal_gemmt_kernelIiLi16ELi32ELi8ELc78ELc78ELc85ELb0ELb0E19rocblas_complex_numIfEPKS1_PKS3_PKPS1_EviT_T9_T10_S9_lSB_S9_lSA_T11_S9_li, .Lfunc_end360-_ZL29rocblas_internal_gemmt_kernelIiLi16ELi32ELi8ELc78ELc78ELc85ELb0ELb0E19rocblas_complex_numIfEPKS1_PKS3_PKPS1_EviT_T9_T10_S9_lSB_S9_lSA_T11_S9_li
                                        ; -- End function
	.set _ZL29rocblas_internal_gemmt_kernelIiLi16ELi32ELi8ELc78ELc78ELc85ELb0ELb0E19rocblas_complex_numIfEPKS1_PKS3_PKPS1_EviT_T9_T10_S9_lSB_S9_lSA_T11_S9_li.num_vgpr, 59
	.set _ZL29rocblas_internal_gemmt_kernelIiLi16ELi32ELi8ELc78ELc78ELc85ELb0ELb0E19rocblas_complex_numIfEPKS1_PKS3_PKPS1_EviT_T9_T10_S9_lSB_S9_lSA_T11_S9_li.num_agpr, 0
	.set _ZL29rocblas_internal_gemmt_kernelIiLi16ELi32ELi8ELc78ELc78ELc85ELb0ELb0E19rocblas_complex_numIfEPKS1_PKS3_PKPS1_EviT_T9_T10_S9_lSB_S9_lSA_T11_S9_li.numbered_sgpr, 28
	.set _ZL29rocblas_internal_gemmt_kernelIiLi16ELi32ELi8ELc78ELc78ELc85ELb0ELb0E19rocblas_complex_numIfEPKS1_PKS3_PKPS1_EviT_T9_T10_S9_lSB_S9_lSA_T11_S9_li.num_named_barrier, 0
	.set _ZL29rocblas_internal_gemmt_kernelIiLi16ELi32ELi8ELc78ELc78ELc85ELb0ELb0E19rocblas_complex_numIfEPKS1_PKS3_PKPS1_EviT_T9_T10_S9_lSB_S9_lSA_T11_S9_li.private_seg_size, 0
	.set _ZL29rocblas_internal_gemmt_kernelIiLi16ELi32ELi8ELc78ELc78ELc85ELb0ELb0E19rocblas_complex_numIfEPKS1_PKS3_PKPS1_EviT_T9_T10_S9_lSB_S9_lSA_T11_S9_li.uses_vcc, 1
	.set _ZL29rocblas_internal_gemmt_kernelIiLi16ELi32ELi8ELc78ELc78ELc85ELb0ELb0E19rocblas_complex_numIfEPKS1_PKS3_PKPS1_EviT_T9_T10_S9_lSB_S9_lSA_T11_S9_li.uses_flat_scratch, 0
	.set _ZL29rocblas_internal_gemmt_kernelIiLi16ELi32ELi8ELc78ELc78ELc85ELb0ELb0E19rocblas_complex_numIfEPKS1_PKS3_PKPS1_EviT_T9_T10_S9_lSB_S9_lSA_T11_S9_li.has_dyn_sized_stack, 0
	.set _ZL29rocblas_internal_gemmt_kernelIiLi16ELi32ELi8ELc78ELc78ELc85ELb0ELb0E19rocblas_complex_numIfEPKS1_PKS3_PKPS1_EviT_T9_T10_S9_lSB_S9_lSA_T11_S9_li.has_recursion, 0
	.set _ZL29rocblas_internal_gemmt_kernelIiLi16ELi32ELi8ELc78ELc78ELc85ELb0ELb0E19rocblas_complex_numIfEPKS1_PKS3_PKPS1_EviT_T9_T10_S9_lSB_S9_lSA_T11_S9_li.has_indirect_call, 0
	.section	.AMDGPU.csdata,"",@progbits
; Kernel info:
; codeLenInByte = 2532
; TotalNumSgprs: 30
; NumVgprs: 59
; ScratchSize: 0
; MemoryBound: 1
; FloatMode: 240
; IeeeMode: 1
; LDSByteSize: 4096 bytes/workgroup (compile time only)
; SGPRBlocks: 0
; VGPRBlocks: 7
; NumSGPRsForWavesPerEU: 30
; NumVGPRsForWavesPerEU: 59
; Occupancy: 16
; WaveLimiterHint : 1
; COMPUTE_PGM_RSRC2:SCRATCH_EN: 0
; COMPUTE_PGM_RSRC2:USER_SGPR: 6
; COMPUTE_PGM_RSRC2:TRAP_HANDLER: 0
; COMPUTE_PGM_RSRC2:TGID_X_EN: 1
; COMPUTE_PGM_RSRC2:TGID_Y_EN: 1
; COMPUTE_PGM_RSRC2:TGID_Z_EN: 1
; COMPUTE_PGM_RSRC2:TIDIG_COMP_CNT: 1
	.section	.text._ZL29rocblas_internal_gemmt_kernelIiLi16ELi32ELi8ELc78ELc84ELc85ELb0ELb0E19rocblas_complex_numIfEPKS1_PKS3_PKPS1_EviT_T9_T10_S9_lSB_S9_lSA_T11_S9_li,"axG",@progbits,_ZL29rocblas_internal_gemmt_kernelIiLi16ELi32ELi8ELc78ELc84ELc85ELb0ELb0E19rocblas_complex_numIfEPKS1_PKS3_PKPS1_EviT_T9_T10_S9_lSB_S9_lSA_T11_S9_li,comdat
	.globl	_ZL29rocblas_internal_gemmt_kernelIiLi16ELi32ELi8ELc78ELc84ELc85ELb0ELb0E19rocblas_complex_numIfEPKS1_PKS3_PKPS1_EviT_T9_T10_S9_lSB_S9_lSA_T11_S9_li ; -- Begin function _ZL29rocblas_internal_gemmt_kernelIiLi16ELi32ELi8ELc78ELc84ELc85ELb0ELb0E19rocblas_complex_numIfEPKS1_PKS3_PKPS1_EviT_T9_T10_S9_lSB_S9_lSA_T11_S9_li
	.p2align	8
	.type	_ZL29rocblas_internal_gemmt_kernelIiLi16ELi32ELi8ELc78ELc84ELc85ELb0ELb0E19rocblas_complex_numIfEPKS1_PKS3_PKPS1_EviT_T9_T10_S9_lSB_S9_lSA_T11_S9_li,@function
_ZL29rocblas_internal_gemmt_kernelIiLi16ELi32ELi8ELc78ELc84ELc85ELb0ELb0E19rocblas_complex_numIfEPKS1_PKS3_PKPS1_EviT_T9_T10_S9_lSB_S9_lSA_T11_S9_li: ; @_ZL29rocblas_internal_gemmt_kernelIiLi16ELi32ELi8ELc78ELc84ELc85ELb0ELb0E19rocblas_complex_numIfEPKS1_PKS3_PKPS1_EviT_T9_T10_S9_lSB_S9_lSA_T11_S9_li
; %bb.0:
	s_clause 0x1
	s_load_dwordx4 s[12:15], s[4:5], 0x38
	s_load_dwordx4 s[0:3], s[4:5], 0x8
	s_waitcnt lgkmcnt(0)
	s_load_dwordx2 s[10:11], s[14:15], 0x0
	s_load_dwordx2 s[20:21], s[4:5], 0x0
	;; [unrolled: 1-line block ×3, first 2 shown]
	s_waitcnt lgkmcnt(0)
	s_and_b32 s0, s11, 0x7fffffff
	v_cmp_eq_f32_e64 s1, s10, 1.0
	s_cmp_eq_u32 s0, 0
	s_mov_b32 s0, 0
	s_cselect_b32 s28, -1, 0
	s_and_b32 s1, s1, s28
	s_andn2_b32 vcc_lo, exec_lo, s1
	s_mov_b32 s1, -1
	s_cbranch_vccnz .LBB361_4
; %bb.1:
	s_cmp_lg_u32 s21, 0
	s_cbranch_scc0 .LBB361_3
; %bb.2:
	v_cmp_neq_f32_e64 s0, s14, 0
	v_cmp_neq_f32_e64 s1, s15, 0
	s_or_b32 s0, s0, s1
.LBB361_3:
	s_mov_b32 s1, s0
.LBB361_4:
	s_and_b32 vcc_lo, exec_lo, s1
	s_cbranch_vccz .LBB361_32
; %bb.5:
	s_load_dwordx2 s[0:1], s[4:5], 0x48
	s_mov_b32 s9, 0
	v_cmp_eq_f32_e64 s16, s14, 0
	s_lshl_b64 s[26:27], s[8:9], 3
	v_cmp_eq_f32_e64 s17, s15, 0
	v_mov_b32_e32 v20, 0
	v_mov_b32_e32 v21, 0
	;; [unrolled: 1-line block ×8, first 2 shown]
	s_waitcnt lgkmcnt(0)
	s_add_u32 s0, s0, s26
	s_addc_u32 s1, s1, s27
	s_lshl_b32 s8, s6, 5
	s_load_dwordx2 s[22:23], s[0:1], 0x0
	s_lshl_b32 s29, s7, 5
	s_and_b32 s0, s16, s17
	s_cmp_lt_i32 s21, 1
	s_cselect_b32 s1, -1, 0
	s_or_b32 s0, s0, s1
	s_and_b32 vcc_lo, exec_lo, s0
	s_cbranch_vccnz .LBB361_16
; %bb.6:
	s_clause 0x2
	s_load_dword s24, s[4:5], 0x18
	s_load_dword s6, s[4:5], 0x30
	s_load_dwordx4 s[16:19], s[4:5], 0x20
	v_lshl_add_u32 v2, v1, 4, v0
	v_and_b32_e32 v8, 7, v0
	v_lshlrev_b32_e32 v12, 3, v0
	v_lshl_add_u32 v13, v1, 6, 0x800
	v_mov_b32_e32 v19, 0
	v_and_b32_e32 v3, 31, v2
	v_lshrrev_b32_e32 v4, 3, v2
	v_lshlrev_b32_e32 v5, 3, v8
	v_lshrrev_b32_e32 v9, 5, v2
	v_mov_b32_e32 v18, 0
	v_or_b32_e32 v6, s8, v3
	v_lshlrev_b32_e32 v7, 3, v3
	v_lshl_or_b32 v11, v4, 6, v5
	v_add_nc_u32_e32 v2, s29, v4
	v_add_nc_u32_e32 v4, s8, v3
	v_cmp_gt_i32_e32 vcc_lo, s20, v6
	v_lshl_or_b32 v10, v9, 8, v7
	s_waitcnt lgkmcnt(0)
	s_ashr_i32 s25, s24, 31
	s_ashr_i32 s7, s6, 31
	v_mad_i64_i32 v[5:6], null, v9, s24, 0
	s_add_u32 s18, s18, s26
	s_addc_u32 s19, s19, s27
	s_add_u32 s2, s2, s26
	s_addc_u32 s3, s3, s27
	s_load_dwordx2 s[18:19], s[18:19], 0x0
	s_load_dwordx2 s[2:3], s[2:3], 0x0
	v_mad_i64_i32 v[14:15], null, s6, v8, 0
	v_lshlrev_b64 v[6:7], 3, v[5:6]
	v_ashrrev_i32_e32 v5, 31, v4
	s_lshl_b64 s[16:17], s[16:17], 3
	v_ashrrev_i32_e32 v3, 31, v2
	s_lshl_b64 s[12:13], s[12:13], 3
	v_cmp_gt_i32_e64 s0, s20, v2
	v_lshlrev_b64 v[4:5], 3, v[4:5]
	v_add_co_u32 v16, s1, v6, s16
	v_add_co_ci_u32_e64 v17, null, s17, v7, s1
	v_lshlrev_b64 v[6:7], 3, v[14:15]
	v_add_co_u32 v14, s1, v16, v4
	v_add_co_ci_u32_e64 v15, null, v17, v5, s1
	;; [unrolled: 3-line block ×3, first 2 shown]
	s_waitcnt lgkmcnt(0)
	v_add_co_u32 v2, s1, s2, v14
	v_add_co_ci_u32_e64 v3, null, s3, v15, s1
	v_add_co_u32 v4, s1, v6, v4
	v_add_co_ci_u32_e64 v5, null, v7, v5, s1
	v_add_nc_u32_e32 v11, 0x800, v11
	v_add_co_u32 v4, s1, s18, v4
	v_add_co_ci_u32_e64 v5, null, s19, v5, s1
	v_mov_b32_e32 v6, 0
	v_mov_b32_e32 v15, 0
	;; [unrolled: 1-line block ×7, first 2 shown]
	s_lshl_b64 s[2:3], s[24:25], 6
	s_lshl_b64 s[6:7], s[6:7], 6
	s_xor_b32 s1, vcc_lo, -1
	s_xor_b32 s0, s0, -1
	s_branch .LBB361_8
.LBB361_7:                              ;   in Loop: Header=BB361_8 Depth=1
	s_or_b32 exec_lo, exec_lo, s12
	s_waitcnt lgkmcnt(0)
	s_barrier
	buffer_gl0_inv
	ds_read_b128 v[22:25], v13
	ds_read2_b64 v[26:29], v12 offset1:16
	ds_read_b128 v[30:33], v13 offset:1024
	ds_read_b128 v[34:37], v13 offset:16
	;; [unrolled: 1-line block ×4, first 2 shown]
	ds_read2_b64 v[46:49], v12 offset0:32 offset1:48
	ds_read_b128 v[50:53], v13 offset:1040
	v_add_co_u32 v2, vcc_lo, v2, s2
	v_add_co_ci_u32_e64 v3, null, s3, v3, vcc_lo
	v_add_co_u32 v4, vcc_lo, v4, s6
	v_add_co_ci_u32_e64 v5, null, s7, v5, vcc_lo
	s_add_i32 s9, s9, 8
	s_cmp_lt_i32 s9, s21
	s_waitcnt lgkmcnt(6)
	v_mul_f32_e32 v7, v23, v27
	v_mul_f32_e32 v54, v22, v27
	;; [unrolled: 1-line block ×4, first 2 shown]
	s_waitcnt lgkmcnt(5)
	v_mul_f32_e32 v57, v31, v27
	v_mul_f32_e32 v27, v30, v27
	;; [unrolled: 1-line block ×3, first 2 shown]
	v_fma_f32 v7, v22, v26, -v7
	v_fmac_f32_e32 v54, v23, v26
	v_fma_f32 v22, v22, v28, -v55
	v_fmac_f32_e32 v56, v23, v28
	;; [unrolled: 2-line block ×3, first 2 shown]
	v_mul_f32_e32 v29, v30, v29
	v_fma_f32 v26, v30, v28, -v58
	v_add_f32_e32 v7, v20, v7
	v_add_f32_e32 v20, v21, v54
	;; [unrolled: 1-line block ×6, first 2 shown]
	s_waitcnt lgkmcnt(1)
	v_mul_f32_e32 v30, v25, v47
	ds_read2_b64 v[16:19], v12 offset0:64 offset1:80
	v_fmac_f32_e32 v29, v31, v28
	v_add_f32_e32 v14, v14, v26
	v_mul_f32_e32 v26, v24, v47
	v_fma_f32 v28, v24, v46, -v30
	v_mul_f32_e32 v30, v25, v49
	v_add_f32_e32 v15, v15, v29
	v_mul_f32_e32 v29, v24, v49
	v_fmac_f32_e32 v26, v25, v46
	v_add_f32_e32 v7, v7, v28
	v_fma_f32 v24, v24, v48, -v30
	v_mul_f32_e32 v28, v33, v47
	v_fmac_f32_e32 v29, v25, v48
	v_add_f32_e32 v26, v20, v26
	v_mul_f32_e32 v20, v32, v47
	v_add_f32_e32 v24, v21, v24
	v_fma_f32 v21, v32, v46, -v28
	v_mul_f32_e32 v25, v33, v49
	v_add_f32_e32 v28, v22, v29
	v_fmac_f32_e32 v20, v33, v46
	v_mul_f32_e32 v29, v32, v49
	v_add_f32_e32 v30, v23, v21
	v_fma_f32 v21, v32, v48, -v25
	s_waitcnt lgkmcnt(0)
	v_mul_f32_e32 v22, v35, v17
	v_add_f32_e32 v25, v27, v20
	v_fmac_f32_e32 v29, v33, v48
	v_mul_f32_e32 v27, v34, v17
	v_add_f32_e32 v14, v14, v21
	v_fma_f32 v31, v34, v16, -v22
	v_mul_f32_e32 v32, v35, v19
	ds_read2_b64 v[20:23], v12 offset0:96 offset1:112
	v_fmac_f32_e32 v27, v35, v16
	v_add_f32_e32 v29, v15, v29
	v_add_f32_e32 v7, v7, v31
	v_mul_f32_e32 v15, v34, v19
	v_fma_f32 v31, v34, v18, -v32
	v_add_f32_e32 v26, v26, v27
	v_mul_f32_e32 v27, v51, v17
	v_mul_f32_e32 v17, v50, v17
	v_fmac_f32_e32 v15, v35, v18
	v_add_f32_e32 v24, v24, v31
	v_mul_f32_e32 v31, v51, v19
	v_mul_f32_e32 v19, v50, v19
	v_fmac_f32_e32 v17, v51, v16
	v_add_f32_e32 v28, v28, v15
	v_fma_f32 v27, v50, v16, -v27
	v_fma_f32 v15, v50, v18, -v31
	v_fmac_f32_e32 v19, v51, v18
	v_add_f32_e32 v31, v25, v17
	s_waitcnt lgkmcnt(0)
	v_mul_f32_e32 v18, v37, v21
	v_add_f32_e32 v32, v14, v15
	ds_read2_b64 v[14:17], v12 offset0:128 offset1:144
	v_add_f32_e32 v30, v30, v27
	v_mul_f32_e32 v25, v36, v21
	v_fma_f32 v18, v36, v20, -v18
	v_mul_f32_e32 v27, v37, v23
	v_add_f32_e32 v29, v29, v19
	v_mul_f32_e32 v19, v36, v23
	v_fmac_f32_e32 v25, v37, v20
	v_add_f32_e32 v7, v7, v18
	v_mul_f32_e32 v18, v53, v21
	v_fma_f32 v27, v36, v22, -v27
	v_fmac_f32_e32 v19, v37, v22
	v_mul_f32_e32 v21, v52, v21
	v_mul_f32_e32 v35, v53, v23
	v_fma_f32 v18, v52, v20, -v18
	v_add_f32_e32 v33, v26, v25
	v_add_f32_e32 v34, v24, v27
	ds_read_b128 v[24:27], v13 offset:1056
	v_add_f32_e32 v36, v28, v19
	v_fmac_f32_e32 v21, v53, v20
	v_mul_f32_e32 v23, v52, v23
	v_fma_f32 v19, v52, v22, -v35
	v_add_f32_e32 v35, v30, v18
	s_waitcnt lgkmcnt(1)
	v_mul_f32_e32 v18, v39, v15
	v_add_f32_e32 v37, v31, v21
	v_fmac_f32_e32 v23, v53, v22
	v_add_f32_e32 v22, v32, v19
	v_mul_f32_e32 v32, v38, v15
	v_fma_f32 v28, v38, v14, -v18
	ds_read2_b64 v[18:21], v12 offset0:160 offset1:176
	v_mul_f32_e32 v30, v39, v17
	v_mul_f32_e32 v46, v38, v17
	v_fmac_f32_e32 v32, v39, v14
	v_add_f32_e32 v23, v29, v23
	v_add_f32_e32 v7, v7, v28
	v_fma_f32 v38, v38, v16, -v30
	ds_read_b128 v[28:31], v13 offset:1072
	s_waitcnt lgkmcnt(2)
	v_mul_f32_e32 v47, v25, v15
	v_add_f32_e32 v32, v33, v32
	v_mul_f32_e32 v15, v24, v15
	v_add_f32_e32 v33, v34, v38
	v_mul_f32_e32 v38, v25, v17
	v_fmac_f32_e32 v46, v39, v16
	v_fma_f32 v34, v24, v14, -v47
	v_fmac_f32_e32 v15, v25, v14
	v_mul_f32_e32 v39, v24, v17
	v_fma_f32 v14, v24, v16, -v38
	v_add_f32_e32 v36, v36, v46
	v_add_f32_e32 v34, v35, v34
	s_waitcnt lgkmcnt(1)
	v_mul_f32_e32 v17, v41, v19
	v_add_f32_e32 v24, v37, v15
	v_fmac_f32_e32 v39, v25, v16
	v_mul_f32_e32 v25, v40, v19
	v_add_f32_e32 v22, v22, v14
	v_fma_f32 v35, v40, v18, -v17
	ds_read2_b64 v[14:17], v12 offset0:192 offset1:208
	v_mul_f32_e32 v37, v41, v21
	v_fmac_f32_e32 v25, v41, v18
	v_add_f32_e32 v38, v23, v39
	v_add_f32_e32 v7, v7, v35
	v_mul_f32_e32 v23, v40, v21
	v_fma_f32 v35, v40, v20, -v37
	v_add_f32_e32 v32, v32, v25
	v_mul_f32_e32 v25, v27, v19
	v_mul_f32_e32 v19, v26, v19
	v_fmac_f32_e32 v23, v41, v20
	v_add_f32_e32 v33, v33, v35
	v_mul_f32_e32 v35, v27, v21
	v_fma_f32 v25, v26, v18, -v25
	v_fmac_f32_e32 v19, v27, v18
	v_add_f32_e32 v18, v36, v23
	v_mul_f32_e32 v21, v26, v21
	v_fma_f32 v23, v26, v20, -v35
	v_add_f32_e32 v26, v34, v25
	v_add_f32_e32 v19, v24, v19
	s_waitcnt lgkmcnt(0)
	v_mul_f32_e32 v34, v43, v15
	v_fmac_f32_e32 v21, v27, v20
	v_add_f32_e32 v20, v22, v23
	ds_read2_b64 v[22:25], v12 offset0:224 offset1:240
	v_mul_f32_e32 v27, v42, v15
	v_fma_f32 v34, v42, v14, -v34
	v_mul_f32_e32 v35, v43, v17
	v_mul_f32_e32 v36, v42, v17
	v_add_f32_e32 v21, v38, v21
	v_fmac_f32_e32 v27, v43, v14
	v_add_f32_e32 v7, v7, v34
	v_mul_f32_e32 v34, v29, v15
	v_fma_f32 v35, v42, v16, -v35
	v_fmac_f32_e32 v36, v43, v16
	v_add_f32_e32 v27, v32, v27
	v_mul_f32_e32 v15, v28, v15
	v_fma_f32 v32, v28, v14, -v34
	v_mul_f32_e32 v34, v29, v17
	v_add_f32_e32 v33, v33, v35
	v_add_f32_e32 v35, v18, v36
	v_fmac_f32_e32 v15, v29, v14
	v_add_f32_e32 v14, v26, v32
	v_mul_f32_e32 v17, v28, v17
	v_fma_f32 v18, v28, v16, -v34
	s_waitcnt lgkmcnt(0)
	v_mul_f32_e32 v26, v45, v23
	v_mul_f32_e32 v28, v44, v23
	v_add_f32_e32 v15, v19, v15
	v_fmac_f32_e32 v17, v29, v16
	v_add_f32_e32 v29, v20, v18
	v_fma_f32 v16, v44, v22, -v26
	v_mul_f32_e32 v18, v45, v25
	v_mul_f32_e32 v19, v44, v25
	v_add_f32_e32 v26, v21, v17
	v_mul_f32_e32 v17, v30, v23
	v_add_f32_e32 v20, v7, v16
	v_fma_f32 v7, v44, v24, -v18
	v_mul_f32_e32 v16, v31, v23
	v_mul_f32_e32 v23, v31, v25
	v_mul_f32_e32 v25, v30, v25
	v_fmac_f32_e32 v28, v45, v22
	v_fmac_f32_e32 v19, v45, v24
	v_add_f32_e32 v18, v33, v7
	v_fma_f32 v7, v30, v22, -v16
	v_fmac_f32_e32 v17, v31, v22
	v_fma_f32 v22, v30, v24, -v23
	v_fmac_f32_e32 v25, v31, v24
	v_add_f32_e32 v21, v27, v28
	v_add_f32_e32 v19, v35, v19
	;; [unrolled: 1-line block ×6, first 2 shown]
	s_barrier
	buffer_gl0_inv
	s_cbranch_scc0 .LBB361_16
.LBB361_8:                              ; =>This Inner Loop Header: Depth=1
	v_add_nc_u32_e32 v7, s9, v9
	v_cmp_le_i32_e32 vcc_lo, s21, v7
	s_or_b32 s12, s1, vcc_lo
	s_and_saveexec_b32 s13, s12
	s_xor_b32 s12, exec_lo, s13
; %bb.9:                                ;   in Loop: Header=BB361_8 Depth=1
	v_mov_b32_e32 v7, v6
	ds_write_b64 v10, v[6:7]
; %bb.10:                               ;   in Loop: Header=BB361_8 Depth=1
	s_andn2_saveexec_b32 s12, s12
	s_cbranch_execz .LBB361_12
; %bb.11:                               ;   in Loop: Header=BB361_8 Depth=1
	flat_load_dwordx2 v[22:23], v[2:3]
	s_waitcnt vmcnt(0) lgkmcnt(0)
	ds_write_b64 v10, v[22:23]
.LBB361_12:                             ;   in Loop: Header=BB361_8 Depth=1
	s_or_b32 exec_lo, exec_lo, s12
	v_add_nc_u32_e32 v7, s9, v8
	v_cmp_le_i32_e32 vcc_lo, s21, v7
	s_or_b32 s12, vcc_lo, s0
	s_and_saveexec_b32 s13, s12
	s_xor_b32 s12, exec_lo, s13
; %bb.13:                               ;   in Loop: Header=BB361_8 Depth=1
	v_mov_b32_e32 v7, v6
	ds_write_b64 v11, v[6:7]
; %bb.14:                               ;   in Loop: Header=BB361_8 Depth=1
	s_andn2_saveexec_b32 s12, s12
	s_cbranch_execz .LBB361_7
; %bb.15:                               ;   in Loop: Header=BB361_8 Depth=1
	flat_load_dwordx2 v[22:23], v[4:5]
	s_waitcnt vmcnt(0) lgkmcnt(0)
	ds_write_b64 v11, v[22:23]
	s_branch .LBB361_7
.LBB361_16:
	s_clause 0x1
	s_load_dword s2, s[4:5], 0x50
	s_load_dwordx2 s[4:5], s[4:5], 0x58
	v_add_nc_u32_e32 v9, s29, v1
	v_add_nc_u32_e32 v0, s8, v0
	v_cmp_neq_f32_e64 s6, s10, 0
	v_cmp_gt_i32_e64 s0, s20, v9
	v_cmp_le_i32_e32 vcc_lo, v0, v9
	s_waitcnt lgkmcnt(0)
	v_mad_i64_i32 v[1:2], null, v9, s2, 0
	s_lshl_b64 s[4:5], s[4:5], 3
	s_add_u32 s3, s22, s4
	s_addc_u32 s4, s23, s5
	s_xor_b32 s5, s28, -1
	s_or_b32 s5, s6, s5
	v_lshlrev_b64 v[2:3], 3, v[1:2]
	v_ashrrev_i32_e32 v1, 31, v0
	v_cndmask_b32_e64 v8, 0, 1, s5
	s_and_b32 s6, s0, vcc_lo
	v_add_co_u32 v6, s1, s3, v2
	v_add_co_ci_u32_e64 v7, null, s4, v3, s1
	s_and_saveexec_b32 s1, s6
	s_cbranch_execz .LBB361_20
; %bb.17:
	v_lshlrev_b64 v[4:5], 3, v[0:1]
	v_mul_f32_e32 v2, s15, v21
	v_mul_f32_e32 v3, s14, v21
	v_fma_f32 v2, v20, s14, -v2
	v_add_co_u32 v4, vcc_lo, v6, v4
	v_fmac_f32_e32 v3, s15, v20
	v_add_co_ci_u32_e64 v5, null, v7, v5, vcc_lo
	s_andn2_b32 vcc_lo, exec_lo, s5
	s_cbranch_vccnz .LBB361_19
; %bb.18:
	flat_load_dwordx2 v[10:11], v[4:5]
	s_waitcnt vmcnt(0) lgkmcnt(0)
	v_mul_f32_e32 v12, s11, v11
	v_mul_f32_e32 v11, s10, v11
	v_fma_f32 v12, v10, s10, -v12
	v_fmac_f32_e32 v11, s11, v10
	v_add_f32_e32 v2, v2, v12
	v_add_f32_e32 v3, v3, v11
.LBB361_19:
	flat_store_dwordx2 v[4:5], v[2:3]
.LBB361_20:
	s_or_b32 exec_lo, exec_lo, s1
	v_add_nc_u32_e32 v2, 16, v0
	v_cmp_le_i32_e32 vcc_lo, v2, v9
	v_ashrrev_i32_e32 v3, 31, v2
	s_and_b32 s0, s0, vcc_lo
	s_and_saveexec_b32 s1, s0
	s_cbranch_execz .LBB361_24
; %bb.21:
	v_lshlrev_b64 v[10:11], 3, v[2:3]
	v_mul_f32_e32 v4, s15, v19
	v_mul_f32_e32 v5, s14, v19
	v_cmp_ne_u32_e32 vcc_lo, 1, v8
	v_fma_f32 v4, v18, s14, -v4
	v_add_co_u32 v6, s0, v6, v10
	v_fmac_f32_e32 v5, s15, v18
	v_add_co_ci_u32_e64 v7, null, v7, v11, s0
	s_cbranch_vccnz .LBB361_23
; %bb.22:
	flat_load_dwordx2 v[10:11], v[6:7]
	s_waitcnt vmcnt(0) lgkmcnt(0)
	v_mul_f32_e32 v12, s11, v11
	v_mul_f32_e32 v11, s10, v11
	v_fma_f32 v12, v10, s10, -v12
	v_fmac_f32_e32 v11, s11, v10
	v_add_f32_e32 v4, v4, v12
	v_add_f32_e32 v5, v5, v11
.LBB361_23:
	flat_store_dwordx2 v[6:7], v[4:5]
.LBB361_24:
	s_or_b32 exec_lo, exec_lo, s1
	v_add_nc_u32_e32 v9, 16, v9
	v_mad_i64_i32 v[4:5], null, v9, s2, 0
	v_cmp_gt_i32_e64 s0, s20, v9
	v_cmp_le_i32_e32 vcc_lo, v0, v9
	v_lshlrev_b64 v[4:5], 3, v[4:5]
	v_add_co_u32 v6, s1, s3, v4
	v_add_co_ci_u32_e64 v7, null, s4, v5, s1
	s_and_b32 s1, s0, vcc_lo
	s_and_saveexec_b32 s2, s1
	s_cbranch_execz .LBB361_28
; %bb.25:
	v_lshlrev_b64 v[0:1], 3, v[0:1]
	v_mul_f32_e32 v4, s15, v17
	v_mul_f32_e32 v5, s14, v17
	v_cmp_ne_u32_e32 vcc_lo, 1, v8
	v_fma_f32 v4, v16, s14, -v4
	v_add_co_u32 v0, s1, v6, v0
	v_fmac_f32_e32 v5, s15, v16
	v_add_co_ci_u32_e64 v1, null, v7, v1, s1
	s_cbranch_vccnz .LBB361_27
; %bb.26:
	flat_load_dwordx2 v[10:11], v[0:1]
	s_waitcnt vmcnt(0) lgkmcnt(0)
	v_mul_f32_e32 v12, s11, v11
	v_mul_f32_e32 v11, s10, v11
	v_fma_f32 v12, v10, s10, -v12
	v_fmac_f32_e32 v11, s11, v10
	v_add_f32_e32 v4, v4, v12
	v_add_f32_e32 v5, v5, v11
.LBB361_27:
	flat_store_dwordx2 v[0:1], v[4:5]
.LBB361_28:
	s_or_b32 exec_lo, exec_lo, s2
	v_cmp_le_i32_e32 vcc_lo, v2, v9
	s_and_b32 s0, s0, vcc_lo
	s_and_saveexec_b32 s1, s0
	s_cbranch_execz .LBB361_32
; %bb.29:
	v_lshlrev_b64 v[2:3], 3, v[2:3]
	v_mul_f32_e32 v0, s15, v15
	v_mul_f32_e32 v1, s14, v15
	v_cmp_ne_u32_e32 vcc_lo, 1, v8
	v_fma_f32 v0, v14, s14, -v0
	v_add_co_u32 v2, s0, v6, v2
	v_fmac_f32_e32 v1, s15, v14
	v_add_co_ci_u32_e64 v3, null, v7, v3, s0
	s_cbranch_vccnz .LBB361_31
; %bb.30:
	flat_load_dwordx2 v[4:5], v[2:3]
	s_waitcnt vmcnt(0) lgkmcnt(0)
	v_mul_f32_e32 v6, s11, v5
	v_mul_f32_e32 v5, s10, v5
	v_fma_f32 v6, v4, s10, -v6
	v_fmac_f32_e32 v5, s11, v4
	v_add_f32_e32 v0, v0, v6
	v_add_f32_e32 v1, v1, v5
.LBB361_31:
	flat_store_dwordx2 v[2:3], v[0:1]
.LBB361_32:
	s_endpgm
	.section	.rodata,"a",@progbits
	.p2align	6, 0x0
	.amdhsa_kernel _ZL29rocblas_internal_gemmt_kernelIiLi16ELi32ELi8ELc78ELc84ELc85ELb0ELb0E19rocblas_complex_numIfEPKS1_PKS3_PKPS1_EviT_T9_T10_S9_lSB_S9_lSA_T11_S9_li
		.amdhsa_group_segment_fixed_size 4096
		.amdhsa_private_segment_fixed_size 0
		.amdhsa_kernarg_size 100
		.amdhsa_user_sgpr_count 6
		.amdhsa_user_sgpr_private_segment_buffer 1
		.amdhsa_user_sgpr_dispatch_ptr 0
		.amdhsa_user_sgpr_queue_ptr 0
		.amdhsa_user_sgpr_kernarg_segment_ptr 1
		.amdhsa_user_sgpr_dispatch_id 0
		.amdhsa_user_sgpr_flat_scratch_init 0
		.amdhsa_user_sgpr_private_segment_size 0
		.amdhsa_wavefront_size32 1
		.amdhsa_uses_dynamic_stack 0
		.amdhsa_system_sgpr_private_segment_wavefront_offset 0
		.amdhsa_system_sgpr_workgroup_id_x 1
		.amdhsa_system_sgpr_workgroup_id_y 1
		.amdhsa_system_sgpr_workgroup_id_z 1
		.amdhsa_system_sgpr_workgroup_info 0
		.amdhsa_system_vgpr_workitem_id 1
		.amdhsa_next_free_vgpr 59
		.amdhsa_next_free_sgpr 30
		.amdhsa_reserve_vcc 1
		.amdhsa_reserve_flat_scratch 0
		.amdhsa_float_round_mode_32 0
		.amdhsa_float_round_mode_16_64 0
		.amdhsa_float_denorm_mode_32 3
		.amdhsa_float_denorm_mode_16_64 3
		.amdhsa_dx10_clamp 1
		.amdhsa_ieee_mode 1
		.amdhsa_fp16_overflow 0
		.amdhsa_workgroup_processor_mode 1
		.amdhsa_memory_ordered 1
		.amdhsa_forward_progress 1
		.amdhsa_shared_vgpr_count 0
		.amdhsa_exception_fp_ieee_invalid_op 0
		.amdhsa_exception_fp_denorm_src 0
		.amdhsa_exception_fp_ieee_div_zero 0
		.amdhsa_exception_fp_ieee_overflow 0
		.amdhsa_exception_fp_ieee_underflow 0
		.amdhsa_exception_fp_ieee_inexact 0
		.amdhsa_exception_int_div_zero 0
	.end_amdhsa_kernel
	.section	.text._ZL29rocblas_internal_gemmt_kernelIiLi16ELi32ELi8ELc78ELc84ELc85ELb0ELb0E19rocblas_complex_numIfEPKS1_PKS3_PKPS1_EviT_T9_T10_S9_lSB_S9_lSA_T11_S9_li,"axG",@progbits,_ZL29rocblas_internal_gemmt_kernelIiLi16ELi32ELi8ELc78ELc84ELc85ELb0ELb0E19rocblas_complex_numIfEPKS1_PKS3_PKPS1_EviT_T9_T10_S9_lSB_S9_lSA_T11_S9_li,comdat
.Lfunc_end361:
	.size	_ZL29rocblas_internal_gemmt_kernelIiLi16ELi32ELi8ELc78ELc84ELc85ELb0ELb0E19rocblas_complex_numIfEPKS1_PKS3_PKPS1_EviT_T9_T10_S9_lSB_S9_lSA_T11_S9_li, .Lfunc_end361-_ZL29rocblas_internal_gemmt_kernelIiLi16ELi32ELi8ELc78ELc84ELc85ELb0ELb0E19rocblas_complex_numIfEPKS1_PKS3_PKPS1_EviT_T9_T10_S9_lSB_S9_lSA_T11_S9_li
                                        ; -- End function
	.set _ZL29rocblas_internal_gemmt_kernelIiLi16ELi32ELi8ELc78ELc84ELc85ELb0ELb0E19rocblas_complex_numIfEPKS1_PKS3_PKPS1_EviT_T9_T10_S9_lSB_S9_lSA_T11_S9_li.num_vgpr, 59
	.set _ZL29rocblas_internal_gemmt_kernelIiLi16ELi32ELi8ELc78ELc84ELc85ELb0ELb0E19rocblas_complex_numIfEPKS1_PKS3_PKPS1_EviT_T9_T10_S9_lSB_S9_lSA_T11_S9_li.num_agpr, 0
	.set _ZL29rocblas_internal_gemmt_kernelIiLi16ELi32ELi8ELc78ELc84ELc85ELb0ELb0E19rocblas_complex_numIfEPKS1_PKS3_PKPS1_EviT_T9_T10_S9_lSB_S9_lSA_T11_S9_li.numbered_sgpr, 30
	.set _ZL29rocblas_internal_gemmt_kernelIiLi16ELi32ELi8ELc78ELc84ELc85ELb0ELb0E19rocblas_complex_numIfEPKS1_PKS3_PKPS1_EviT_T9_T10_S9_lSB_S9_lSA_T11_S9_li.num_named_barrier, 0
	.set _ZL29rocblas_internal_gemmt_kernelIiLi16ELi32ELi8ELc78ELc84ELc85ELb0ELb0E19rocblas_complex_numIfEPKS1_PKS3_PKPS1_EviT_T9_T10_S9_lSB_S9_lSA_T11_S9_li.private_seg_size, 0
	.set _ZL29rocblas_internal_gemmt_kernelIiLi16ELi32ELi8ELc78ELc84ELc85ELb0ELb0E19rocblas_complex_numIfEPKS1_PKS3_PKPS1_EviT_T9_T10_S9_lSB_S9_lSA_T11_S9_li.uses_vcc, 1
	.set _ZL29rocblas_internal_gemmt_kernelIiLi16ELi32ELi8ELc78ELc84ELc85ELb0ELb0E19rocblas_complex_numIfEPKS1_PKS3_PKPS1_EviT_T9_T10_S9_lSB_S9_lSA_T11_S9_li.uses_flat_scratch, 0
	.set _ZL29rocblas_internal_gemmt_kernelIiLi16ELi32ELi8ELc78ELc84ELc85ELb0ELb0E19rocblas_complex_numIfEPKS1_PKS3_PKPS1_EviT_T9_T10_S9_lSB_S9_lSA_T11_S9_li.has_dyn_sized_stack, 0
	.set _ZL29rocblas_internal_gemmt_kernelIiLi16ELi32ELi8ELc78ELc84ELc85ELb0ELb0E19rocblas_complex_numIfEPKS1_PKS3_PKPS1_EviT_T9_T10_S9_lSB_S9_lSA_T11_S9_li.has_recursion, 0
	.set _ZL29rocblas_internal_gemmt_kernelIiLi16ELi32ELi8ELc78ELc84ELc85ELb0ELb0E19rocblas_complex_numIfEPKS1_PKS3_PKPS1_EviT_T9_T10_S9_lSB_S9_lSA_T11_S9_li.has_indirect_call, 0
	.section	.AMDGPU.csdata,"",@progbits
; Kernel info:
; codeLenInByte = 2552
; TotalNumSgprs: 32
; NumVgprs: 59
; ScratchSize: 0
; MemoryBound: 1
; FloatMode: 240
; IeeeMode: 1
; LDSByteSize: 4096 bytes/workgroup (compile time only)
; SGPRBlocks: 0
; VGPRBlocks: 7
; NumSGPRsForWavesPerEU: 32
; NumVGPRsForWavesPerEU: 59
; Occupancy: 16
; WaveLimiterHint : 1
; COMPUTE_PGM_RSRC2:SCRATCH_EN: 0
; COMPUTE_PGM_RSRC2:USER_SGPR: 6
; COMPUTE_PGM_RSRC2:TRAP_HANDLER: 0
; COMPUTE_PGM_RSRC2:TGID_X_EN: 1
; COMPUTE_PGM_RSRC2:TGID_Y_EN: 1
; COMPUTE_PGM_RSRC2:TGID_Z_EN: 1
; COMPUTE_PGM_RSRC2:TIDIG_COMP_CNT: 1
	.section	.text._ZL29rocblas_internal_gemmt_kernelIiLi16ELi32ELi8ELc78ELc67ELc85ELb0ELb1E19rocblas_complex_numIfEPKS1_PKS3_PKPS1_EviT_T9_T10_S9_lSB_S9_lSA_T11_S9_li,"axG",@progbits,_ZL29rocblas_internal_gemmt_kernelIiLi16ELi32ELi8ELc78ELc67ELc85ELb0ELb1E19rocblas_complex_numIfEPKS1_PKS3_PKPS1_EviT_T9_T10_S9_lSB_S9_lSA_T11_S9_li,comdat
	.globl	_ZL29rocblas_internal_gemmt_kernelIiLi16ELi32ELi8ELc78ELc67ELc85ELb0ELb1E19rocblas_complex_numIfEPKS1_PKS3_PKPS1_EviT_T9_T10_S9_lSB_S9_lSA_T11_S9_li ; -- Begin function _ZL29rocblas_internal_gemmt_kernelIiLi16ELi32ELi8ELc78ELc67ELc85ELb0ELb1E19rocblas_complex_numIfEPKS1_PKS3_PKPS1_EviT_T9_T10_S9_lSB_S9_lSA_T11_S9_li
	.p2align	8
	.type	_ZL29rocblas_internal_gemmt_kernelIiLi16ELi32ELi8ELc78ELc67ELc85ELb0ELb1E19rocblas_complex_numIfEPKS1_PKS3_PKPS1_EviT_T9_T10_S9_lSB_S9_lSA_T11_S9_li,@function
_ZL29rocblas_internal_gemmt_kernelIiLi16ELi32ELi8ELc78ELc67ELc85ELb0ELb1E19rocblas_complex_numIfEPKS1_PKS3_PKPS1_EviT_T9_T10_S9_lSB_S9_lSA_T11_S9_li: ; @_ZL29rocblas_internal_gemmt_kernelIiLi16ELi32ELi8ELc78ELc67ELc85ELb0ELb1E19rocblas_complex_numIfEPKS1_PKS3_PKPS1_EviT_T9_T10_S9_lSB_S9_lSA_T11_S9_li
; %bb.0:
	s_clause 0x1
	s_load_dwordx4 s[12:15], s[4:5], 0x38
	s_load_dwordx4 s[0:3], s[4:5], 0x8
	s_waitcnt lgkmcnt(0)
	s_load_dwordx2 s[10:11], s[14:15], 0x0
	s_load_dwordx2 s[20:21], s[4:5], 0x0
	;; [unrolled: 1-line block ×3, first 2 shown]
	s_waitcnt lgkmcnt(0)
	s_and_b32 s0, s11, 0x7fffffff
	v_cmp_eq_f32_e64 s1, s10, 1.0
	s_cmp_eq_u32 s0, 0
	s_mov_b32 s0, 0
	s_cselect_b32 s28, -1, 0
	s_and_b32 s1, s1, s28
	s_andn2_b32 vcc_lo, exec_lo, s1
	s_mov_b32 s1, -1
	s_cbranch_vccnz .LBB362_4
; %bb.1:
	s_cmp_lg_u32 s21, 0
	s_cbranch_scc0 .LBB362_3
; %bb.2:
	v_cmp_neq_f32_e64 s0, s14, 0
	v_cmp_neq_f32_e64 s1, s15, 0
	s_or_b32 s0, s0, s1
.LBB362_3:
	s_mov_b32 s1, s0
.LBB362_4:
	s_and_b32 vcc_lo, exec_lo, s1
	s_cbranch_vccz .LBB362_32
; %bb.5:
	s_load_dwordx2 s[0:1], s[4:5], 0x48
	s_mov_b32 s9, 0
	v_cmp_eq_f32_e64 s16, s14, 0
	s_lshl_b64 s[26:27], s[8:9], 3
	v_cmp_eq_f32_e64 s17, s15, 0
	v_mov_b32_e32 v20, 0
	v_mov_b32_e32 v21, 0
	;; [unrolled: 1-line block ×8, first 2 shown]
	s_waitcnt lgkmcnt(0)
	s_add_u32 s0, s0, s26
	s_addc_u32 s1, s1, s27
	s_lshl_b32 s8, s6, 5
	s_load_dwordx2 s[22:23], s[0:1], 0x0
	s_lshl_b32 s29, s7, 5
	s_and_b32 s0, s16, s17
	s_cmp_lt_i32 s21, 1
	s_cselect_b32 s1, -1, 0
	s_or_b32 s0, s0, s1
	s_and_b32 vcc_lo, exec_lo, s0
	s_cbranch_vccnz .LBB362_16
; %bb.6:
	s_clause 0x2
	s_load_dword s24, s[4:5], 0x18
	s_load_dword s6, s[4:5], 0x30
	s_load_dwordx4 s[16:19], s[4:5], 0x20
	v_lshl_add_u32 v2, v1, 4, v0
	v_and_b32_e32 v8, 7, v0
	v_lshlrev_b32_e32 v12, 3, v0
	v_lshl_add_u32 v13, v1, 6, 0x800
	v_mov_b32_e32 v19, 0
	v_and_b32_e32 v3, 31, v2
	v_lshrrev_b32_e32 v4, 3, v2
	v_lshlrev_b32_e32 v5, 3, v8
	v_lshrrev_b32_e32 v9, 5, v2
	v_mov_b32_e32 v18, 0
	v_or_b32_e32 v6, s8, v3
	v_lshlrev_b32_e32 v7, 3, v3
	v_lshl_or_b32 v11, v4, 6, v5
	v_add_nc_u32_e32 v2, s29, v4
	v_add_nc_u32_e32 v4, s8, v3
	v_cmp_gt_i32_e32 vcc_lo, s20, v6
	v_lshl_or_b32 v10, v9, 8, v7
	s_waitcnt lgkmcnt(0)
	s_ashr_i32 s25, s24, 31
	s_ashr_i32 s7, s6, 31
	v_mad_i64_i32 v[5:6], null, v9, s24, 0
	s_add_u32 s18, s18, s26
	s_addc_u32 s19, s19, s27
	s_add_u32 s2, s2, s26
	s_addc_u32 s3, s3, s27
	s_load_dwordx2 s[18:19], s[18:19], 0x0
	s_load_dwordx2 s[2:3], s[2:3], 0x0
	v_mad_i64_i32 v[14:15], null, s6, v8, 0
	v_lshlrev_b64 v[6:7], 3, v[5:6]
	v_ashrrev_i32_e32 v5, 31, v4
	s_lshl_b64 s[16:17], s[16:17], 3
	v_ashrrev_i32_e32 v3, 31, v2
	s_lshl_b64 s[12:13], s[12:13], 3
	v_cmp_gt_i32_e64 s0, s20, v2
	v_lshlrev_b64 v[4:5], 3, v[4:5]
	v_add_co_u32 v16, s1, v6, s16
	v_add_co_ci_u32_e64 v17, null, s17, v7, s1
	v_lshlrev_b64 v[6:7], 3, v[14:15]
	v_add_co_u32 v14, s1, v16, v4
	v_add_co_ci_u32_e64 v15, null, v17, v5, s1
	v_lshlrev_b64 v[4:5], 3, v[2:3]
	v_add_co_u32 v6, s1, v6, s12
	v_add_co_ci_u32_e64 v7, null, s13, v7, s1
	s_waitcnt lgkmcnt(0)
	v_add_co_u32 v2, s1, s2, v14
	v_add_co_ci_u32_e64 v3, null, s3, v15, s1
	v_add_co_u32 v4, s1, v6, v4
	v_add_co_ci_u32_e64 v5, null, v7, v5, s1
	v_add_nc_u32_e32 v11, 0x800, v11
	v_add_co_u32 v4, s1, s18, v4
	v_add_co_ci_u32_e64 v5, null, s19, v5, s1
	v_mov_b32_e32 v6, 0
	v_mov_b32_e32 v15, 0
	;; [unrolled: 1-line block ×7, first 2 shown]
	s_lshl_b64 s[2:3], s[24:25], 6
	s_lshl_b64 s[6:7], s[6:7], 6
	s_xor_b32 s1, vcc_lo, -1
	s_xor_b32 s0, s0, -1
	s_branch .LBB362_8
.LBB362_7:                              ;   in Loop: Header=BB362_8 Depth=1
	s_or_b32 exec_lo, exec_lo, s12
	ds_write_b32 v11, v7 offset:4
	s_waitcnt lgkmcnt(0)
	s_barrier
	buffer_gl0_inv
	ds_read_b128 v[22:25], v13
	ds_read2_b64 v[26:29], v12 offset1:16
	ds_read_b128 v[30:33], v13 offset:1024
	ds_read_b128 v[34:37], v13 offset:16
	;; [unrolled: 1-line block ×4, first 2 shown]
	ds_read2_b64 v[46:49], v12 offset0:32 offset1:48
	ds_read_b128 v[50:53], v13 offset:1040
	v_add_co_u32 v2, vcc_lo, v2, s2
	v_add_co_ci_u32_e64 v3, null, s3, v3, vcc_lo
	v_add_co_u32 v4, vcc_lo, v4, s6
	v_add_co_ci_u32_e64 v5, null, s7, v5, vcc_lo
	s_add_i32 s9, s9, 8
	s_cmp_lt_i32 s9, s21
	s_waitcnt lgkmcnt(6)
	v_mul_f32_e32 v7, v23, v27
	v_mul_f32_e32 v54, v22, v27
	;; [unrolled: 1-line block ×4, first 2 shown]
	s_waitcnt lgkmcnt(5)
	v_mul_f32_e32 v57, v31, v27
	v_mul_f32_e32 v27, v30, v27
	v_mul_f32_e32 v58, v31, v29
	v_fma_f32 v7, v22, v26, -v7
	v_fmac_f32_e32 v54, v23, v26
	v_fma_f32 v22, v22, v28, -v55
	v_fmac_f32_e32 v56, v23, v28
	;; [unrolled: 2-line block ×3, first 2 shown]
	v_mul_f32_e32 v29, v30, v29
	v_fma_f32 v26, v30, v28, -v58
	v_add_f32_e32 v7, v20, v7
	v_add_f32_e32 v20, v21, v54
	;; [unrolled: 1-line block ×6, first 2 shown]
	s_waitcnt lgkmcnt(1)
	v_mul_f32_e32 v30, v25, v47
	ds_read2_b64 v[16:19], v12 offset0:64 offset1:80
	v_fmac_f32_e32 v29, v31, v28
	v_add_f32_e32 v14, v14, v26
	v_mul_f32_e32 v26, v24, v47
	v_fma_f32 v28, v24, v46, -v30
	v_mul_f32_e32 v30, v25, v49
	v_add_f32_e32 v15, v15, v29
	v_mul_f32_e32 v29, v24, v49
	v_fmac_f32_e32 v26, v25, v46
	v_add_f32_e32 v7, v7, v28
	v_fma_f32 v24, v24, v48, -v30
	v_mul_f32_e32 v28, v33, v47
	v_fmac_f32_e32 v29, v25, v48
	v_add_f32_e32 v26, v20, v26
	v_mul_f32_e32 v20, v32, v47
	v_add_f32_e32 v24, v21, v24
	v_fma_f32 v21, v32, v46, -v28
	v_mul_f32_e32 v25, v33, v49
	v_add_f32_e32 v28, v22, v29
	v_fmac_f32_e32 v20, v33, v46
	v_mul_f32_e32 v29, v32, v49
	v_add_f32_e32 v30, v23, v21
	v_fma_f32 v21, v32, v48, -v25
	s_waitcnt lgkmcnt(0)
	v_mul_f32_e32 v22, v35, v17
	v_add_f32_e32 v25, v27, v20
	v_fmac_f32_e32 v29, v33, v48
	v_mul_f32_e32 v27, v34, v17
	v_add_f32_e32 v14, v14, v21
	v_fma_f32 v31, v34, v16, -v22
	v_mul_f32_e32 v32, v35, v19
	ds_read2_b64 v[20:23], v12 offset0:96 offset1:112
	v_fmac_f32_e32 v27, v35, v16
	v_add_f32_e32 v29, v15, v29
	v_add_f32_e32 v7, v7, v31
	v_mul_f32_e32 v15, v34, v19
	v_fma_f32 v31, v34, v18, -v32
	v_add_f32_e32 v26, v26, v27
	v_mul_f32_e32 v27, v51, v17
	v_mul_f32_e32 v17, v50, v17
	v_fmac_f32_e32 v15, v35, v18
	v_add_f32_e32 v24, v24, v31
	v_mul_f32_e32 v31, v51, v19
	v_mul_f32_e32 v19, v50, v19
	v_fmac_f32_e32 v17, v51, v16
	v_add_f32_e32 v28, v28, v15
	v_fma_f32 v27, v50, v16, -v27
	v_fma_f32 v15, v50, v18, -v31
	v_fmac_f32_e32 v19, v51, v18
	v_add_f32_e32 v31, v25, v17
	s_waitcnt lgkmcnt(0)
	v_mul_f32_e32 v18, v37, v21
	v_add_f32_e32 v32, v14, v15
	ds_read2_b64 v[14:17], v12 offset0:128 offset1:144
	v_add_f32_e32 v30, v30, v27
	v_mul_f32_e32 v25, v36, v21
	v_fma_f32 v18, v36, v20, -v18
	v_mul_f32_e32 v27, v37, v23
	v_add_f32_e32 v29, v29, v19
	v_mul_f32_e32 v19, v36, v23
	v_fmac_f32_e32 v25, v37, v20
	v_add_f32_e32 v7, v7, v18
	v_mul_f32_e32 v18, v53, v21
	v_fma_f32 v27, v36, v22, -v27
	v_fmac_f32_e32 v19, v37, v22
	v_mul_f32_e32 v21, v52, v21
	v_mul_f32_e32 v35, v53, v23
	v_fma_f32 v18, v52, v20, -v18
	v_add_f32_e32 v33, v26, v25
	v_add_f32_e32 v34, v24, v27
	ds_read_b128 v[24:27], v13 offset:1056
	v_add_f32_e32 v36, v28, v19
	v_fmac_f32_e32 v21, v53, v20
	v_mul_f32_e32 v23, v52, v23
	v_fma_f32 v19, v52, v22, -v35
	v_add_f32_e32 v35, v30, v18
	s_waitcnt lgkmcnt(1)
	v_mul_f32_e32 v18, v39, v15
	v_add_f32_e32 v37, v31, v21
	v_fmac_f32_e32 v23, v53, v22
	v_add_f32_e32 v22, v32, v19
	v_mul_f32_e32 v32, v38, v15
	v_fma_f32 v28, v38, v14, -v18
	ds_read2_b64 v[18:21], v12 offset0:160 offset1:176
	v_mul_f32_e32 v30, v39, v17
	v_mul_f32_e32 v46, v38, v17
	v_fmac_f32_e32 v32, v39, v14
	v_add_f32_e32 v23, v29, v23
	v_add_f32_e32 v7, v7, v28
	v_fma_f32 v38, v38, v16, -v30
	ds_read_b128 v[28:31], v13 offset:1072
	s_waitcnt lgkmcnt(2)
	v_mul_f32_e32 v47, v25, v15
	v_add_f32_e32 v32, v33, v32
	v_mul_f32_e32 v15, v24, v15
	v_add_f32_e32 v33, v34, v38
	v_mul_f32_e32 v38, v25, v17
	v_fmac_f32_e32 v46, v39, v16
	v_fma_f32 v34, v24, v14, -v47
	v_fmac_f32_e32 v15, v25, v14
	v_mul_f32_e32 v39, v24, v17
	v_fma_f32 v14, v24, v16, -v38
	v_add_f32_e32 v36, v36, v46
	v_add_f32_e32 v34, v35, v34
	s_waitcnt lgkmcnt(1)
	v_mul_f32_e32 v17, v41, v19
	v_add_f32_e32 v24, v37, v15
	v_fmac_f32_e32 v39, v25, v16
	v_mul_f32_e32 v25, v40, v19
	v_add_f32_e32 v22, v22, v14
	v_fma_f32 v35, v40, v18, -v17
	ds_read2_b64 v[14:17], v12 offset0:192 offset1:208
	v_mul_f32_e32 v37, v41, v21
	v_fmac_f32_e32 v25, v41, v18
	v_add_f32_e32 v38, v23, v39
	v_add_f32_e32 v7, v7, v35
	v_mul_f32_e32 v23, v40, v21
	v_fma_f32 v35, v40, v20, -v37
	v_add_f32_e32 v32, v32, v25
	v_mul_f32_e32 v25, v27, v19
	v_mul_f32_e32 v19, v26, v19
	v_fmac_f32_e32 v23, v41, v20
	v_add_f32_e32 v33, v33, v35
	v_mul_f32_e32 v35, v27, v21
	v_fma_f32 v25, v26, v18, -v25
	v_fmac_f32_e32 v19, v27, v18
	v_add_f32_e32 v18, v36, v23
	v_mul_f32_e32 v21, v26, v21
	v_fma_f32 v23, v26, v20, -v35
	v_add_f32_e32 v26, v34, v25
	v_add_f32_e32 v19, v24, v19
	s_waitcnt lgkmcnt(0)
	v_mul_f32_e32 v34, v43, v15
	v_fmac_f32_e32 v21, v27, v20
	v_add_f32_e32 v20, v22, v23
	ds_read2_b64 v[22:25], v12 offset0:224 offset1:240
	v_mul_f32_e32 v27, v42, v15
	v_fma_f32 v34, v42, v14, -v34
	v_mul_f32_e32 v35, v43, v17
	v_mul_f32_e32 v36, v42, v17
	v_add_f32_e32 v21, v38, v21
	v_fmac_f32_e32 v27, v43, v14
	v_add_f32_e32 v7, v7, v34
	v_mul_f32_e32 v34, v29, v15
	v_fma_f32 v35, v42, v16, -v35
	v_fmac_f32_e32 v36, v43, v16
	v_add_f32_e32 v27, v32, v27
	v_mul_f32_e32 v15, v28, v15
	v_fma_f32 v32, v28, v14, -v34
	v_mul_f32_e32 v34, v29, v17
	v_add_f32_e32 v33, v33, v35
	v_add_f32_e32 v35, v18, v36
	v_fmac_f32_e32 v15, v29, v14
	v_add_f32_e32 v14, v26, v32
	v_mul_f32_e32 v17, v28, v17
	v_fma_f32 v18, v28, v16, -v34
	s_waitcnt lgkmcnt(0)
	v_mul_f32_e32 v26, v45, v23
	v_mul_f32_e32 v28, v44, v23
	v_add_f32_e32 v15, v19, v15
	v_fmac_f32_e32 v17, v29, v16
	v_add_f32_e32 v29, v20, v18
	v_fma_f32 v16, v44, v22, -v26
	v_mul_f32_e32 v18, v45, v25
	v_mul_f32_e32 v19, v44, v25
	v_add_f32_e32 v26, v21, v17
	v_mul_f32_e32 v17, v30, v23
	v_add_f32_e32 v20, v7, v16
	v_fma_f32 v7, v44, v24, -v18
	v_mul_f32_e32 v16, v31, v23
	v_mul_f32_e32 v23, v31, v25
	v_mul_f32_e32 v25, v30, v25
	v_fmac_f32_e32 v28, v45, v22
	v_fmac_f32_e32 v19, v45, v24
	v_add_f32_e32 v18, v33, v7
	v_fma_f32 v7, v30, v22, -v16
	v_fmac_f32_e32 v17, v31, v22
	v_fma_f32 v22, v30, v24, -v23
	v_fmac_f32_e32 v25, v31, v24
	v_add_f32_e32 v21, v27, v28
	v_add_f32_e32 v19, v35, v19
	;; [unrolled: 1-line block ×6, first 2 shown]
	s_barrier
	buffer_gl0_inv
	s_cbranch_scc0 .LBB362_16
.LBB362_8:                              ; =>This Inner Loop Header: Depth=1
	v_add_nc_u32_e32 v7, s9, v9
	v_cmp_le_i32_e32 vcc_lo, s21, v7
	s_or_b32 s12, s1, vcc_lo
	s_and_saveexec_b32 s13, s12
	s_xor_b32 s12, exec_lo, s13
; %bb.9:                                ;   in Loop: Header=BB362_8 Depth=1
	v_mov_b32_e32 v7, v6
	ds_write_b64 v10, v[6:7]
; %bb.10:                               ;   in Loop: Header=BB362_8 Depth=1
	s_andn2_saveexec_b32 s12, s12
	s_cbranch_execz .LBB362_12
; %bb.11:                               ;   in Loop: Header=BB362_8 Depth=1
	flat_load_dwordx2 v[22:23], v[2:3]
	s_waitcnt vmcnt(0) lgkmcnt(0)
	ds_write_b64 v10, v[22:23]
.LBB362_12:                             ;   in Loop: Header=BB362_8 Depth=1
	s_or_b32 exec_lo, exec_lo, s12
	v_add_nc_u32_e32 v7, s9, v8
	v_cmp_le_i32_e32 vcc_lo, s21, v7
	s_or_b32 s12, vcc_lo, s0
	s_and_saveexec_b32 s13, s12
	s_xor_b32 s12, exec_lo, s13
; %bb.13:                               ;   in Loop: Header=BB362_8 Depth=1
	ds_write_b32 v11, v6
; %bb.14:                               ;   in Loop: Header=BB362_8 Depth=1
	s_or_saveexec_b32 s12, s12
	v_mov_b32_e32 v7, 0
	s_xor_b32 exec_lo, exec_lo, s12
	s_cbranch_execz .LBB362_7
; %bb.15:                               ;   in Loop: Header=BB362_8 Depth=1
	flat_load_dwordx2 v[22:23], v[4:5]
	s_waitcnt vmcnt(0) lgkmcnt(0)
	v_xor_b32_e32 v7, 0x80000000, v23
	ds_write_b32 v11, v22
	s_branch .LBB362_7
.LBB362_16:
	s_clause 0x1
	s_load_dword s2, s[4:5], 0x50
	s_load_dwordx2 s[4:5], s[4:5], 0x58
	v_add_nc_u32_e32 v9, s29, v1
	v_add_nc_u32_e32 v0, s8, v0
	v_cmp_neq_f32_e64 s6, s10, 0
	v_cmp_gt_i32_e64 s0, s20, v9
	v_cmp_le_i32_e32 vcc_lo, v0, v9
	s_waitcnt lgkmcnt(0)
	v_mad_i64_i32 v[1:2], null, v9, s2, 0
	s_lshl_b64 s[4:5], s[4:5], 3
	s_add_u32 s3, s22, s4
	s_addc_u32 s4, s23, s5
	s_xor_b32 s5, s28, -1
	s_or_b32 s5, s6, s5
	v_lshlrev_b64 v[2:3], 3, v[1:2]
	v_ashrrev_i32_e32 v1, 31, v0
	v_cndmask_b32_e64 v8, 0, 1, s5
	s_and_b32 s6, s0, vcc_lo
	v_add_co_u32 v6, s1, s3, v2
	v_add_co_ci_u32_e64 v7, null, s4, v3, s1
	s_and_saveexec_b32 s1, s6
	s_cbranch_execz .LBB362_20
; %bb.17:
	v_lshlrev_b64 v[4:5], 3, v[0:1]
	v_mul_f32_e32 v2, s15, v21
	v_mul_f32_e32 v3, s14, v21
	v_fma_f32 v2, v20, s14, -v2
	v_add_co_u32 v4, vcc_lo, v6, v4
	v_fmac_f32_e32 v3, s15, v20
	v_add_co_ci_u32_e64 v5, null, v7, v5, vcc_lo
	s_andn2_b32 vcc_lo, exec_lo, s5
	s_cbranch_vccnz .LBB362_19
; %bb.18:
	flat_load_dwordx2 v[10:11], v[4:5]
	s_waitcnt vmcnt(0) lgkmcnt(0)
	v_mul_f32_e32 v12, s11, v11
	v_mul_f32_e32 v11, s10, v11
	v_fma_f32 v12, v10, s10, -v12
	v_fmac_f32_e32 v11, s11, v10
	v_add_f32_e32 v2, v2, v12
	v_add_f32_e32 v3, v3, v11
.LBB362_19:
	flat_store_dwordx2 v[4:5], v[2:3]
.LBB362_20:
	s_or_b32 exec_lo, exec_lo, s1
	v_add_nc_u32_e32 v2, 16, v0
	v_cmp_le_i32_e32 vcc_lo, v2, v9
	v_ashrrev_i32_e32 v3, 31, v2
	s_and_b32 s0, s0, vcc_lo
	s_and_saveexec_b32 s1, s0
	s_cbranch_execz .LBB362_24
; %bb.21:
	v_lshlrev_b64 v[10:11], 3, v[2:3]
	v_mul_f32_e32 v4, s15, v19
	v_mul_f32_e32 v5, s14, v19
	v_cmp_ne_u32_e32 vcc_lo, 1, v8
	v_fma_f32 v4, v18, s14, -v4
	v_add_co_u32 v6, s0, v6, v10
	v_fmac_f32_e32 v5, s15, v18
	v_add_co_ci_u32_e64 v7, null, v7, v11, s0
	s_cbranch_vccnz .LBB362_23
; %bb.22:
	flat_load_dwordx2 v[10:11], v[6:7]
	s_waitcnt vmcnt(0) lgkmcnt(0)
	v_mul_f32_e32 v12, s11, v11
	v_mul_f32_e32 v11, s10, v11
	v_fma_f32 v12, v10, s10, -v12
	v_fmac_f32_e32 v11, s11, v10
	v_add_f32_e32 v4, v4, v12
	v_add_f32_e32 v5, v5, v11
.LBB362_23:
	flat_store_dwordx2 v[6:7], v[4:5]
.LBB362_24:
	s_or_b32 exec_lo, exec_lo, s1
	v_add_nc_u32_e32 v9, 16, v9
	v_mad_i64_i32 v[4:5], null, v9, s2, 0
	v_cmp_gt_i32_e64 s0, s20, v9
	v_cmp_le_i32_e32 vcc_lo, v0, v9
	v_lshlrev_b64 v[4:5], 3, v[4:5]
	v_add_co_u32 v6, s1, s3, v4
	v_add_co_ci_u32_e64 v7, null, s4, v5, s1
	s_and_b32 s1, s0, vcc_lo
	s_and_saveexec_b32 s2, s1
	s_cbranch_execz .LBB362_28
; %bb.25:
	v_lshlrev_b64 v[0:1], 3, v[0:1]
	v_mul_f32_e32 v4, s15, v17
	v_mul_f32_e32 v5, s14, v17
	v_cmp_ne_u32_e32 vcc_lo, 1, v8
	v_fma_f32 v4, v16, s14, -v4
	v_add_co_u32 v0, s1, v6, v0
	v_fmac_f32_e32 v5, s15, v16
	v_add_co_ci_u32_e64 v1, null, v7, v1, s1
	s_cbranch_vccnz .LBB362_27
; %bb.26:
	flat_load_dwordx2 v[10:11], v[0:1]
	s_waitcnt vmcnt(0) lgkmcnt(0)
	v_mul_f32_e32 v12, s11, v11
	v_mul_f32_e32 v11, s10, v11
	v_fma_f32 v12, v10, s10, -v12
	v_fmac_f32_e32 v11, s11, v10
	v_add_f32_e32 v4, v4, v12
	v_add_f32_e32 v5, v5, v11
.LBB362_27:
	flat_store_dwordx2 v[0:1], v[4:5]
.LBB362_28:
	s_or_b32 exec_lo, exec_lo, s2
	v_cmp_le_i32_e32 vcc_lo, v2, v9
	s_and_b32 s0, s0, vcc_lo
	s_and_saveexec_b32 s1, s0
	s_cbranch_execz .LBB362_32
; %bb.29:
	v_lshlrev_b64 v[2:3], 3, v[2:3]
	v_mul_f32_e32 v0, s15, v15
	v_mul_f32_e32 v1, s14, v15
	v_cmp_ne_u32_e32 vcc_lo, 1, v8
	v_fma_f32 v0, v14, s14, -v0
	v_add_co_u32 v2, s0, v6, v2
	v_fmac_f32_e32 v1, s15, v14
	v_add_co_ci_u32_e64 v3, null, v7, v3, s0
	s_cbranch_vccnz .LBB362_31
; %bb.30:
	flat_load_dwordx2 v[4:5], v[2:3]
	s_waitcnt vmcnt(0) lgkmcnt(0)
	v_mul_f32_e32 v6, s11, v5
	v_mul_f32_e32 v5, s10, v5
	v_fma_f32 v6, v4, s10, -v6
	v_fmac_f32_e32 v5, s11, v4
	v_add_f32_e32 v0, v0, v6
	v_add_f32_e32 v1, v1, v5
.LBB362_31:
	flat_store_dwordx2 v[2:3], v[0:1]
.LBB362_32:
	s_endpgm
	.section	.rodata,"a",@progbits
	.p2align	6, 0x0
	.amdhsa_kernel _ZL29rocblas_internal_gemmt_kernelIiLi16ELi32ELi8ELc78ELc67ELc85ELb0ELb1E19rocblas_complex_numIfEPKS1_PKS3_PKPS1_EviT_T9_T10_S9_lSB_S9_lSA_T11_S9_li
		.amdhsa_group_segment_fixed_size 4096
		.amdhsa_private_segment_fixed_size 0
		.amdhsa_kernarg_size 100
		.amdhsa_user_sgpr_count 6
		.amdhsa_user_sgpr_private_segment_buffer 1
		.amdhsa_user_sgpr_dispatch_ptr 0
		.amdhsa_user_sgpr_queue_ptr 0
		.amdhsa_user_sgpr_kernarg_segment_ptr 1
		.amdhsa_user_sgpr_dispatch_id 0
		.amdhsa_user_sgpr_flat_scratch_init 0
		.amdhsa_user_sgpr_private_segment_size 0
		.amdhsa_wavefront_size32 1
		.amdhsa_uses_dynamic_stack 0
		.amdhsa_system_sgpr_private_segment_wavefront_offset 0
		.amdhsa_system_sgpr_workgroup_id_x 1
		.amdhsa_system_sgpr_workgroup_id_y 1
		.amdhsa_system_sgpr_workgroup_id_z 1
		.amdhsa_system_sgpr_workgroup_info 0
		.amdhsa_system_vgpr_workitem_id 1
		.amdhsa_next_free_vgpr 59
		.amdhsa_next_free_sgpr 30
		.amdhsa_reserve_vcc 1
		.amdhsa_reserve_flat_scratch 0
		.amdhsa_float_round_mode_32 0
		.amdhsa_float_round_mode_16_64 0
		.amdhsa_float_denorm_mode_32 3
		.amdhsa_float_denorm_mode_16_64 3
		.amdhsa_dx10_clamp 1
		.amdhsa_ieee_mode 1
		.amdhsa_fp16_overflow 0
		.amdhsa_workgroup_processor_mode 1
		.amdhsa_memory_ordered 1
		.amdhsa_forward_progress 1
		.amdhsa_shared_vgpr_count 0
		.amdhsa_exception_fp_ieee_invalid_op 0
		.amdhsa_exception_fp_denorm_src 0
		.amdhsa_exception_fp_ieee_div_zero 0
		.amdhsa_exception_fp_ieee_overflow 0
		.amdhsa_exception_fp_ieee_underflow 0
		.amdhsa_exception_fp_ieee_inexact 0
		.amdhsa_exception_int_div_zero 0
	.end_amdhsa_kernel
	.section	.text._ZL29rocblas_internal_gemmt_kernelIiLi16ELi32ELi8ELc78ELc67ELc85ELb0ELb1E19rocblas_complex_numIfEPKS1_PKS3_PKPS1_EviT_T9_T10_S9_lSB_S9_lSA_T11_S9_li,"axG",@progbits,_ZL29rocblas_internal_gemmt_kernelIiLi16ELi32ELi8ELc78ELc67ELc85ELb0ELb1E19rocblas_complex_numIfEPKS1_PKS3_PKPS1_EviT_T9_T10_S9_lSB_S9_lSA_T11_S9_li,comdat
.Lfunc_end362:
	.size	_ZL29rocblas_internal_gemmt_kernelIiLi16ELi32ELi8ELc78ELc67ELc85ELb0ELb1E19rocblas_complex_numIfEPKS1_PKS3_PKPS1_EviT_T9_T10_S9_lSB_S9_lSA_T11_S9_li, .Lfunc_end362-_ZL29rocblas_internal_gemmt_kernelIiLi16ELi32ELi8ELc78ELc67ELc85ELb0ELb1E19rocblas_complex_numIfEPKS1_PKS3_PKPS1_EviT_T9_T10_S9_lSB_S9_lSA_T11_S9_li
                                        ; -- End function
	.set _ZL29rocblas_internal_gemmt_kernelIiLi16ELi32ELi8ELc78ELc67ELc85ELb0ELb1E19rocblas_complex_numIfEPKS1_PKS3_PKPS1_EviT_T9_T10_S9_lSB_S9_lSA_T11_S9_li.num_vgpr, 59
	.set _ZL29rocblas_internal_gemmt_kernelIiLi16ELi32ELi8ELc78ELc67ELc85ELb0ELb1E19rocblas_complex_numIfEPKS1_PKS3_PKPS1_EviT_T9_T10_S9_lSB_S9_lSA_T11_S9_li.num_agpr, 0
	.set _ZL29rocblas_internal_gemmt_kernelIiLi16ELi32ELi8ELc78ELc67ELc85ELb0ELb1E19rocblas_complex_numIfEPKS1_PKS3_PKPS1_EviT_T9_T10_S9_lSB_S9_lSA_T11_S9_li.numbered_sgpr, 30
	.set _ZL29rocblas_internal_gemmt_kernelIiLi16ELi32ELi8ELc78ELc67ELc85ELb0ELb1E19rocblas_complex_numIfEPKS1_PKS3_PKPS1_EviT_T9_T10_S9_lSB_S9_lSA_T11_S9_li.num_named_barrier, 0
	.set _ZL29rocblas_internal_gemmt_kernelIiLi16ELi32ELi8ELc78ELc67ELc85ELb0ELb1E19rocblas_complex_numIfEPKS1_PKS3_PKPS1_EviT_T9_T10_S9_lSB_S9_lSA_T11_S9_li.private_seg_size, 0
	.set _ZL29rocblas_internal_gemmt_kernelIiLi16ELi32ELi8ELc78ELc67ELc85ELb0ELb1E19rocblas_complex_numIfEPKS1_PKS3_PKPS1_EviT_T9_T10_S9_lSB_S9_lSA_T11_S9_li.uses_vcc, 1
	.set _ZL29rocblas_internal_gemmt_kernelIiLi16ELi32ELi8ELc78ELc67ELc85ELb0ELb1E19rocblas_complex_numIfEPKS1_PKS3_PKPS1_EviT_T9_T10_S9_lSB_S9_lSA_T11_S9_li.uses_flat_scratch, 0
	.set _ZL29rocblas_internal_gemmt_kernelIiLi16ELi32ELi8ELc78ELc67ELc85ELb0ELb1E19rocblas_complex_numIfEPKS1_PKS3_PKPS1_EviT_T9_T10_S9_lSB_S9_lSA_T11_S9_li.has_dyn_sized_stack, 0
	.set _ZL29rocblas_internal_gemmt_kernelIiLi16ELi32ELi8ELc78ELc67ELc85ELb0ELb1E19rocblas_complex_numIfEPKS1_PKS3_PKPS1_EviT_T9_T10_S9_lSB_S9_lSA_T11_S9_li.has_recursion, 0
	.set _ZL29rocblas_internal_gemmt_kernelIiLi16ELi32ELi8ELc78ELc67ELc85ELb0ELb1E19rocblas_complex_numIfEPKS1_PKS3_PKPS1_EviT_T9_T10_S9_lSB_S9_lSA_T11_S9_li.has_indirect_call, 0
	.section	.AMDGPU.csdata,"",@progbits
; Kernel info:
; codeLenInByte = 2572
; TotalNumSgprs: 32
; NumVgprs: 59
; ScratchSize: 0
; MemoryBound: 1
; FloatMode: 240
; IeeeMode: 1
; LDSByteSize: 4096 bytes/workgroup (compile time only)
; SGPRBlocks: 0
; VGPRBlocks: 7
; NumSGPRsForWavesPerEU: 32
; NumVGPRsForWavesPerEU: 59
; Occupancy: 16
; WaveLimiterHint : 1
; COMPUTE_PGM_RSRC2:SCRATCH_EN: 0
; COMPUTE_PGM_RSRC2:USER_SGPR: 6
; COMPUTE_PGM_RSRC2:TRAP_HANDLER: 0
; COMPUTE_PGM_RSRC2:TGID_X_EN: 1
; COMPUTE_PGM_RSRC2:TGID_Y_EN: 1
; COMPUTE_PGM_RSRC2:TGID_Z_EN: 1
; COMPUTE_PGM_RSRC2:TIDIG_COMP_CNT: 1
	.section	.text._ZL29rocblas_internal_gemmt_kernelIiLi16ELi32ELi8ELc84ELc78ELc85ELb0ELb0E19rocblas_complex_numIfEPKS1_PKS3_PKPS1_EviT_T9_T10_S9_lSB_S9_lSA_T11_S9_li,"axG",@progbits,_ZL29rocblas_internal_gemmt_kernelIiLi16ELi32ELi8ELc84ELc78ELc85ELb0ELb0E19rocblas_complex_numIfEPKS1_PKS3_PKPS1_EviT_T9_T10_S9_lSB_S9_lSA_T11_S9_li,comdat
	.globl	_ZL29rocblas_internal_gemmt_kernelIiLi16ELi32ELi8ELc84ELc78ELc85ELb0ELb0E19rocblas_complex_numIfEPKS1_PKS3_PKPS1_EviT_T9_T10_S9_lSB_S9_lSA_T11_S9_li ; -- Begin function _ZL29rocblas_internal_gemmt_kernelIiLi16ELi32ELi8ELc84ELc78ELc85ELb0ELb0E19rocblas_complex_numIfEPKS1_PKS3_PKPS1_EviT_T9_T10_S9_lSB_S9_lSA_T11_S9_li
	.p2align	8
	.type	_ZL29rocblas_internal_gemmt_kernelIiLi16ELi32ELi8ELc84ELc78ELc85ELb0ELb0E19rocblas_complex_numIfEPKS1_PKS3_PKPS1_EviT_T9_T10_S9_lSB_S9_lSA_T11_S9_li,@function
_ZL29rocblas_internal_gemmt_kernelIiLi16ELi32ELi8ELc84ELc78ELc85ELb0ELb0E19rocblas_complex_numIfEPKS1_PKS3_PKPS1_EviT_T9_T10_S9_lSB_S9_lSA_T11_S9_li: ; @_ZL29rocblas_internal_gemmt_kernelIiLi16ELi32ELi8ELc84ELc78ELc85ELb0ELb0E19rocblas_complex_numIfEPKS1_PKS3_PKPS1_EviT_T9_T10_S9_lSB_S9_lSA_T11_S9_li
; %bb.0:
	s_clause 0x1
	s_load_dwordx4 s[12:15], s[4:5], 0x38
	s_load_dwordx4 s[0:3], s[4:5], 0x8
	s_waitcnt lgkmcnt(0)
	s_load_dwordx2 s[10:11], s[14:15], 0x0
	s_load_dwordx2 s[20:21], s[4:5], 0x0
	;; [unrolled: 1-line block ×3, first 2 shown]
	s_waitcnt lgkmcnt(0)
	s_and_b32 s0, s11, 0x7fffffff
	v_cmp_eq_f32_e64 s1, s10, 1.0
	s_cmp_eq_u32 s0, 0
	s_mov_b32 s0, 0
	s_cselect_b32 s26, -1, 0
	s_and_b32 s1, s1, s26
	s_andn2_b32 vcc_lo, exec_lo, s1
	s_mov_b32 s1, -1
	s_cbranch_vccnz .LBB363_4
; %bb.1:
	s_cmp_lg_u32 s21, 0
	s_cbranch_scc0 .LBB363_3
; %bb.2:
	v_cmp_neq_f32_e64 s0, s14, 0
	v_cmp_neq_f32_e64 s1, s15, 0
	s_or_b32 s0, s0, s1
.LBB363_3:
	s_mov_b32 s1, s0
.LBB363_4:
	s_and_b32 vcc_lo, exec_lo, s1
	s_cbranch_vccz .LBB363_32
; %bb.5:
	s_load_dwordx2 s[0:1], s[4:5], 0x48
	s_mov_b32 s9, 0
	v_cmp_eq_f32_e64 s16, s14, 0
	s_lshl_b64 s[24:25], s[8:9], 3
	v_cmp_eq_f32_e64 s8, s15, 0
	v_mov_b32_e32 v20, 0
	v_mov_b32_e32 v21, 0
	;; [unrolled: 1-line block ×8, first 2 shown]
	s_waitcnt lgkmcnt(0)
	s_add_u32 s0, s0, s24
	s_addc_u32 s1, s1, s25
	s_lshl_b32 s6, s6, 5
	s_load_dwordx2 s[22:23], s[0:1], 0x0
	s_lshl_b32 s7, s7, 5
	s_and_b32 s0, s16, s8
	s_cmp_lt_i32 s21, 1
	s_cselect_b32 s1, -1, 0
	s_or_b32 s0, s0, s1
	s_and_b32 vcc_lo, exec_lo, s0
	s_cbranch_vccnz .LBB363_16
; %bb.6:
	s_clause 0x2
	s_load_dword s1, s[4:5], 0x18
	s_load_dwordx4 s[16:19], s[4:5], 0x20
	s_load_dword s8, s[4:5], 0x30
	v_lshl_add_u32 v2, v1, 4, v0
	v_and_b32_e32 v8, 7, v0
	v_lshlrev_b32_e32 v9, 3, v0
	v_lshl_add_u32 v10, v1, 6, 0x800
	v_mov_b32_e32 v15, 0
	v_and_b32_e32 v3, 31, v2
	v_lshrrev_b32_e32 v4, 3, v2
	v_lshlrev_b32_e32 v6, 3, v8
	v_lshrrev_b32_e32 v11, 5, v2
	v_mov_b32_e32 v17, 0
	v_or_b32_e32 v2, s6, v3
	v_lshlrev_b32_e32 v5, 3, v3
	v_add_nc_u32_e32 v3, s6, v3
	v_add_nc_u32_e32 v7, s7, v4
	v_lshl_or_b32 v4, v4, 6, v6
	v_cmp_gt_i32_e32 vcc_lo, s20, v2
	v_lshl_or_b32 v12, v11, 8, v5
	s_waitcnt lgkmcnt(0)
	v_mad_i64_i32 v[2:3], null, s1, v3, 0
	s_add_u32 s18, s18, s24
	s_addc_u32 s19, s19, s25
	s_add_u32 s2, s2, s24
	v_add_nc_u32_e32 v13, 0x800, v4
	v_mad_i64_i32 v[4:5], null, s8, v7, 0
	s_addc_u32 s3, s3, s25
	s_load_dwordx2 s[18:19], s[18:19], 0x0
	s_load_dwordx2 s[2:3], s[2:3], 0x0
	v_lshlrev_b64 v[2:3], 3, v[2:3]
	s_lshl_b64 s[16:17], s[16:17], 3
	v_cmp_gt_i32_e64 s0, s20, v7
	v_lshlrev_b64 v[4:5], 3, v[4:5]
	v_lshlrev_b32_e32 v14, 3, v11
	s_lshl_b64 s[12:13], s[12:13], 3
	v_add_co_u32 v7, s1, v2, s16
	v_add_co_ci_u32_e64 v3, null, s17, v3, s1
	v_add_co_u32 v4, s1, v4, s12
	v_add_co_ci_u32_e64 v5, null, s13, v5, s1
	;; [unrolled: 2-line block ×4, first 2 shown]
	s_waitcnt lgkmcnt(0)
	v_add_co_u32 v4, s1, s2, v7
	v_add_co_ci_u32_e64 v5, null, s3, v3, s1
	v_add_co_u32 v6, s1, s18, v6
	v_mov_b32_e32 v2, 0
	v_add_co_ci_u32_e64 v7, null, s19, v14, s1
	v_mov_b32_e32 v14, 0
	v_mov_b32_e32 v16, 0
	;; [unrolled: 1-line block ×6, first 2 shown]
	s_xor_b32 s1, vcc_lo, -1
	s_xor_b32 s0, s0, -1
	s_branch .LBB363_8
.LBB363_7:                              ;   in Loop: Header=BB363_8 Depth=1
	s_or_b32 exec_lo, exec_lo, s2
	s_waitcnt lgkmcnt(0)
	s_barrier
	buffer_gl0_inv
	ds_read_b128 v[22:25], v10
	ds_read2_b64 v[26:29], v9 offset1:16
	ds_read_b128 v[30:33], v10 offset:1024
	ds_read_b128 v[34:37], v10 offset:16
	;; [unrolled: 1-line block ×4, first 2 shown]
	ds_read2_b64 v[46:49], v9 offset0:32 offset1:48
	ds_read_b128 v[50:53], v10 offset:1040
	v_add_co_u32 v4, vcc_lo, v4, 64
	v_add_co_ci_u32_e64 v5, null, 0, v5, vcc_lo
	v_add_co_u32 v6, vcc_lo, v6, 64
	v_add_co_ci_u32_e64 v7, null, 0, v7, vcc_lo
	s_add_i32 s9, s9, 8
	s_cmp_lt_i32 s9, s21
	s_waitcnt lgkmcnt(6)
	v_mul_f32_e32 v3, v23, v27
	v_mul_f32_e32 v54, v22, v27
	;; [unrolled: 1-line block ×4, first 2 shown]
	s_waitcnt lgkmcnt(5)
	v_mul_f32_e32 v57, v31, v27
	v_mul_f32_e32 v27, v30, v27
	;; [unrolled: 1-line block ×3, first 2 shown]
	v_fma_f32 v3, v22, v26, -v3
	v_fmac_f32_e32 v54, v23, v26
	v_fma_f32 v22, v22, v28, -v55
	v_fmac_f32_e32 v56, v23, v28
	;; [unrolled: 2-line block ×3, first 2 shown]
	v_mul_f32_e32 v29, v30, v29
	v_fma_f32 v26, v30, v28, -v58
	v_add_f32_e32 v3, v20, v3
	v_add_f32_e32 v20, v21, v54
	;; [unrolled: 1-line block ×6, first 2 shown]
	s_waitcnt lgkmcnt(1)
	v_mul_f32_e32 v30, v25, v47
	ds_read2_b64 v[16:19], v9 offset0:64 offset1:80
	v_fmac_f32_e32 v29, v31, v28
	v_add_f32_e32 v14, v14, v26
	v_mul_f32_e32 v26, v24, v47
	v_fma_f32 v28, v24, v46, -v30
	v_mul_f32_e32 v30, v25, v49
	v_add_f32_e32 v15, v15, v29
	v_mul_f32_e32 v29, v24, v49
	v_fmac_f32_e32 v26, v25, v46
	v_add_f32_e32 v3, v3, v28
	v_fma_f32 v24, v24, v48, -v30
	v_mul_f32_e32 v28, v33, v47
	v_fmac_f32_e32 v29, v25, v48
	v_add_f32_e32 v26, v20, v26
	v_mul_f32_e32 v20, v32, v47
	v_add_f32_e32 v24, v21, v24
	v_fma_f32 v21, v32, v46, -v28
	v_mul_f32_e32 v25, v33, v49
	v_add_f32_e32 v28, v22, v29
	v_fmac_f32_e32 v20, v33, v46
	v_mul_f32_e32 v29, v32, v49
	v_add_f32_e32 v30, v23, v21
	v_fma_f32 v21, v32, v48, -v25
	s_waitcnt lgkmcnt(0)
	v_mul_f32_e32 v22, v35, v17
	v_add_f32_e32 v25, v27, v20
	v_fmac_f32_e32 v29, v33, v48
	v_mul_f32_e32 v27, v34, v17
	v_add_f32_e32 v14, v14, v21
	v_fma_f32 v31, v34, v16, -v22
	v_mul_f32_e32 v32, v35, v19
	ds_read2_b64 v[20:23], v9 offset0:96 offset1:112
	v_fmac_f32_e32 v27, v35, v16
	v_add_f32_e32 v29, v15, v29
	v_add_f32_e32 v3, v3, v31
	v_mul_f32_e32 v15, v34, v19
	v_fma_f32 v31, v34, v18, -v32
	v_add_f32_e32 v26, v26, v27
	v_mul_f32_e32 v27, v51, v17
	v_mul_f32_e32 v17, v50, v17
	v_fmac_f32_e32 v15, v35, v18
	v_add_f32_e32 v24, v24, v31
	v_mul_f32_e32 v31, v51, v19
	v_mul_f32_e32 v19, v50, v19
	v_fmac_f32_e32 v17, v51, v16
	v_add_f32_e32 v28, v28, v15
	v_fma_f32 v27, v50, v16, -v27
	v_fma_f32 v15, v50, v18, -v31
	v_fmac_f32_e32 v19, v51, v18
	v_add_f32_e32 v31, v25, v17
	s_waitcnt lgkmcnt(0)
	v_mul_f32_e32 v18, v37, v21
	v_add_f32_e32 v32, v14, v15
	ds_read2_b64 v[14:17], v9 offset0:128 offset1:144
	v_add_f32_e32 v30, v30, v27
	v_mul_f32_e32 v25, v36, v21
	v_fma_f32 v18, v36, v20, -v18
	v_mul_f32_e32 v27, v37, v23
	v_add_f32_e32 v29, v29, v19
	v_mul_f32_e32 v19, v36, v23
	v_fmac_f32_e32 v25, v37, v20
	v_add_f32_e32 v3, v3, v18
	v_mul_f32_e32 v18, v53, v21
	v_fma_f32 v27, v36, v22, -v27
	v_fmac_f32_e32 v19, v37, v22
	v_mul_f32_e32 v21, v52, v21
	v_mul_f32_e32 v35, v53, v23
	v_fma_f32 v18, v52, v20, -v18
	v_add_f32_e32 v33, v26, v25
	v_add_f32_e32 v34, v24, v27
	ds_read_b128 v[24:27], v10 offset:1056
	v_add_f32_e32 v36, v28, v19
	v_fmac_f32_e32 v21, v53, v20
	v_mul_f32_e32 v23, v52, v23
	v_fma_f32 v19, v52, v22, -v35
	v_add_f32_e32 v35, v30, v18
	s_waitcnt lgkmcnt(1)
	v_mul_f32_e32 v18, v39, v15
	v_add_f32_e32 v37, v31, v21
	v_fmac_f32_e32 v23, v53, v22
	v_add_f32_e32 v22, v32, v19
	v_mul_f32_e32 v32, v38, v15
	v_fma_f32 v28, v38, v14, -v18
	ds_read2_b64 v[18:21], v9 offset0:160 offset1:176
	v_mul_f32_e32 v30, v39, v17
	v_mul_f32_e32 v46, v38, v17
	v_fmac_f32_e32 v32, v39, v14
	v_add_f32_e32 v23, v29, v23
	v_add_f32_e32 v3, v3, v28
	v_fma_f32 v38, v38, v16, -v30
	ds_read_b128 v[28:31], v10 offset:1072
	s_waitcnt lgkmcnt(2)
	v_mul_f32_e32 v47, v25, v15
	v_add_f32_e32 v32, v33, v32
	v_mul_f32_e32 v15, v24, v15
	v_add_f32_e32 v33, v34, v38
	v_mul_f32_e32 v38, v25, v17
	v_fmac_f32_e32 v46, v39, v16
	v_fma_f32 v34, v24, v14, -v47
	v_fmac_f32_e32 v15, v25, v14
	v_mul_f32_e32 v39, v24, v17
	v_fma_f32 v14, v24, v16, -v38
	v_add_f32_e32 v36, v36, v46
	v_add_f32_e32 v34, v35, v34
	s_waitcnt lgkmcnt(1)
	v_mul_f32_e32 v17, v41, v19
	v_add_f32_e32 v24, v37, v15
	v_fmac_f32_e32 v39, v25, v16
	v_mul_f32_e32 v25, v40, v19
	v_add_f32_e32 v22, v22, v14
	v_fma_f32 v35, v40, v18, -v17
	ds_read2_b64 v[14:17], v9 offset0:192 offset1:208
	v_mul_f32_e32 v37, v41, v21
	v_fmac_f32_e32 v25, v41, v18
	v_add_f32_e32 v38, v23, v39
	v_add_f32_e32 v3, v3, v35
	v_mul_f32_e32 v23, v40, v21
	v_fma_f32 v35, v40, v20, -v37
	v_add_f32_e32 v32, v32, v25
	v_mul_f32_e32 v25, v27, v19
	v_mul_f32_e32 v19, v26, v19
	v_fmac_f32_e32 v23, v41, v20
	v_add_f32_e32 v33, v33, v35
	v_mul_f32_e32 v35, v27, v21
	v_fma_f32 v25, v26, v18, -v25
	v_fmac_f32_e32 v19, v27, v18
	v_add_f32_e32 v18, v36, v23
	v_mul_f32_e32 v21, v26, v21
	v_fma_f32 v23, v26, v20, -v35
	v_add_f32_e32 v26, v34, v25
	v_add_f32_e32 v19, v24, v19
	s_waitcnt lgkmcnt(0)
	v_mul_f32_e32 v34, v43, v15
	v_fmac_f32_e32 v21, v27, v20
	v_add_f32_e32 v20, v22, v23
	ds_read2_b64 v[22:25], v9 offset0:224 offset1:240
	v_mul_f32_e32 v27, v42, v15
	v_fma_f32 v34, v42, v14, -v34
	v_mul_f32_e32 v35, v43, v17
	v_mul_f32_e32 v36, v42, v17
	v_add_f32_e32 v21, v38, v21
	v_fmac_f32_e32 v27, v43, v14
	v_add_f32_e32 v3, v3, v34
	v_mul_f32_e32 v34, v29, v15
	v_fma_f32 v35, v42, v16, -v35
	v_fmac_f32_e32 v36, v43, v16
	v_add_f32_e32 v27, v32, v27
	v_mul_f32_e32 v15, v28, v15
	v_fma_f32 v32, v28, v14, -v34
	v_mul_f32_e32 v34, v29, v17
	v_add_f32_e32 v33, v33, v35
	v_add_f32_e32 v35, v18, v36
	v_fmac_f32_e32 v15, v29, v14
	v_add_f32_e32 v14, v26, v32
	v_mul_f32_e32 v17, v28, v17
	v_fma_f32 v18, v28, v16, -v34
	s_waitcnt lgkmcnt(0)
	v_mul_f32_e32 v26, v45, v23
	v_mul_f32_e32 v28, v44, v23
	v_add_f32_e32 v15, v19, v15
	v_fmac_f32_e32 v17, v29, v16
	v_add_f32_e32 v29, v20, v18
	v_fma_f32 v16, v44, v22, -v26
	v_mul_f32_e32 v18, v45, v25
	v_mul_f32_e32 v19, v44, v25
	v_add_f32_e32 v26, v21, v17
	v_mul_f32_e32 v17, v30, v23
	v_add_f32_e32 v20, v3, v16
	v_fma_f32 v3, v44, v24, -v18
	v_mul_f32_e32 v16, v31, v23
	v_mul_f32_e32 v23, v31, v25
	;; [unrolled: 1-line block ×3, first 2 shown]
	v_fmac_f32_e32 v28, v45, v22
	v_fmac_f32_e32 v19, v45, v24
	v_add_f32_e32 v18, v33, v3
	v_fma_f32 v3, v30, v22, -v16
	v_fmac_f32_e32 v17, v31, v22
	v_fma_f32 v22, v30, v24, -v23
	v_fmac_f32_e32 v25, v31, v24
	v_add_f32_e32 v21, v27, v28
	v_add_f32_e32 v19, v35, v19
	;; [unrolled: 1-line block ×6, first 2 shown]
	s_barrier
	buffer_gl0_inv
	s_cbranch_scc0 .LBB363_16
.LBB363_8:                              ; =>This Inner Loop Header: Depth=1
	v_add_nc_u32_e32 v3, s9, v11
	v_cmp_le_i32_e32 vcc_lo, s21, v3
	s_or_b32 s2, s1, vcc_lo
	s_and_saveexec_b32 s3, s2
	s_xor_b32 s2, exec_lo, s3
; %bb.9:                                ;   in Loop: Header=BB363_8 Depth=1
	v_mov_b32_e32 v3, v2
	ds_write_b64 v12, v[2:3]
; %bb.10:                               ;   in Loop: Header=BB363_8 Depth=1
	s_andn2_saveexec_b32 s2, s2
	s_cbranch_execz .LBB363_12
; %bb.11:                               ;   in Loop: Header=BB363_8 Depth=1
	flat_load_dwordx2 v[22:23], v[4:5]
	s_waitcnt vmcnt(0) lgkmcnt(0)
	ds_write_b64 v12, v[22:23]
.LBB363_12:                             ;   in Loop: Header=BB363_8 Depth=1
	s_or_b32 exec_lo, exec_lo, s2
	v_add_nc_u32_e32 v3, s9, v8
	v_cmp_le_i32_e32 vcc_lo, s21, v3
	s_or_b32 s2, vcc_lo, s0
	s_and_saveexec_b32 s3, s2
	s_xor_b32 s2, exec_lo, s3
; %bb.13:                               ;   in Loop: Header=BB363_8 Depth=1
	v_mov_b32_e32 v3, v2
	ds_write_b64 v13, v[2:3]
; %bb.14:                               ;   in Loop: Header=BB363_8 Depth=1
	s_andn2_saveexec_b32 s2, s2
	s_cbranch_execz .LBB363_7
; %bb.15:                               ;   in Loop: Header=BB363_8 Depth=1
	flat_load_dwordx2 v[22:23], v[6:7]
	s_waitcnt vmcnt(0) lgkmcnt(0)
	ds_write_b64 v13, v[22:23]
	s_branch .LBB363_7
.LBB363_16:
	s_clause 0x1
	s_load_dword s2, s[4:5], 0x50
	s_load_dwordx2 s[4:5], s[4:5], 0x58
	v_add_nc_u32_e32 v9, s7, v1
	v_add_nc_u32_e32 v0, s6, v0
	v_cmp_neq_f32_e64 s6, s10, 0
	v_cmp_gt_i32_e64 s0, s20, v9
	v_cmp_le_i32_e32 vcc_lo, v0, v9
	s_waitcnt lgkmcnt(0)
	v_mad_i64_i32 v[1:2], null, v9, s2, 0
	s_lshl_b64 s[4:5], s[4:5], 3
	s_add_u32 s3, s22, s4
	s_addc_u32 s4, s23, s5
	s_xor_b32 s5, s26, -1
	s_or_b32 s5, s6, s5
	v_lshlrev_b64 v[2:3], 3, v[1:2]
	v_ashrrev_i32_e32 v1, 31, v0
	v_cndmask_b32_e64 v8, 0, 1, s5
	s_and_b32 s6, s0, vcc_lo
	v_add_co_u32 v6, s1, s3, v2
	v_add_co_ci_u32_e64 v7, null, s4, v3, s1
	s_and_saveexec_b32 s1, s6
	s_cbranch_execz .LBB363_20
; %bb.17:
	v_lshlrev_b64 v[4:5], 3, v[0:1]
	v_mul_f32_e32 v2, s15, v21
	v_mul_f32_e32 v3, s14, v21
	v_fma_f32 v2, v20, s14, -v2
	v_add_co_u32 v4, vcc_lo, v6, v4
	v_fmac_f32_e32 v3, s15, v20
	v_add_co_ci_u32_e64 v5, null, v7, v5, vcc_lo
	s_andn2_b32 vcc_lo, exec_lo, s5
	s_cbranch_vccnz .LBB363_19
; %bb.18:
	flat_load_dwordx2 v[10:11], v[4:5]
	s_waitcnt vmcnt(0) lgkmcnt(0)
	v_mul_f32_e32 v12, s11, v11
	v_mul_f32_e32 v11, s10, v11
	v_fma_f32 v12, v10, s10, -v12
	v_fmac_f32_e32 v11, s11, v10
	v_add_f32_e32 v2, v2, v12
	v_add_f32_e32 v3, v3, v11
.LBB363_19:
	flat_store_dwordx2 v[4:5], v[2:3]
.LBB363_20:
	s_or_b32 exec_lo, exec_lo, s1
	v_add_nc_u32_e32 v2, 16, v0
	v_cmp_le_i32_e32 vcc_lo, v2, v9
	v_ashrrev_i32_e32 v3, 31, v2
	s_and_b32 s0, s0, vcc_lo
	s_and_saveexec_b32 s1, s0
	s_cbranch_execz .LBB363_24
; %bb.21:
	v_lshlrev_b64 v[10:11], 3, v[2:3]
	v_mul_f32_e32 v4, s15, v19
	v_mul_f32_e32 v5, s14, v19
	v_cmp_ne_u32_e32 vcc_lo, 1, v8
	v_fma_f32 v4, v18, s14, -v4
	v_add_co_u32 v6, s0, v6, v10
	v_fmac_f32_e32 v5, s15, v18
	v_add_co_ci_u32_e64 v7, null, v7, v11, s0
	s_cbranch_vccnz .LBB363_23
; %bb.22:
	flat_load_dwordx2 v[10:11], v[6:7]
	s_waitcnt vmcnt(0) lgkmcnt(0)
	v_mul_f32_e32 v12, s11, v11
	v_mul_f32_e32 v11, s10, v11
	v_fma_f32 v12, v10, s10, -v12
	v_fmac_f32_e32 v11, s11, v10
	v_add_f32_e32 v4, v4, v12
	v_add_f32_e32 v5, v5, v11
.LBB363_23:
	flat_store_dwordx2 v[6:7], v[4:5]
.LBB363_24:
	s_or_b32 exec_lo, exec_lo, s1
	v_add_nc_u32_e32 v9, 16, v9
	v_mad_i64_i32 v[4:5], null, v9, s2, 0
	v_cmp_gt_i32_e64 s0, s20, v9
	v_cmp_le_i32_e32 vcc_lo, v0, v9
	v_lshlrev_b64 v[4:5], 3, v[4:5]
	v_add_co_u32 v6, s1, s3, v4
	v_add_co_ci_u32_e64 v7, null, s4, v5, s1
	s_and_b32 s1, s0, vcc_lo
	s_and_saveexec_b32 s2, s1
	s_cbranch_execz .LBB363_28
; %bb.25:
	v_lshlrev_b64 v[0:1], 3, v[0:1]
	v_mul_f32_e32 v4, s15, v17
	v_mul_f32_e32 v5, s14, v17
	v_cmp_ne_u32_e32 vcc_lo, 1, v8
	v_fma_f32 v4, v16, s14, -v4
	v_add_co_u32 v0, s1, v6, v0
	v_fmac_f32_e32 v5, s15, v16
	v_add_co_ci_u32_e64 v1, null, v7, v1, s1
	s_cbranch_vccnz .LBB363_27
; %bb.26:
	flat_load_dwordx2 v[10:11], v[0:1]
	s_waitcnt vmcnt(0) lgkmcnt(0)
	v_mul_f32_e32 v12, s11, v11
	v_mul_f32_e32 v11, s10, v11
	v_fma_f32 v12, v10, s10, -v12
	v_fmac_f32_e32 v11, s11, v10
	v_add_f32_e32 v4, v4, v12
	v_add_f32_e32 v5, v5, v11
.LBB363_27:
	flat_store_dwordx2 v[0:1], v[4:5]
.LBB363_28:
	s_or_b32 exec_lo, exec_lo, s2
	v_cmp_le_i32_e32 vcc_lo, v2, v9
	s_and_b32 s0, s0, vcc_lo
	s_and_saveexec_b32 s1, s0
	s_cbranch_execz .LBB363_32
; %bb.29:
	v_lshlrev_b64 v[2:3], 3, v[2:3]
	v_mul_f32_e32 v0, s15, v15
	v_mul_f32_e32 v1, s14, v15
	v_cmp_ne_u32_e32 vcc_lo, 1, v8
	v_fma_f32 v0, v14, s14, -v0
	v_add_co_u32 v2, s0, v6, v2
	v_fmac_f32_e32 v1, s15, v14
	v_add_co_ci_u32_e64 v3, null, v7, v3, s0
	s_cbranch_vccnz .LBB363_31
; %bb.30:
	flat_load_dwordx2 v[4:5], v[2:3]
	s_waitcnt vmcnt(0) lgkmcnt(0)
	v_mul_f32_e32 v6, s11, v5
	v_mul_f32_e32 v5, s10, v5
	v_fma_f32 v6, v4, s10, -v6
	v_fmac_f32_e32 v5, s11, v4
	v_add_f32_e32 v0, v0, v6
	v_add_f32_e32 v1, v1, v5
.LBB363_31:
	flat_store_dwordx2 v[2:3], v[0:1]
.LBB363_32:
	s_endpgm
	.section	.rodata,"a",@progbits
	.p2align	6, 0x0
	.amdhsa_kernel _ZL29rocblas_internal_gemmt_kernelIiLi16ELi32ELi8ELc84ELc78ELc85ELb0ELb0E19rocblas_complex_numIfEPKS1_PKS3_PKPS1_EviT_T9_T10_S9_lSB_S9_lSA_T11_S9_li
		.amdhsa_group_segment_fixed_size 4096
		.amdhsa_private_segment_fixed_size 0
		.amdhsa_kernarg_size 100
		.amdhsa_user_sgpr_count 6
		.amdhsa_user_sgpr_private_segment_buffer 1
		.amdhsa_user_sgpr_dispatch_ptr 0
		.amdhsa_user_sgpr_queue_ptr 0
		.amdhsa_user_sgpr_kernarg_segment_ptr 1
		.amdhsa_user_sgpr_dispatch_id 0
		.amdhsa_user_sgpr_flat_scratch_init 0
		.amdhsa_user_sgpr_private_segment_size 0
		.amdhsa_wavefront_size32 1
		.amdhsa_uses_dynamic_stack 0
		.amdhsa_system_sgpr_private_segment_wavefront_offset 0
		.amdhsa_system_sgpr_workgroup_id_x 1
		.amdhsa_system_sgpr_workgroup_id_y 1
		.amdhsa_system_sgpr_workgroup_id_z 1
		.amdhsa_system_sgpr_workgroup_info 0
		.amdhsa_system_vgpr_workitem_id 1
		.amdhsa_next_free_vgpr 59
		.amdhsa_next_free_sgpr 27
		.amdhsa_reserve_vcc 1
		.amdhsa_reserve_flat_scratch 0
		.amdhsa_float_round_mode_32 0
		.amdhsa_float_round_mode_16_64 0
		.amdhsa_float_denorm_mode_32 3
		.amdhsa_float_denorm_mode_16_64 3
		.amdhsa_dx10_clamp 1
		.amdhsa_ieee_mode 1
		.amdhsa_fp16_overflow 0
		.amdhsa_workgroup_processor_mode 1
		.amdhsa_memory_ordered 1
		.amdhsa_forward_progress 1
		.amdhsa_shared_vgpr_count 0
		.amdhsa_exception_fp_ieee_invalid_op 0
		.amdhsa_exception_fp_denorm_src 0
		.amdhsa_exception_fp_ieee_div_zero 0
		.amdhsa_exception_fp_ieee_overflow 0
		.amdhsa_exception_fp_ieee_underflow 0
		.amdhsa_exception_fp_ieee_inexact 0
		.amdhsa_exception_int_div_zero 0
	.end_amdhsa_kernel
	.section	.text._ZL29rocblas_internal_gemmt_kernelIiLi16ELi32ELi8ELc84ELc78ELc85ELb0ELb0E19rocblas_complex_numIfEPKS1_PKS3_PKPS1_EviT_T9_T10_S9_lSB_S9_lSA_T11_S9_li,"axG",@progbits,_ZL29rocblas_internal_gemmt_kernelIiLi16ELi32ELi8ELc84ELc78ELc85ELb0ELb0E19rocblas_complex_numIfEPKS1_PKS3_PKPS1_EviT_T9_T10_S9_lSB_S9_lSA_T11_S9_li,comdat
.Lfunc_end363:
	.size	_ZL29rocblas_internal_gemmt_kernelIiLi16ELi32ELi8ELc84ELc78ELc85ELb0ELb0E19rocblas_complex_numIfEPKS1_PKS3_PKPS1_EviT_T9_T10_S9_lSB_S9_lSA_T11_S9_li, .Lfunc_end363-_ZL29rocblas_internal_gemmt_kernelIiLi16ELi32ELi8ELc84ELc78ELc85ELb0ELb0E19rocblas_complex_numIfEPKS1_PKS3_PKPS1_EviT_T9_T10_S9_lSB_S9_lSA_T11_S9_li
                                        ; -- End function
	.set _ZL29rocblas_internal_gemmt_kernelIiLi16ELi32ELi8ELc84ELc78ELc85ELb0ELb0E19rocblas_complex_numIfEPKS1_PKS3_PKPS1_EviT_T9_T10_S9_lSB_S9_lSA_T11_S9_li.num_vgpr, 59
	.set _ZL29rocblas_internal_gemmt_kernelIiLi16ELi32ELi8ELc84ELc78ELc85ELb0ELb0E19rocblas_complex_numIfEPKS1_PKS3_PKPS1_EviT_T9_T10_S9_lSB_S9_lSA_T11_S9_li.num_agpr, 0
	.set _ZL29rocblas_internal_gemmt_kernelIiLi16ELi32ELi8ELc84ELc78ELc85ELb0ELb0E19rocblas_complex_numIfEPKS1_PKS3_PKPS1_EviT_T9_T10_S9_lSB_S9_lSA_T11_S9_li.numbered_sgpr, 27
	.set _ZL29rocblas_internal_gemmt_kernelIiLi16ELi32ELi8ELc84ELc78ELc85ELb0ELb0E19rocblas_complex_numIfEPKS1_PKS3_PKPS1_EviT_T9_T10_S9_lSB_S9_lSA_T11_S9_li.num_named_barrier, 0
	.set _ZL29rocblas_internal_gemmt_kernelIiLi16ELi32ELi8ELc84ELc78ELc85ELb0ELb0E19rocblas_complex_numIfEPKS1_PKS3_PKPS1_EviT_T9_T10_S9_lSB_S9_lSA_T11_S9_li.private_seg_size, 0
	.set _ZL29rocblas_internal_gemmt_kernelIiLi16ELi32ELi8ELc84ELc78ELc85ELb0ELb0E19rocblas_complex_numIfEPKS1_PKS3_PKPS1_EviT_T9_T10_S9_lSB_S9_lSA_T11_S9_li.uses_vcc, 1
	.set _ZL29rocblas_internal_gemmt_kernelIiLi16ELi32ELi8ELc84ELc78ELc85ELb0ELb0E19rocblas_complex_numIfEPKS1_PKS3_PKPS1_EviT_T9_T10_S9_lSB_S9_lSA_T11_S9_li.uses_flat_scratch, 0
	.set _ZL29rocblas_internal_gemmt_kernelIiLi16ELi32ELi8ELc84ELc78ELc85ELb0ELb0E19rocblas_complex_numIfEPKS1_PKS3_PKPS1_EviT_T9_T10_S9_lSB_S9_lSA_T11_S9_li.has_dyn_sized_stack, 0
	.set _ZL29rocblas_internal_gemmt_kernelIiLi16ELi32ELi8ELc84ELc78ELc85ELb0ELb0E19rocblas_complex_numIfEPKS1_PKS3_PKPS1_EviT_T9_T10_S9_lSB_S9_lSA_T11_S9_li.has_recursion, 0
	.set _ZL29rocblas_internal_gemmt_kernelIiLi16ELi32ELi8ELc84ELc78ELc85ELb0ELb0E19rocblas_complex_numIfEPKS1_PKS3_PKPS1_EviT_T9_T10_S9_lSB_S9_lSA_T11_S9_li.has_indirect_call, 0
	.section	.AMDGPU.csdata,"",@progbits
; Kernel info:
; codeLenInByte = 2516
; TotalNumSgprs: 29
; NumVgprs: 59
; ScratchSize: 0
; MemoryBound: 1
; FloatMode: 240
; IeeeMode: 1
; LDSByteSize: 4096 bytes/workgroup (compile time only)
; SGPRBlocks: 0
; VGPRBlocks: 7
; NumSGPRsForWavesPerEU: 29
; NumVGPRsForWavesPerEU: 59
; Occupancy: 16
; WaveLimiterHint : 1
; COMPUTE_PGM_RSRC2:SCRATCH_EN: 0
; COMPUTE_PGM_RSRC2:USER_SGPR: 6
; COMPUTE_PGM_RSRC2:TRAP_HANDLER: 0
; COMPUTE_PGM_RSRC2:TGID_X_EN: 1
; COMPUTE_PGM_RSRC2:TGID_Y_EN: 1
; COMPUTE_PGM_RSRC2:TGID_Z_EN: 1
; COMPUTE_PGM_RSRC2:TIDIG_COMP_CNT: 1
	.section	.text._ZL29rocblas_internal_gemmt_kernelIiLi16ELi32ELi8ELc84ELc84ELc85ELb0ELb0E19rocblas_complex_numIfEPKS1_PKS3_PKPS1_EviT_T9_T10_S9_lSB_S9_lSA_T11_S9_li,"axG",@progbits,_ZL29rocblas_internal_gemmt_kernelIiLi16ELi32ELi8ELc84ELc84ELc85ELb0ELb0E19rocblas_complex_numIfEPKS1_PKS3_PKPS1_EviT_T9_T10_S9_lSB_S9_lSA_T11_S9_li,comdat
	.globl	_ZL29rocblas_internal_gemmt_kernelIiLi16ELi32ELi8ELc84ELc84ELc85ELb0ELb0E19rocblas_complex_numIfEPKS1_PKS3_PKPS1_EviT_T9_T10_S9_lSB_S9_lSA_T11_S9_li ; -- Begin function _ZL29rocblas_internal_gemmt_kernelIiLi16ELi32ELi8ELc84ELc84ELc85ELb0ELb0E19rocblas_complex_numIfEPKS1_PKS3_PKPS1_EviT_T9_T10_S9_lSB_S9_lSA_T11_S9_li
	.p2align	8
	.type	_ZL29rocblas_internal_gemmt_kernelIiLi16ELi32ELi8ELc84ELc84ELc85ELb0ELb0E19rocblas_complex_numIfEPKS1_PKS3_PKPS1_EviT_T9_T10_S9_lSB_S9_lSA_T11_S9_li,@function
_ZL29rocblas_internal_gemmt_kernelIiLi16ELi32ELi8ELc84ELc84ELc85ELb0ELb0E19rocblas_complex_numIfEPKS1_PKS3_PKPS1_EviT_T9_T10_S9_lSB_S9_lSA_T11_S9_li: ; @_ZL29rocblas_internal_gemmt_kernelIiLi16ELi32ELi8ELc84ELc84ELc85ELb0ELb0E19rocblas_complex_numIfEPKS1_PKS3_PKPS1_EviT_T9_T10_S9_lSB_S9_lSA_T11_S9_li
; %bb.0:
	s_clause 0x1
	s_load_dwordx4 s[12:15], s[4:5], 0x38
	s_load_dwordx4 s[0:3], s[4:5], 0x8
	s_waitcnt lgkmcnt(0)
	s_load_dwordx2 s[10:11], s[14:15], 0x0
	s_load_dwordx2 s[20:21], s[4:5], 0x0
	;; [unrolled: 1-line block ×3, first 2 shown]
	s_waitcnt lgkmcnt(0)
	s_and_b32 s0, s11, 0x7fffffff
	v_cmp_eq_f32_e64 s1, s10, 1.0
	s_cmp_eq_u32 s0, 0
	s_mov_b32 s0, 0
	s_cselect_b32 s24, -1, 0
	s_and_b32 s1, s1, s24
	s_andn2_b32 vcc_lo, exec_lo, s1
	s_mov_b32 s1, -1
	s_cbranch_vccnz .LBB364_4
; %bb.1:
	s_cmp_lg_u32 s21, 0
	s_cbranch_scc0 .LBB364_3
; %bb.2:
	v_cmp_neq_f32_e64 s0, s14, 0
	v_cmp_neq_f32_e64 s1, s15, 0
	s_or_b32 s0, s0, s1
.LBB364_3:
	s_mov_b32 s1, s0
.LBB364_4:
	s_and_b32 vcc_lo, exec_lo, s1
	s_cbranch_vccz .LBB364_32
; %bb.5:
	s_load_dwordx2 s[16:17], s[4:5], 0x48
	s_mov_b32 s9, 0
	v_cmp_eq_f32_e64 s18, s14, 0
	s_lshl_b64 s[0:1], s[8:9], 3
	v_cmp_eq_f32_e64 s19, s15, 0
	v_mov_b32_e32 v20, 0
	v_mov_b32_e32 v21, 0
	;; [unrolled: 1-line block ×8, first 2 shown]
	s_waitcnt lgkmcnt(0)
	s_add_u32 s16, s16, s0
	s_addc_u32 s17, s17, s1
	s_lshl_b32 s8, s6, 5
	s_load_dwordx2 s[22:23], s[16:17], 0x0
	s_lshl_b32 s25, s7, 5
	s_and_b32 s6, s18, s19
	s_cmp_lt_i32 s21, 1
	s_cselect_b32 s7, -1, 0
	s_or_b32 s6, s6, s7
	s_and_b32 vcc_lo, exec_lo, s6
	s_cbranch_vccnz .LBB364_16
; %bb.6:
	s_clause 0x2
	s_load_dword s6, s[4:5], 0x30
	s_load_dword s26, s[4:5], 0x18
	s_load_dwordx4 s[16:19], s[4:5], 0x20
	v_lshl_add_u32 v2, v1, 4, v0
	v_and_b32_e32 v8, 7, v0
	v_lshlrev_b32_e32 v12, 3, v0
	v_lshl_add_u32 v13, v1, 6, 0x800
	v_mov_b32_e32 v17, 0
	v_and_b32_e32 v4, 31, v2
	v_lshrrev_b32_e32 v5, 3, v2
	v_lshlrev_b32_e32 v6, 3, v8
	v_lshrrev_b32_e32 v9, 5, v2
	v_mov_b32_e32 v16, 0
	v_or_b32_e32 v2, s8, v4
	v_lshlrev_b32_e32 v7, 3, v4
	v_add_nc_u32_e32 v4, s8, v4
	v_add_nc_u32_e32 v3, s25, v5
	v_lshl_or_b32 v11, v5, 6, v6
	v_cmp_gt_i32_e32 vcc_lo, s20, v2
	v_lshl_or_b32 v10, v9, 8, v7
	s_waitcnt lgkmcnt(0)
	s_ashr_i32 s7, s6, 31
	v_mad_i64_i32 v[5:6], null, s26, v4, 0
	s_add_u32 s18, s18, s0
	s_addc_u32 s19, s19, s1
	v_mad_i64_i32 v[14:15], null, s6, v8, 0
	s_add_u32 s0, s2, s0
	s_addc_u32 s1, s3, s1
	s_load_dwordx2 s[2:3], s[18:19], 0x0
	s_load_dwordx2 s[18:19], s[0:1], 0x0
	v_lshlrev_b64 v[5:6], 3, v[5:6]
	v_ashrrev_i32_e32 v4, 31, v3
	s_lshl_b64 s[16:17], s[16:17], 3
	v_lshlrev_b64 v[14:15], 3, v[14:15]
	v_lshlrev_b32_e32 v7, 3, v9
	s_lshl_b64 s[12:13], s[12:13], 3
	v_add_co_u32 v5, s1, v5, s16
	v_cmp_gt_i32_e64 s0, s20, v3
	v_lshlrev_b64 v[3:4], 3, v[3:4]
	v_add_co_ci_u32_e64 v6, null, s17, v6, s1
	v_add_co_u32 v14, s1, v14, s12
	v_add_co_ci_u32_e64 v15, null, s13, v15, s1
	v_add_co_u32 v5, s1, v5, v7
	;; [unrolled: 2-line block ×3, first 2 shown]
	v_add_co_ci_u32_e64 v7, null, v15, v4, s1
	s_waitcnt lgkmcnt(0)
	v_add_co_u32 v4, s1, s18, v5
	v_add_co_ci_u32_e64 v5, null, s19, v6, s1
	v_add_co_u32 v6, s1, s2, v3
	v_add_nc_u32_e32 v11, 0x800, v11
	v_mov_b32_e32 v2, 0
	v_add_co_ci_u32_e64 v7, null, s3, v7, s1
	v_mov_b32_e32 v15, 0
	v_mov_b32_e32 v14, 0
	;; [unrolled: 1-line block ×6, first 2 shown]
	s_lshl_b64 s[2:3], s[6:7], 6
	s_xor_b32 s1, vcc_lo, -1
	s_xor_b32 s0, s0, -1
	s_branch .LBB364_8
.LBB364_7:                              ;   in Loop: Header=BB364_8 Depth=1
	s_or_b32 exec_lo, exec_lo, s6
	s_waitcnt lgkmcnt(0)
	s_barrier
	buffer_gl0_inv
	ds_read_b128 v[22:25], v13
	ds_read2_b64 v[26:29], v12 offset1:16
	ds_read_b128 v[30:33], v13 offset:1024
	ds_read_b128 v[34:37], v13 offset:16
	;; [unrolled: 1-line block ×4, first 2 shown]
	ds_read2_b64 v[46:49], v12 offset0:32 offset1:48
	ds_read_b128 v[50:53], v13 offset:1040
	v_add_co_u32 v4, vcc_lo, v4, 64
	v_add_co_ci_u32_e64 v5, null, 0, v5, vcc_lo
	v_add_co_u32 v6, vcc_lo, v6, s2
	v_add_co_ci_u32_e64 v7, null, s3, v7, vcc_lo
	s_add_i32 s9, s9, 8
	s_cmp_lt_i32 s9, s21
	s_waitcnt lgkmcnt(6)
	v_mul_f32_e32 v3, v23, v27
	v_mul_f32_e32 v54, v22, v27
	;; [unrolled: 1-line block ×4, first 2 shown]
	s_waitcnt lgkmcnt(5)
	v_mul_f32_e32 v57, v31, v27
	v_mul_f32_e32 v27, v30, v27
	;; [unrolled: 1-line block ×3, first 2 shown]
	v_fma_f32 v3, v22, v26, -v3
	v_fmac_f32_e32 v54, v23, v26
	v_fma_f32 v22, v22, v28, -v55
	v_fmac_f32_e32 v56, v23, v28
	v_fma_f32 v23, v30, v26, -v57
	v_fmac_f32_e32 v27, v31, v26
	v_mul_f32_e32 v29, v30, v29
	v_fma_f32 v26, v30, v28, -v58
	v_add_f32_e32 v3, v20, v3
	v_add_f32_e32 v20, v21, v54
	;; [unrolled: 1-line block ×6, first 2 shown]
	s_waitcnt lgkmcnt(1)
	v_mul_f32_e32 v30, v25, v47
	ds_read2_b64 v[16:19], v12 offset0:64 offset1:80
	v_fmac_f32_e32 v29, v31, v28
	v_add_f32_e32 v14, v14, v26
	v_mul_f32_e32 v26, v24, v47
	v_fma_f32 v28, v24, v46, -v30
	v_mul_f32_e32 v30, v25, v49
	v_add_f32_e32 v15, v15, v29
	v_mul_f32_e32 v29, v24, v49
	v_fmac_f32_e32 v26, v25, v46
	v_add_f32_e32 v3, v3, v28
	v_fma_f32 v24, v24, v48, -v30
	v_mul_f32_e32 v28, v33, v47
	v_fmac_f32_e32 v29, v25, v48
	v_add_f32_e32 v26, v20, v26
	v_mul_f32_e32 v20, v32, v47
	v_add_f32_e32 v24, v21, v24
	v_fma_f32 v21, v32, v46, -v28
	v_mul_f32_e32 v25, v33, v49
	v_add_f32_e32 v28, v22, v29
	v_fmac_f32_e32 v20, v33, v46
	v_mul_f32_e32 v29, v32, v49
	v_add_f32_e32 v30, v23, v21
	v_fma_f32 v21, v32, v48, -v25
	s_waitcnt lgkmcnt(0)
	v_mul_f32_e32 v22, v35, v17
	v_add_f32_e32 v25, v27, v20
	v_fmac_f32_e32 v29, v33, v48
	v_mul_f32_e32 v27, v34, v17
	v_add_f32_e32 v14, v14, v21
	v_fma_f32 v31, v34, v16, -v22
	v_mul_f32_e32 v32, v35, v19
	ds_read2_b64 v[20:23], v12 offset0:96 offset1:112
	v_fmac_f32_e32 v27, v35, v16
	v_add_f32_e32 v29, v15, v29
	v_add_f32_e32 v3, v3, v31
	v_mul_f32_e32 v15, v34, v19
	v_fma_f32 v31, v34, v18, -v32
	v_add_f32_e32 v26, v26, v27
	v_mul_f32_e32 v27, v51, v17
	v_mul_f32_e32 v17, v50, v17
	v_fmac_f32_e32 v15, v35, v18
	v_add_f32_e32 v24, v24, v31
	v_mul_f32_e32 v31, v51, v19
	v_mul_f32_e32 v19, v50, v19
	v_fmac_f32_e32 v17, v51, v16
	v_add_f32_e32 v28, v28, v15
	v_fma_f32 v27, v50, v16, -v27
	v_fma_f32 v15, v50, v18, -v31
	v_fmac_f32_e32 v19, v51, v18
	v_add_f32_e32 v31, v25, v17
	s_waitcnt lgkmcnt(0)
	v_mul_f32_e32 v18, v37, v21
	v_add_f32_e32 v32, v14, v15
	ds_read2_b64 v[14:17], v12 offset0:128 offset1:144
	v_add_f32_e32 v30, v30, v27
	v_mul_f32_e32 v25, v36, v21
	v_fma_f32 v18, v36, v20, -v18
	v_mul_f32_e32 v27, v37, v23
	v_add_f32_e32 v29, v29, v19
	v_mul_f32_e32 v19, v36, v23
	v_fmac_f32_e32 v25, v37, v20
	v_add_f32_e32 v3, v3, v18
	v_mul_f32_e32 v18, v53, v21
	v_fma_f32 v27, v36, v22, -v27
	v_fmac_f32_e32 v19, v37, v22
	v_mul_f32_e32 v21, v52, v21
	v_mul_f32_e32 v35, v53, v23
	v_fma_f32 v18, v52, v20, -v18
	v_add_f32_e32 v33, v26, v25
	v_add_f32_e32 v34, v24, v27
	ds_read_b128 v[24:27], v13 offset:1056
	v_add_f32_e32 v36, v28, v19
	v_fmac_f32_e32 v21, v53, v20
	v_mul_f32_e32 v23, v52, v23
	v_fma_f32 v19, v52, v22, -v35
	v_add_f32_e32 v35, v30, v18
	s_waitcnt lgkmcnt(1)
	v_mul_f32_e32 v18, v39, v15
	v_add_f32_e32 v37, v31, v21
	v_fmac_f32_e32 v23, v53, v22
	v_add_f32_e32 v22, v32, v19
	v_mul_f32_e32 v32, v38, v15
	v_fma_f32 v28, v38, v14, -v18
	ds_read2_b64 v[18:21], v12 offset0:160 offset1:176
	v_mul_f32_e32 v30, v39, v17
	v_mul_f32_e32 v46, v38, v17
	v_fmac_f32_e32 v32, v39, v14
	v_add_f32_e32 v23, v29, v23
	v_add_f32_e32 v3, v3, v28
	v_fma_f32 v38, v38, v16, -v30
	ds_read_b128 v[28:31], v13 offset:1072
	s_waitcnt lgkmcnt(2)
	v_mul_f32_e32 v47, v25, v15
	v_add_f32_e32 v32, v33, v32
	v_mul_f32_e32 v15, v24, v15
	v_add_f32_e32 v33, v34, v38
	v_mul_f32_e32 v38, v25, v17
	v_fmac_f32_e32 v46, v39, v16
	v_fma_f32 v34, v24, v14, -v47
	v_fmac_f32_e32 v15, v25, v14
	v_mul_f32_e32 v39, v24, v17
	v_fma_f32 v14, v24, v16, -v38
	v_add_f32_e32 v36, v36, v46
	v_add_f32_e32 v34, v35, v34
	s_waitcnt lgkmcnt(1)
	v_mul_f32_e32 v17, v41, v19
	v_add_f32_e32 v24, v37, v15
	v_fmac_f32_e32 v39, v25, v16
	v_mul_f32_e32 v25, v40, v19
	v_add_f32_e32 v22, v22, v14
	v_fma_f32 v35, v40, v18, -v17
	ds_read2_b64 v[14:17], v12 offset0:192 offset1:208
	v_mul_f32_e32 v37, v41, v21
	v_fmac_f32_e32 v25, v41, v18
	v_add_f32_e32 v38, v23, v39
	v_add_f32_e32 v3, v3, v35
	v_mul_f32_e32 v23, v40, v21
	v_fma_f32 v35, v40, v20, -v37
	v_add_f32_e32 v32, v32, v25
	v_mul_f32_e32 v25, v27, v19
	v_mul_f32_e32 v19, v26, v19
	v_fmac_f32_e32 v23, v41, v20
	v_add_f32_e32 v33, v33, v35
	v_mul_f32_e32 v35, v27, v21
	v_fma_f32 v25, v26, v18, -v25
	v_fmac_f32_e32 v19, v27, v18
	v_add_f32_e32 v18, v36, v23
	v_mul_f32_e32 v21, v26, v21
	v_fma_f32 v23, v26, v20, -v35
	v_add_f32_e32 v26, v34, v25
	v_add_f32_e32 v19, v24, v19
	s_waitcnt lgkmcnt(0)
	v_mul_f32_e32 v34, v43, v15
	v_fmac_f32_e32 v21, v27, v20
	v_add_f32_e32 v20, v22, v23
	ds_read2_b64 v[22:25], v12 offset0:224 offset1:240
	v_mul_f32_e32 v27, v42, v15
	v_fma_f32 v34, v42, v14, -v34
	v_mul_f32_e32 v35, v43, v17
	v_mul_f32_e32 v36, v42, v17
	v_add_f32_e32 v21, v38, v21
	v_fmac_f32_e32 v27, v43, v14
	v_add_f32_e32 v3, v3, v34
	v_mul_f32_e32 v34, v29, v15
	v_fma_f32 v35, v42, v16, -v35
	v_fmac_f32_e32 v36, v43, v16
	v_add_f32_e32 v27, v32, v27
	v_mul_f32_e32 v15, v28, v15
	v_fma_f32 v32, v28, v14, -v34
	v_mul_f32_e32 v34, v29, v17
	v_add_f32_e32 v33, v33, v35
	v_add_f32_e32 v35, v18, v36
	v_fmac_f32_e32 v15, v29, v14
	v_add_f32_e32 v14, v26, v32
	v_mul_f32_e32 v17, v28, v17
	v_fma_f32 v18, v28, v16, -v34
	s_waitcnt lgkmcnt(0)
	v_mul_f32_e32 v26, v45, v23
	v_mul_f32_e32 v28, v44, v23
	v_add_f32_e32 v15, v19, v15
	v_fmac_f32_e32 v17, v29, v16
	v_add_f32_e32 v29, v20, v18
	v_fma_f32 v16, v44, v22, -v26
	v_mul_f32_e32 v18, v45, v25
	v_mul_f32_e32 v19, v44, v25
	v_add_f32_e32 v26, v21, v17
	v_mul_f32_e32 v17, v30, v23
	v_add_f32_e32 v20, v3, v16
	v_fma_f32 v3, v44, v24, -v18
	v_mul_f32_e32 v16, v31, v23
	v_mul_f32_e32 v23, v31, v25
	;; [unrolled: 1-line block ×3, first 2 shown]
	v_fmac_f32_e32 v28, v45, v22
	v_fmac_f32_e32 v19, v45, v24
	v_add_f32_e32 v18, v33, v3
	v_fma_f32 v3, v30, v22, -v16
	v_fmac_f32_e32 v17, v31, v22
	v_fma_f32 v22, v30, v24, -v23
	v_fmac_f32_e32 v25, v31, v24
	v_add_f32_e32 v21, v27, v28
	v_add_f32_e32 v19, v35, v19
	;; [unrolled: 1-line block ×6, first 2 shown]
	s_barrier
	buffer_gl0_inv
	s_cbranch_scc0 .LBB364_16
.LBB364_8:                              ; =>This Inner Loop Header: Depth=1
	v_add_nc_u32_e32 v3, s9, v9
	v_cmp_le_i32_e32 vcc_lo, s21, v3
	s_or_b32 s6, s1, vcc_lo
	s_and_saveexec_b32 s7, s6
	s_xor_b32 s6, exec_lo, s7
; %bb.9:                                ;   in Loop: Header=BB364_8 Depth=1
	v_mov_b32_e32 v3, v2
	ds_write_b64 v10, v[2:3]
; %bb.10:                               ;   in Loop: Header=BB364_8 Depth=1
	s_andn2_saveexec_b32 s6, s6
	s_cbranch_execz .LBB364_12
; %bb.11:                               ;   in Loop: Header=BB364_8 Depth=1
	flat_load_dwordx2 v[22:23], v[4:5]
	s_waitcnt vmcnt(0) lgkmcnt(0)
	ds_write_b64 v10, v[22:23]
.LBB364_12:                             ;   in Loop: Header=BB364_8 Depth=1
	s_or_b32 exec_lo, exec_lo, s6
	v_add_nc_u32_e32 v3, s9, v8
	v_cmp_le_i32_e32 vcc_lo, s21, v3
	s_or_b32 s6, vcc_lo, s0
	s_and_saveexec_b32 s7, s6
	s_xor_b32 s6, exec_lo, s7
; %bb.13:                               ;   in Loop: Header=BB364_8 Depth=1
	v_mov_b32_e32 v3, v2
	ds_write_b64 v11, v[2:3]
; %bb.14:                               ;   in Loop: Header=BB364_8 Depth=1
	s_andn2_saveexec_b32 s6, s6
	s_cbranch_execz .LBB364_7
; %bb.15:                               ;   in Loop: Header=BB364_8 Depth=1
	flat_load_dwordx2 v[22:23], v[6:7]
	s_waitcnt vmcnt(0) lgkmcnt(0)
	ds_write_b64 v11, v[22:23]
	s_branch .LBB364_7
.LBB364_16:
	s_clause 0x1
	s_load_dword s2, s[4:5], 0x50
	s_load_dwordx2 s[4:5], s[4:5], 0x58
	v_add_nc_u32_e32 v9, s25, v1
	v_add_nc_u32_e32 v0, s8, v0
	v_cmp_neq_f32_e64 s6, s10, 0
	v_cmp_gt_i32_e64 s0, s20, v9
	v_cmp_le_i32_e32 vcc_lo, v0, v9
	s_waitcnt lgkmcnt(0)
	v_mad_i64_i32 v[1:2], null, v9, s2, 0
	s_lshl_b64 s[4:5], s[4:5], 3
	s_add_u32 s3, s22, s4
	s_addc_u32 s4, s23, s5
	s_xor_b32 s5, s24, -1
	s_or_b32 s5, s6, s5
	v_lshlrev_b64 v[2:3], 3, v[1:2]
	v_ashrrev_i32_e32 v1, 31, v0
	v_cndmask_b32_e64 v8, 0, 1, s5
	s_and_b32 s6, s0, vcc_lo
	v_add_co_u32 v6, s1, s3, v2
	v_add_co_ci_u32_e64 v7, null, s4, v3, s1
	s_and_saveexec_b32 s1, s6
	s_cbranch_execz .LBB364_20
; %bb.17:
	v_lshlrev_b64 v[4:5], 3, v[0:1]
	v_mul_f32_e32 v2, s15, v21
	v_mul_f32_e32 v3, s14, v21
	v_fma_f32 v2, v20, s14, -v2
	v_add_co_u32 v4, vcc_lo, v6, v4
	v_fmac_f32_e32 v3, s15, v20
	v_add_co_ci_u32_e64 v5, null, v7, v5, vcc_lo
	s_andn2_b32 vcc_lo, exec_lo, s5
	s_cbranch_vccnz .LBB364_19
; %bb.18:
	flat_load_dwordx2 v[10:11], v[4:5]
	s_waitcnt vmcnt(0) lgkmcnt(0)
	v_mul_f32_e32 v12, s11, v11
	v_mul_f32_e32 v11, s10, v11
	v_fma_f32 v12, v10, s10, -v12
	v_fmac_f32_e32 v11, s11, v10
	v_add_f32_e32 v2, v2, v12
	v_add_f32_e32 v3, v3, v11
.LBB364_19:
	flat_store_dwordx2 v[4:5], v[2:3]
.LBB364_20:
	s_or_b32 exec_lo, exec_lo, s1
	v_add_nc_u32_e32 v2, 16, v0
	v_cmp_le_i32_e32 vcc_lo, v2, v9
	v_ashrrev_i32_e32 v3, 31, v2
	s_and_b32 s0, s0, vcc_lo
	s_and_saveexec_b32 s1, s0
	s_cbranch_execz .LBB364_24
; %bb.21:
	v_lshlrev_b64 v[10:11], 3, v[2:3]
	v_mul_f32_e32 v4, s15, v19
	v_mul_f32_e32 v5, s14, v19
	v_cmp_ne_u32_e32 vcc_lo, 1, v8
	v_fma_f32 v4, v18, s14, -v4
	v_add_co_u32 v6, s0, v6, v10
	v_fmac_f32_e32 v5, s15, v18
	v_add_co_ci_u32_e64 v7, null, v7, v11, s0
	s_cbranch_vccnz .LBB364_23
; %bb.22:
	flat_load_dwordx2 v[10:11], v[6:7]
	s_waitcnt vmcnt(0) lgkmcnt(0)
	v_mul_f32_e32 v12, s11, v11
	v_mul_f32_e32 v11, s10, v11
	v_fma_f32 v12, v10, s10, -v12
	v_fmac_f32_e32 v11, s11, v10
	v_add_f32_e32 v4, v4, v12
	v_add_f32_e32 v5, v5, v11
.LBB364_23:
	flat_store_dwordx2 v[6:7], v[4:5]
.LBB364_24:
	s_or_b32 exec_lo, exec_lo, s1
	v_add_nc_u32_e32 v9, 16, v9
	v_mad_i64_i32 v[4:5], null, v9, s2, 0
	v_cmp_gt_i32_e64 s0, s20, v9
	v_cmp_le_i32_e32 vcc_lo, v0, v9
	v_lshlrev_b64 v[4:5], 3, v[4:5]
	v_add_co_u32 v6, s1, s3, v4
	v_add_co_ci_u32_e64 v7, null, s4, v5, s1
	s_and_b32 s1, s0, vcc_lo
	s_and_saveexec_b32 s2, s1
	s_cbranch_execz .LBB364_28
; %bb.25:
	v_lshlrev_b64 v[0:1], 3, v[0:1]
	v_mul_f32_e32 v4, s15, v17
	v_mul_f32_e32 v5, s14, v17
	v_cmp_ne_u32_e32 vcc_lo, 1, v8
	v_fma_f32 v4, v16, s14, -v4
	v_add_co_u32 v0, s1, v6, v0
	v_fmac_f32_e32 v5, s15, v16
	v_add_co_ci_u32_e64 v1, null, v7, v1, s1
	s_cbranch_vccnz .LBB364_27
; %bb.26:
	flat_load_dwordx2 v[10:11], v[0:1]
	s_waitcnt vmcnt(0) lgkmcnt(0)
	v_mul_f32_e32 v12, s11, v11
	v_mul_f32_e32 v11, s10, v11
	v_fma_f32 v12, v10, s10, -v12
	v_fmac_f32_e32 v11, s11, v10
	v_add_f32_e32 v4, v4, v12
	v_add_f32_e32 v5, v5, v11
.LBB364_27:
	flat_store_dwordx2 v[0:1], v[4:5]
.LBB364_28:
	s_or_b32 exec_lo, exec_lo, s2
	v_cmp_le_i32_e32 vcc_lo, v2, v9
	s_and_b32 s0, s0, vcc_lo
	s_and_saveexec_b32 s1, s0
	s_cbranch_execz .LBB364_32
; %bb.29:
	v_lshlrev_b64 v[2:3], 3, v[2:3]
	v_mul_f32_e32 v0, s15, v15
	v_mul_f32_e32 v1, s14, v15
	v_cmp_ne_u32_e32 vcc_lo, 1, v8
	v_fma_f32 v0, v14, s14, -v0
	v_add_co_u32 v2, s0, v6, v2
	v_fmac_f32_e32 v1, s15, v14
	v_add_co_ci_u32_e64 v3, null, v7, v3, s0
	s_cbranch_vccnz .LBB364_31
; %bb.30:
	flat_load_dwordx2 v[4:5], v[2:3]
	s_waitcnt vmcnt(0) lgkmcnt(0)
	v_mul_f32_e32 v6, s11, v5
	v_mul_f32_e32 v5, s10, v5
	v_fma_f32 v6, v4, s10, -v6
	v_fmac_f32_e32 v5, s11, v4
	v_add_f32_e32 v0, v0, v6
	v_add_f32_e32 v1, v1, v5
.LBB364_31:
	flat_store_dwordx2 v[2:3], v[0:1]
.LBB364_32:
	s_endpgm
	.section	.rodata,"a",@progbits
	.p2align	6, 0x0
	.amdhsa_kernel _ZL29rocblas_internal_gemmt_kernelIiLi16ELi32ELi8ELc84ELc84ELc85ELb0ELb0E19rocblas_complex_numIfEPKS1_PKS3_PKPS1_EviT_T9_T10_S9_lSB_S9_lSA_T11_S9_li
		.amdhsa_group_segment_fixed_size 4096
		.amdhsa_private_segment_fixed_size 0
		.amdhsa_kernarg_size 100
		.amdhsa_user_sgpr_count 6
		.amdhsa_user_sgpr_private_segment_buffer 1
		.amdhsa_user_sgpr_dispatch_ptr 0
		.amdhsa_user_sgpr_queue_ptr 0
		.amdhsa_user_sgpr_kernarg_segment_ptr 1
		.amdhsa_user_sgpr_dispatch_id 0
		.amdhsa_user_sgpr_flat_scratch_init 0
		.amdhsa_user_sgpr_private_segment_size 0
		.amdhsa_wavefront_size32 1
		.amdhsa_uses_dynamic_stack 0
		.amdhsa_system_sgpr_private_segment_wavefront_offset 0
		.amdhsa_system_sgpr_workgroup_id_x 1
		.amdhsa_system_sgpr_workgroup_id_y 1
		.amdhsa_system_sgpr_workgroup_id_z 1
		.amdhsa_system_sgpr_workgroup_info 0
		.amdhsa_system_vgpr_workitem_id 1
		.amdhsa_next_free_vgpr 59
		.amdhsa_next_free_sgpr 27
		.amdhsa_reserve_vcc 1
		.amdhsa_reserve_flat_scratch 0
		.amdhsa_float_round_mode_32 0
		.amdhsa_float_round_mode_16_64 0
		.amdhsa_float_denorm_mode_32 3
		.amdhsa_float_denorm_mode_16_64 3
		.amdhsa_dx10_clamp 1
		.amdhsa_ieee_mode 1
		.amdhsa_fp16_overflow 0
		.amdhsa_workgroup_processor_mode 1
		.amdhsa_memory_ordered 1
		.amdhsa_forward_progress 1
		.amdhsa_shared_vgpr_count 0
		.amdhsa_exception_fp_ieee_invalid_op 0
		.amdhsa_exception_fp_denorm_src 0
		.amdhsa_exception_fp_ieee_div_zero 0
		.amdhsa_exception_fp_ieee_overflow 0
		.amdhsa_exception_fp_ieee_underflow 0
		.amdhsa_exception_fp_ieee_inexact 0
		.amdhsa_exception_int_div_zero 0
	.end_amdhsa_kernel
	.section	.text._ZL29rocblas_internal_gemmt_kernelIiLi16ELi32ELi8ELc84ELc84ELc85ELb0ELb0E19rocblas_complex_numIfEPKS1_PKS3_PKPS1_EviT_T9_T10_S9_lSB_S9_lSA_T11_S9_li,"axG",@progbits,_ZL29rocblas_internal_gemmt_kernelIiLi16ELi32ELi8ELc84ELc84ELc85ELb0ELb0E19rocblas_complex_numIfEPKS1_PKS3_PKPS1_EviT_T9_T10_S9_lSB_S9_lSA_T11_S9_li,comdat
.Lfunc_end364:
	.size	_ZL29rocblas_internal_gemmt_kernelIiLi16ELi32ELi8ELc84ELc84ELc85ELb0ELb0E19rocblas_complex_numIfEPKS1_PKS3_PKPS1_EviT_T9_T10_S9_lSB_S9_lSA_T11_S9_li, .Lfunc_end364-_ZL29rocblas_internal_gemmt_kernelIiLi16ELi32ELi8ELc84ELc84ELc85ELb0ELb0E19rocblas_complex_numIfEPKS1_PKS3_PKPS1_EviT_T9_T10_S9_lSB_S9_lSA_T11_S9_li
                                        ; -- End function
	.set _ZL29rocblas_internal_gemmt_kernelIiLi16ELi32ELi8ELc84ELc84ELc85ELb0ELb0E19rocblas_complex_numIfEPKS1_PKS3_PKPS1_EviT_T9_T10_S9_lSB_S9_lSA_T11_S9_li.num_vgpr, 59
	.set _ZL29rocblas_internal_gemmt_kernelIiLi16ELi32ELi8ELc84ELc84ELc85ELb0ELb0E19rocblas_complex_numIfEPKS1_PKS3_PKPS1_EviT_T9_T10_S9_lSB_S9_lSA_T11_S9_li.num_agpr, 0
	.set _ZL29rocblas_internal_gemmt_kernelIiLi16ELi32ELi8ELc84ELc84ELc85ELb0ELb0E19rocblas_complex_numIfEPKS1_PKS3_PKPS1_EviT_T9_T10_S9_lSB_S9_lSA_T11_S9_li.numbered_sgpr, 27
	.set _ZL29rocblas_internal_gemmt_kernelIiLi16ELi32ELi8ELc84ELc84ELc85ELb0ELb0E19rocblas_complex_numIfEPKS1_PKS3_PKPS1_EviT_T9_T10_S9_lSB_S9_lSA_T11_S9_li.num_named_barrier, 0
	.set _ZL29rocblas_internal_gemmt_kernelIiLi16ELi32ELi8ELc84ELc84ELc85ELb0ELb0E19rocblas_complex_numIfEPKS1_PKS3_PKPS1_EviT_T9_T10_S9_lSB_S9_lSA_T11_S9_li.private_seg_size, 0
	.set _ZL29rocblas_internal_gemmt_kernelIiLi16ELi32ELi8ELc84ELc84ELc85ELb0ELb0E19rocblas_complex_numIfEPKS1_PKS3_PKPS1_EviT_T9_T10_S9_lSB_S9_lSA_T11_S9_li.uses_vcc, 1
	.set _ZL29rocblas_internal_gemmt_kernelIiLi16ELi32ELi8ELc84ELc84ELc85ELb0ELb0E19rocblas_complex_numIfEPKS1_PKS3_PKPS1_EviT_T9_T10_S9_lSB_S9_lSA_T11_S9_li.uses_flat_scratch, 0
	.set _ZL29rocblas_internal_gemmt_kernelIiLi16ELi32ELi8ELc84ELc84ELc85ELb0ELb0E19rocblas_complex_numIfEPKS1_PKS3_PKPS1_EviT_T9_T10_S9_lSB_S9_lSA_T11_S9_li.has_dyn_sized_stack, 0
	.set _ZL29rocblas_internal_gemmt_kernelIiLi16ELi32ELi8ELc84ELc84ELc85ELb0ELb0E19rocblas_complex_numIfEPKS1_PKS3_PKPS1_EviT_T9_T10_S9_lSB_S9_lSA_T11_S9_li.has_recursion, 0
	.set _ZL29rocblas_internal_gemmt_kernelIiLi16ELi32ELi8ELc84ELc84ELc85ELb0ELb0E19rocblas_complex_numIfEPKS1_PKS3_PKPS1_EviT_T9_T10_S9_lSB_S9_lSA_T11_S9_li.has_indirect_call, 0
	.section	.AMDGPU.csdata,"",@progbits
; Kernel info:
; codeLenInByte = 2536
; TotalNumSgprs: 29
; NumVgprs: 59
; ScratchSize: 0
; MemoryBound: 1
; FloatMode: 240
; IeeeMode: 1
; LDSByteSize: 4096 bytes/workgroup (compile time only)
; SGPRBlocks: 0
; VGPRBlocks: 7
; NumSGPRsForWavesPerEU: 29
; NumVGPRsForWavesPerEU: 59
; Occupancy: 16
; WaveLimiterHint : 1
; COMPUTE_PGM_RSRC2:SCRATCH_EN: 0
; COMPUTE_PGM_RSRC2:USER_SGPR: 6
; COMPUTE_PGM_RSRC2:TRAP_HANDLER: 0
; COMPUTE_PGM_RSRC2:TGID_X_EN: 1
; COMPUTE_PGM_RSRC2:TGID_Y_EN: 1
; COMPUTE_PGM_RSRC2:TGID_Z_EN: 1
; COMPUTE_PGM_RSRC2:TIDIG_COMP_CNT: 1
	.section	.text._ZL29rocblas_internal_gemmt_kernelIiLi16ELi32ELi8ELc84ELc67ELc85ELb0ELb1E19rocblas_complex_numIfEPKS1_PKS3_PKPS1_EviT_T9_T10_S9_lSB_S9_lSA_T11_S9_li,"axG",@progbits,_ZL29rocblas_internal_gemmt_kernelIiLi16ELi32ELi8ELc84ELc67ELc85ELb0ELb1E19rocblas_complex_numIfEPKS1_PKS3_PKPS1_EviT_T9_T10_S9_lSB_S9_lSA_T11_S9_li,comdat
	.globl	_ZL29rocblas_internal_gemmt_kernelIiLi16ELi32ELi8ELc84ELc67ELc85ELb0ELb1E19rocblas_complex_numIfEPKS1_PKS3_PKPS1_EviT_T9_T10_S9_lSB_S9_lSA_T11_S9_li ; -- Begin function _ZL29rocblas_internal_gemmt_kernelIiLi16ELi32ELi8ELc84ELc67ELc85ELb0ELb1E19rocblas_complex_numIfEPKS1_PKS3_PKPS1_EviT_T9_T10_S9_lSB_S9_lSA_T11_S9_li
	.p2align	8
	.type	_ZL29rocblas_internal_gemmt_kernelIiLi16ELi32ELi8ELc84ELc67ELc85ELb0ELb1E19rocblas_complex_numIfEPKS1_PKS3_PKPS1_EviT_T9_T10_S9_lSB_S9_lSA_T11_S9_li,@function
_ZL29rocblas_internal_gemmt_kernelIiLi16ELi32ELi8ELc84ELc67ELc85ELb0ELb1E19rocblas_complex_numIfEPKS1_PKS3_PKPS1_EviT_T9_T10_S9_lSB_S9_lSA_T11_S9_li: ; @_ZL29rocblas_internal_gemmt_kernelIiLi16ELi32ELi8ELc84ELc67ELc85ELb0ELb1E19rocblas_complex_numIfEPKS1_PKS3_PKPS1_EviT_T9_T10_S9_lSB_S9_lSA_T11_S9_li
; %bb.0:
	s_clause 0x1
	s_load_dwordx4 s[12:15], s[4:5], 0x38
	s_load_dwordx4 s[0:3], s[4:5], 0x8
	s_waitcnt lgkmcnt(0)
	s_load_dwordx2 s[10:11], s[14:15], 0x0
	s_load_dwordx2 s[20:21], s[4:5], 0x0
	;; [unrolled: 1-line block ×3, first 2 shown]
	s_waitcnt lgkmcnt(0)
	s_and_b32 s0, s11, 0x7fffffff
	v_cmp_eq_f32_e64 s1, s10, 1.0
	s_cmp_eq_u32 s0, 0
	s_mov_b32 s0, 0
	s_cselect_b32 s24, -1, 0
	s_and_b32 s1, s1, s24
	s_andn2_b32 vcc_lo, exec_lo, s1
	s_mov_b32 s1, -1
	s_cbranch_vccnz .LBB365_4
; %bb.1:
	s_cmp_lg_u32 s21, 0
	s_cbranch_scc0 .LBB365_3
; %bb.2:
	v_cmp_neq_f32_e64 s0, s14, 0
	v_cmp_neq_f32_e64 s1, s15, 0
	s_or_b32 s0, s0, s1
.LBB365_3:
	s_mov_b32 s1, s0
.LBB365_4:
	s_and_b32 vcc_lo, exec_lo, s1
	s_cbranch_vccz .LBB365_32
; %bb.5:
	s_load_dwordx2 s[16:17], s[4:5], 0x48
	s_mov_b32 s9, 0
	v_cmp_eq_f32_e64 s18, s14, 0
	s_lshl_b64 s[0:1], s[8:9], 3
	v_cmp_eq_f32_e64 s19, s15, 0
	v_mov_b32_e32 v20, 0
	v_mov_b32_e32 v21, 0
	;; [unrolled: 1-line block ×8, first 2 shown]
	s_waitcnt lgkmcnt(0)
	s_add_u32 s16, s16, s0
	s_addc_u32 s17, s17, s1
	s_lshl_b32 s8, s6, 5
	s_load_dwordx2 s[22:23], s[16:17], 0x0
	s_lshl_b32 s25, s7, 5
	s_and_b32 s6, s18, s19
	s_cmp_lt_i32 s21, 1
	s_cselect_b32 s7, -1, 0
	s_or_b32 s6, s6, s7
	s_and_b32 vcc_lo, exec_lo, s6
	s_cbranch_vccnz .LBB365_16
; %bb.6:
	s_clause 0x2
	s_load_dword s6, s[4:5], 0x30
	s_load_dword s26, s[4:5], 0x18
	s_load_dwordx4 s[16:19], s[4:5], 0x20
	v_lshl_add_u32 v2, v1, 4, v0
	v_and_b32_e32 v8, 7, v0
	v_lshlrev_b32_e32 v12, 3, v0
	v_lshl_add_u32 v13, v1, 6, 0x800
	v_mov_b32_e32 v17, 0
	v_and_b32_e32 v4, 31, v2
	v_lshrrev_b32_e32 v5, 3, v2
	v_lshlrev_b32_e32 v6, 3, v8
	v_lshrrev_b32_e32 v9, 5, v2
	v_mov_b32_e32 v16, 0
	v_or_b32_e32 v2, s8, v4
	v_lshlrev_b32_e32 v7, 3, v4
	v_add_nc_u32_e32 v4, s8, v4
	v_add_nc_u32_e32 v3, s25, v5
	v_lshl_or_b32 v11, v5, 6, v6
	v_cmp_gt_i32_e32 vcc_lo, s20, v2
	v_lshl_or_b32 v10, v9, 8, v7
	s_waitcnt lgkmcnt(0)
	s_ashr_i32 s7, s6, 31
	v_mad_i64_i32 v[5:6], null, s26, v4, 0
	s_add_u32 s18, s18, s0
	s_addc_u32 s19, s19, s1
	v_mad_i64_i32 v[14:15], null, s6, v8, 0
	s_add_u32 s0, s2, s0
	s_addc_u32 s1, s3, s1
	s_load_dwordx2 s[2:3], s[18:19], 0x0
	s_load_dwordx2 s[18:19], s[0:1], 0x0
	v_lshlrev_b64 v[5:6], 3, v[5:6]
	v_ashrrev_i32_e32 v4, 31, v3
	s_lshl_b64 s[16:17], s[16:17], 3
	v_lshlrev_b64 v[14:15], 3, v[14:15]
	v_lshlrev_b32_e32 v7, 3, v9
	s_lshl_b64 s[12:13], s[12:13], 3
	v_add_co_u32 v5, s1, v5, s16
	v_cmp_gt_i32_e64 s0, s20, v3
	v_lshlrev_b64 v[3:4], 3, v[3:4]
	v_add_co_ci_u32_e64 v6, null, s17, v6, s1
	v_add_co_u32 v14, s1, v14, s12
	v_add_co_ci_u32_e64 v15, null, s13, v15, s1
	v_add_co_u32 v5, s1, v5, v7
	;; [unrolled: 2-line block ×3, first 2 shown]
	v_add_co_ci_u32_e64 v7, null, v15, v4, s1
	s_waitcnt lgkmcnt(0)
	v_add_co_u32 v4, s1, s18, v5
	v_add_co_ci_u32_e64 v5, null, s19, v6, s1
	v_add_co_u32 v6, s1, s2, v3
	v_add_nc_u32_e32 v11, 0x800, v11
	v_mov_b32_e32 v2, 0
	v_add_co_ci_u32_e64 v7, null, s3, v7, s1
	v_mov_b32_e32 v15, 0
	v_mov_b32_e32 v14, 0
	v_mov_b32_e32 v19, 0
	v_mov_b32_e32 v18, 0
	v_mov_b32_e32 v21, 0
	v_mov_b32_e32 v20, 0
	s_lshl_b64 s[2:3], s[6:7], 6
	s_xor_b32 s1, vcc_lo, -1
	s_xor_b32 s0, s0, -1
	s_branch .LBB365_8
.LBB365_7:                              ;   in Loop: Header=BB365_8 Depth=1
	s_or_b32 exec_lo, exec_lo, s6
	ds_write_b32 v11, v3 offset:4
	s_waitcnt lgkmcnt(0)
	s_barrier
	buffer_gl0_inv
	ds_read_b128 v[22:25], v13
	ds_read2_b64 v[26:29], v12 offset1:16
	ds_read_b128 v[30:33], v13 offset:1024
	ds_read_b128 v[34:37], v13 offset:16
	;; [unrolled: 1-line block ×4, first 2 shown]
	ds_read2_b64 v[46:49], v12 offset0:32 offset1:48
	ds_read_b128 v[50:53], v13 offset:1040
	v_add_co_u32 v4, vcc_lo, v4, 64
	v_add_co_ci_u32_e64 v5, null, 0, v5, vcc_lo
	v_add_co_u32 v6, vcc_lo, v6, s2
	v_add_co_ci_u32_e64 v7, null, s3, v7, vcc_lo
	s_add_i32 s9, s9, 8
	s_cmp_lt_i32 s9, s21
	s_waitcnt lgkmcnt(6)
	v_mul_f32_e32 v3, v23, v27
	v_mul_f32_e32 v54, v22, v27
	;; [unrolled: 1-line block ×4, first 2 shown]
	s_waitcnt lgkmcnt(5)
	v_mul_f32_e32 v57, v31, v27
	v_mul_f32_e32 v27, v30, v27
	;; [unrolled: 1-line block ×3, first 2 shown]
	v_fma_f32 v3, v22, v26, -v3
	v_fmac_f32_e32 v54, v23, v26
	v_fma_f32 v22, v22, v28, -v55
	v_fmac_f32_e32 v56, v23, v28
	;; [unrolled: 2-line block ×3, first 2 shown]
	v_mul_f32_e32 v29, v30, v29
	v_fma_f32 v26, v30, v28, -v58
	v_add_f32_e32 v3, v20, v3
	v_add_f32_e32 v20, v21, v54
	;; [unrolled: 1-line block ×6, first 2 shown]
	s_waitcnt lgkmcnt(1)
	v_mul_f32_e32 v30, v25, v47
	ds_read2_b64 v[16:19], v12 offset0:64 offset1:80
	v_fmac_f32_e32 v29, v31, v28
	v_add_f32_e32 v14, v14, v26
	v_mul_f32_e32 v26, v24, v47
	v_fma_f32 v28, v24, v46, -v30
	v_mul_f32_e32 v30, v25, v49
	v_add_f32_e32 v15, v15, v29
	v_mul_f32_e32 v29, v24, v49
	v_fmac_f32_e32 v26, v25, v46
	v_add_f32_e32 v3, v3, v28
	v_fma_f32 v24, v24, v48, -v30
	v_mul_f32_e32 v28, v33, v47
	v_fmac_f32_e32 v29, v25, v48
	v_add_f32_e32 v26, v20, v26
	v_mul_f32_e32 v20, v32, v47
	v_add_f32_e32 v24, v21, v24
	v_fma_f32 v21, v32, v46, -v28
	v_mul_f32_e32 v25, v33, v49
	v_add_f32_e32 v28, v22, v29
	v_fmac_f32_e32 v20, v33, v46
	v_mul_f32_e32 v29, v32, v49
	v_add_f32_e32 v30, v23, v21
	v_fma_f32 v21, v32, v48, -v25
	s_waitcnt lgkmcnt(0)
	v_mul_f32_e32 v22, v35, v17
	v_add_f32_e32 v25, v27, v20
	v_fmac_f32_e32 v29, v33, v48
	v_mul_f32_e32 v27, v34, v17
	v_add_f32_e32 v14, v14, v21
	v_fma_f32 v31, v34, v16, -v22
	v_mul_f32_e32 v32, v35, v19
	ds_read2_b64 v[20:23], v12 offset0:96 offset1:112
	v_fmac_f32_e32 v27, v35, v16
	v_add_f32_e32 v29, v15, v29
	v_add_f32_e32 v3, v3, v31
	v_mul_f32_e32 v15, v34, v19
	v_fma_f32 v31, v34, v18, -v32
	v_add_f32_e32 v26, v26, v27
	v_mul_f32_e32 v27, v51, v17
	v_mul_f32_e32 v17, v50, v17
	v_fmac_f32_e32 v15, v35, v18
	v_add_f32_e32 v24, v24, v31
	v_mul_f32_e32 v31, v51, v19
	v_mul_f32_e32 v19, v50, v19
	v_fmac_f32_e32 v17, v51, v16
	v_add_f32_e32 v28, v28, v15
	v_fma_f32 v27, v50, v16, -v27
	v_fma_f32 v15, v50, v18, -v31
	v_fmac_f32_e32 v19, v51, v18
	v_add_f32_e32 v31, v25, v17
	s_waitcnt lgkmcnt(0)
	v_mul_f32_e32 v18, v37, v21
	v_add_f32_e32 v32, v14, v15
	ds_read2_b64 v[14:17], v12 offset0:128 offset1:144
	v_add_f32_e32 v30, v30, v27
	v_mul_f32_e32 v25, v36, v21
	v_fma_f32 v18, v36, v20, -v18
	v_mul_f32_e32 v27, v37, v23
	v_add_f32_e32 v29, v29, v19
	v_mul_f32_e32 v19, v36, v23
	v_fmac_f32_e32 v25, v37, v20
	v_add_f32_e32 v3, v3, v18
	v_mul_f32_e32 v18, v53, v21
	v_fma_f32 v27, v36, v22, -v27
	v_fmac_f32_e32 v19, v37, v22
	v_mul_f32_e32 v21, v52, v21
	v_mul_f32_e32 v35, v53, v23
	v_fma_f32 v18, v52, v20, -v18
	v_add_f32_e32 v33, v26, v25
	v_add_f32_e32 v34, v24, v27
	ds_read_b128 v[24:27], v13 offset:1056
	v_add_f32_e32 v36, v28, v19
	v_fmac_f32_e32 v21, v53, v20
	v_mul_f32_e32 v23, v52, v23
	v_fma_f32 v19, v52, v22, -v35
	v_add_f32_e32 v35, v30, v18
	s_waitcnt lgkmcnt(1)
	v_mul_f32_e32 v18, v39, v15
	v_add_f32_e32 v37, v31, v21
	v_fmac_f32_e32 v23, v53, v22
	v_add_f32_e32 v22, v32, v19
	v_mul_f32_e32 v32, v38, v15
	v_fma_f32 v28, v38, v14, -v18
	ds_read2_b64 v[18:21], v12 offset0:160 offset1:176
	v_mul_f32_e32 v30, v39, v17
	v_mul_f32_e32 v46, v38, v17
	v_fmac_f32_e32 v32, v39, v14
	v_add_f32_e32 v23, v29, v23
	v_add_f32_e32 v3, v3, v28
	v_fma_f32 v38, v38, v16, -v30
	ds_read_b128 v[28:31], v13 offset:1072
	s_waitcnt lgkmcnt(2)
	v_mul_f32_e32 v47, v25, v15
	v_add_f32_e32 v32, v33, v32
	v_mul_f32_e32 v15, v24, v15
	v_add_f32_e32 v33, v34, v38
	v_mul_f32_e32 v38, v25, v17
	v_fmac_f32_e32 v46, v39, v16
	v_fma_f32 v34, v24, v14, -v47
	v_fmac_f32_e32 v15, v25, v14
	v_mul_f32_e32 v39, v24, v17
	v_fma_f32 v14, v24, v16, -v38
	v_add_f32_e32 v36, v36, v46
	v_add_f32_e32 v34, v35, v34
	s_waitcnt lgkmcnt(1)
	v_mul_f32_e32 v17, v41, v19
	v_add_f32_e32 v24, v37, v15
	v_fmac_f32_e32 v39, v25, v16
	v_mul_f32_e32 v25, v40, v19
	v_add_f32_e32 v22, v22, v14
	v_fma_f32 v35, v40, v18, -v17
	ds_read2_b64 v[14:17], v12 offset0:192 offset1:208
	v_mul_f32_e32 v37, v41, v21
	v_fmac_f32_e32 v25, v41, v18
	v_add_f32_e32 v38, v23, v39
	v_add_f32_e32 v3, v3, v35
	v_mul_f32_e32 v23, v40, v21
	v_fma_f32 v35, v40, v20, -v37
	v_add_f32_e32 v32, v32, v25
	v_mul_f32_e32 v25, v27, v19
	v_mul_f32_e32 v19, v26, v19
	v_fmac_f32_e32 v23, v41, v20
	v_add_f32_e32 v33, v33, v35
	v_mul_f32_e32 v35, v27, v21
	v_fma_f32 v25, v26, v18, -v25
	v_fmac_f32_e32 v19, v27, v18
	v_add_f32_e32 v18, v36, v23
	v_mul_f32_e32 v21, v26, v21
	v_fma_f32 v23, v26, v20, -v35
	v_add_f32_e32 v26, v34, v25
	v_add_f32_e32 v19, v24, v19
	s_waitcnt lgkmcnt(0)
	v_mul_f32_e32 v34, v43, v15
	v_fmac_f32_e32 v21, v27, v20
	v_add_f32_e32 v20, v22, v23
	ds_read2_b64 v[22:25], v12 offset0:224 offset1:240
	v_mul_f32_e32 v27, v42, v15
	v_fma_f32 v34, v42, v14, -v34
	v_mul_f32_e32 v35, v43, v17
	v_mul_f32_e32 v36, v42, v17
	v_add_f32_e32 v21, v38, v21
	v_fmac_f32_e32 v27, v43, v14
	v_add_f32_e32 v3, v3, v34
	v_mul_f32_e32 v34, v29, v15
	v_fma_f32 v35, v42, v16, -v35
	v_fmac_f32_e32 v36, v43, v16
	v_add_f32_e32 v27, v32, v27
	v_mul_f32_e32 v15, v28, v15
	v_fma_f32 v32, v28, v14, -v34
	v_mul_f32_e32 v34, v29, v17
	v_add_f32_e32 v33, v33, v35
	v_add_f32_e32 v35, v18, v36
	v_fmac_f32_e32 v15, v29, v14
	v_add_f32_e32 v14, v26, v32
	v_mul_f32_e32 v17, v28, v17
	v_fma_f32 v18, v28, v16, -v34
	s_waitcnt lgkmcnt(0)
	v_mul_f32_e32 v26, v45, v23
	v_mul_f32_e32 v28, v44, v23
	v_add_f32_e32 v15, v19, v15
	v_fmac_f32_e32 v17, v29, v16
	v_add_f32_e32 v29, v20, v18
	v_fma_f32 v16, v44, v22, -v26
	v_mul_f32_e32 v18, v45, v25
	v_mul_f32_e32 v19, v44, v25
	v_add_f32_e32 v26, v21, v17
	v_mul_f32_e32 v17, v30, v23
	v_add_f32_e32 v20, v3, v16
	v_fma_f32 v3, v44, v24, -v18
	v_mul_f32_e32 v16, v31, v23
	v_mul_f32_e32 v23, v31, v25
	v_mul_f32_e32 v25, v30, v25
	v_fmac_f32_e32 v28, v45, v22
	v_fmac_f32_e32 v19, v45, v24
	v_add_f32_e32 v18, v33, v3
	v_fma_f32 v3, v30, v22, -v16
	v_fmac_f32_e32 v17, v31, v22
	v_fma_f32 v22, v30, v24, -v23
	v_fmac_f32_e32 v25, v31, v24
	v_add_f32_e32 v21, v27, v28
	v_add_f32_e32 v19, v35, v19
	v_add_f32_e32 v16, v14, v3
	v_add_f32_e32 v17, v15, v17
	v_add_f32_e32 v14, v29, v22
	v_add_f32_e32 v15, v26, v25
	s_barrier
	buffer_gl0_inv
	s_cbranch_scc0 .LBB365_16
.LBB365_8:                              ; =>This Inner Loop Header: Depth=1
	v_add_nc_u32_e32 v3, s9, v9
	v_cmp_le_i32_e32 vcc_lo, s21, v3
	s_or_b32 s6, s1, vcc_lo
	s_and_saveexec_b32 s7, s6
	s_xor_b32 s6, exec_lo, s7
; %bb.9:                                ;   in Loop: Header=BB365_8 Depth=1
	v_mov_b32_e32 v3, v2
	ds_write_b64 v10, v[2:3]
; %bb.10:                               ;   in Loop: Header=BB365_8 Depth=1
	s_andn2_saveexec_b32 s6, s6
	s_cbranch_execz .LBB365_12
; %bb.11:                               ;   in Loop: Header=BB365_8 Depth=1
	flat_load_dwordx2 v[22:23], v[4:5]
	s_waitcnt vmcnt(0) lgkmcnt(0)
	ds_write_b64 v10, v[22:23]
.LBB365_12:                             ;   in Loop: Header=BB365_8 Depth=1
	s_or_b32 exec_lo, exec_lo, s6
	v_add_nc_u32_e32 v3, s9, v8
	v_cmp_le_i32_e32 vcc_lo, s21, v3
	s_or_b32 s6, vcc_lo, s0
	s_and_saveexec_b32 s7, s6
	s_xor_b32 s6, exec_lo, s7
; %bb.13:                               ;   in Loop: Header=BB365_8 Depth=1
	ds_write_b32 v11, v2
; %bb.14:                               ;   in Loop: Header=BB365_8 Depth=1
	s_or_saveexec_b32 s6, s6
	v_mov_b32_e32 v3, 0
	s_xor_b32 exec_lo, exec_lo, s6
	s_cbranch_execz .LBB365_7
; %bb.15:                               ;   in Loop: Header=BB365_8 Depth=1
	flat_load_dwordx2 v[22:23], v[6:7]
	s_waitcnt vmcnt(0) lgkmcnt(0)
	v_xor_b32_e32 v3, 0x80000000, v23
	ds_write_b32 v11, v22
	s_branch .LBB365_7
.LBB365_16:
	s_clause 0x1
	s_load_dword s2, s[4:5], 0x50
	s_load_dwordx2 s[4:5], s[4:5], 0x58
	v_add_nc_u32_e32 v9, s25, v1
	v_add_nc_u32_e32 v0, s8, v0
	v_cmp_neq_f32_e64 s6, s10, 0
	v_cmp_gt_i32_e64 s0, s20, v9
	v_cmp_le_i32_e32 vcc_lo, v0, v9
	s_waitcnt lgkmcnt(0)
	v_mad_i64_i32 v[1:2], null, v9, s2, 0
	s_lshl_b64 s[4:5], s[4:5], 3
	s_add_u32 s3, s22, s4
	s_addc_u32 s4, s23, s5
	s_xor_b32 s5, s24, -1
	s_or_b32 s5, s6, s5
	v_lshlrev_b64 v[2:3], 3, v[1:2]
	v_ashrrev_i32_e32 v1, 31, v0
	v_cndmask_b32_e64 v8, 0, 1, s5
	s_and_b32 s6, s0, vcc_lo
	v_add_co_u32 v6, s1, s3, v2
	v_add_co_ci_u32_e64 v7, null, s4, v3, s1
	s_and_saveexec_b32 s1, s6
	s_cbranch_execz .LBB365_20
; %bb.17:
	v_lshlrev_b64 v[4:5], 3, v[0:1]
	v_mul_f32_e32 v2, s15, v21
	v_mul_f32_e32 v3, s14, v21
	v_fma_f32 v2, v20, s14, -v2
	v_add_co_u32 v4, vcc_lo, v6, v4
	v_fmac_f32_e32 v3, s15, v20
	v_add_co_ci_u32_e64 v5, null, v7, v5, vcc_lo
	s_andn2_b32 vcc_lo, exec_lo, s5
	s_cbranch_vccnz .LBB365_19
; %bb.18:
	flat_load_dwordx2 v[10:11], v[4:5]
	s_waitcnt vmcnt(0) lgkmcnt(0)
	v_mul_f32_e32 v12, s11, v11
	v_mul_f32_e32 v11, s10, v11
	v_fma_f32 v12, v10, s10, -v12
	v_fmac_f32_e32 v11, s11, v10
	v_add_f32_e32 v2, v2, v12
	v_add_f32_e32 v3, v3, v11
.LBB365_19:
	flat_store_dwordx2 v[4:5], v[2:3]
.LBB365_20:
	s_or_b32 exec_lo, exec_lo, s1
	v_add_nc_u32_e32 v2, 16, v0
	v_cmp_le_i32_e32 vcc_lo, v2, v9
	v_ashrrev_i32_e32 v3, 31, v2
	s_and_b32 s0, s0, vcc_lo
	s_and_saveexec_b32 s1, s0
	s_cbranch_execz .LBB365_24
; %bb.21:
	v_lshlrev_b64 v[10:11], 3, v[2:3]
	v_mul_f32_e32 v4, s15, v19
	v_mul_f32_e32 v5, s14, v19
	v_cmp_ne_u32_e32 vcc_lo, 1, v8
	v_fma_f32 v4, v18, s14, -v4
	v_add_co_u32 v6, s0, v6, v10
	v_fmac_f32_e32 v5, s15, v18
	v_add_co_ci_u32_e64 v7, null, v7, v11, s0
	s_cbranch_vccnz .LBB365_23
; %bb.22:
	flat_load_dwordx2 v[10:11], v[6:7]
	s_waitcnt vmcnt(0) lgkmcnt(0)
	v_mul_f32_e32 v12, s11, v11
	v_mul_f32_e32 v11, s10, v11
	v_fma_f32 v12, v10, s10, -v12
	v_fmac_f32_e32 v11, s11, v10
	v_add_f32_e32 v4, v4, v12
	v_add_f32_e32 v5, v5, v11
.LBB365_23:
	flat_store_dwordx2 v[6:7], v[4:5]
.LBB365_24:
	s_or_b32 exec_lo, exec_lo, s1
	v_add_nc_u32_e32 v9, 16, v9
	v_mad_i64_i32 v[4:5], null, v9, s2, 0
	v_cmp_gt_i32_e64 s0, s20, v9
	v_cmp_le_i32_e32 vcc_lo, v0, v9
	v_lshlrev_b64 v[4:5], 3, v[4:5]
	v_add_co_u32 v6, s1, s3, v4
	v_add_co_ci_u32_e64 v7, null, s4, v5, s1
	s_and_b32 s1, s0, vcc_lo
	s_and_saveexec_b32 s2, s1
	s_cbranch_execz .LBB365_28
; %bb.25:
	v_lshlrev_b64 v[0:1], 3, v[0:1]
	v_mul_f32_e32 v4, s15, v17
	v_mul_f32_e32 v5, s14, v17
	v_cmp_ne_u32_e32 vcc_lo, 1, v8
	v_fma_f32 v4, v16, s14, -v4
	v_add_co_u32 v0, s1, v6, v0
	v_fmac_f32_e32 v5, s15, v16
	v_add_co_ci_u32_e64 v1, null, v7, v1, s1
	s_cbranch_vccnz .LBB365_27
; %bb.26:
	flat_load_dwordx2 v[10:11], v[0:1]
	s_waitcnt vmcnt(0) lgkmcnt(0)
	v_mul_f32_e32 v12, s11, v11
	v_mul_f32_e32 v11, s10, v11
	v_fma_f32 v12, v10, s10, -v12
	v_fmac_f32_e32 v11, s11, v10
	v_add_f32_e32 v4, v4, v12
	v_add_f32_e32 v5, v5, v11
.LBB365_27:
	flat_store_dwordx2 v[0:1], v[4:5]
.LBB365_28:
	s_or_b32 exec_lo, exec_lo, s2
	v_cmp_le_i32_e32 vcc_lo, v2, v9
	s_and_b32 s0, s0, vcc_lo
	s_and_saveexec_b32 s1, s0
	s_cbranch_execz .LBB365_32
; %bb.29:
	v_lshlrev_b64 v[2:3], 3, v[2:3]
	v_mul_f32_e32 v0, s15, v15
	v_mul_f32_e32 v1, s14, v15
	v_cmp_ne_u32_e32 vcc_lo, 1, v8
	v_fma_f32 v0, v14, s14, -v0
	v_add_co_u32 v2, s0, v6, v2
	v_fmac_f32_e32 v1, s15, v14
	v_add_co_ci_u32_e64 v3, null, v7, v3, s0
	s_cbranch_vccnz .LBB365_31
; %bb.30:
	flat_load_dwordx2 v[4:5], v[2:3]
	s_waitcnt vmcnt(0) lgkmcnt(0)
	v_mul_f32_e32 v6, s11, v5
	v_mul_f32_e32 v5, s10, v5
	v_fma_f32 v6, v4, s10, -v6
	v_fmac_f32_e32 v5, s11, v4
	v_add_f32_e32 v0, v0, v6
	v_add_f32_e32 v1, v1, v5
.LBB365_31:
	flat_store_dwordx2 v[2:3], v[0:1]
.LBB365_32:
	s_endpgm
	.section	.rodata,"a",@progbits
	.p2align	6, 0x0
	.amdhsa_kernel _ZL29rocblas_internal_gemmt_kernelIiLi16ELi32ELi8ELc84ELc67ELc85ELb0ELb1E19rocblas_complex_numIfEPKS1_PKS3_PKPS1_EviT_T9_T10_S9_lSB_S9_lSA_T11_S9_li
		.amdhsa_group_segment_fixed_size 4096
		.amdhsa_private_segment_fixed_size 0
		.amdhsa_kernarg_size 100
		.amdhsa_user_sgpr_count 6
		.amdhsa_user_sgpr_private_segment_buffer 1
		.amdhsa_user_sgpr_dispatch_ptr 0
		.amdhsa_user_sgpr_queue_ptr 0
		.amdhsa_user_sgpr_kernarg_segment_ptr 1
		.amdhsa_user_sgpr_dispatch_id 0
		.amdhsa_user_sgpr_flat_scratch_init 0
		.amdhsa_user_sgpr_private_segment_size 0
		.amdhsa_wavefront_size32 1
		.amdhsa_uses_dynamic_stack 0
		.amdhsa_system_sgpr_private_segment_wavefront_offset 0
		.amdhsa_system_sgpr_workgroup_id_x 1
		.amdhsa_system_sgpr_workgroup_id_y 1
		.amdhsa_system_sgpr_workgroup_id_z 1
		.amdhsa_system_sgpr_workgroup_info 0
		.amdhsa_system_vgpr_workitem_id 1
		.amdhsa_next_free_vgpr 59
		.amdhsa_next_free_sgpr 27
		.amdhsa_reserve_vcc 1
		.amdhsa_reserve_flat_scratch 0
		.amdhsa_float_round_mode_32 0
		.amdhsa_float_round_mode_16_64 0
		.amdhsa_float_denorm_mode_32 3
		.amdhsa_float_denorm_mode_16_64 3
		.amdhsa_dx10_clamp 1
		.amdhsa_ieee_mode 1
		.amdhsa_fp16_overflow 0
		.amdhsa_workgroup_processor_mode 1
		.amdhsa_memory_ordered 1
		.amdhsa_forward_progress 1
		.amdhsa_shared_vgpr_count 0
		.amdhsa_exception_fp_ieee_invalid_op 0
		.amdhsa_exception_fp_denorm_src 0
		.amdhsa_exception_fp_ieee_div_zero 0
		.amdhsa_exception_fp_ieee_overflow 0
		.amdhsa_exception_fp_ieee_underflow 0
		.amdhsa_exception_fp_ieee_inexact 0
		.amdhsa_exception_int_div_zero 0
	.end_amdhsa_kernel
	.section	.text._ZL29rocblas_internal_gemmt_kernelIiLi16ELi32ELi8ELc84ELc67ELc85ELb0ELb1E19rocblas_complex_numIfEPKS1_PKS3_PKPS1_EviT_T9_T10_S9_lSB_S9_lSA_T11_S9_li,"axG",@progbits,_ZL29rocblas_internal_gemmt_kernelIiLi16ELi32ELi8ELc84ELc67ELc85ELb0ELb1E19rocblas_complex_numIfEPKS1_PKS3_PKPS1_EviT_T9_T10_S9_lSB_S9_lSA_T11_S9_li,comdat
.Lfunc_end365:
	.size	_ZL29rocblas_internal_gemmt_kernelIiLi16ELi32ELi8ELc84ELc67ELc85ELb0ELb1E19rocblas_complex_numIfEPKS1_PKS3_PKPS1_EviT_T9_T10_S9_lSB_S9_lSA_T11_S9_li, .Lfunc_end365-_ZL29rocblas_internal_gemmt_kernelIiLi16ELi32ELi8ELc84ELc67ELc85ELb0ELb1E19rocblas_complex_numIfEPKS1_PKS3_PKPS1_EviT_T9_T10_S9_lSB_S9_lSA_T11_S9_li
                                        ; -- End function
	.set _ZL29rocblas_internal_gemmt_kernelIiLi16ELi32ELi8ELc84ELc67ELc85ELb0ELb1E19rocblas_complex_numIfEPKS1_PKS3_PKPS1_EviT_T9_T10_S9_lSB_S9_lSA_T11_S9_li.num_vgpr, 59
	.set _ZL29rocblas_internal_gemmt_kernelIiLi16ELi32ELi8ELc84ELc67ELc85ELb0ELb1E19rocblas_complex_numIfEPKS1_PKS3_PKPS1_EviT_T9_T10_S9_lSB_S9_lSA_T11_S9_li.num_agpr, 0
	.set _ZL29rocblas_internal_gemmt_kernelIiLi16ELi32ELi8ELc84ELc67ELc85ELb0ELb1E19rocblas_complex_numIfEPKS1_PKS3_PKPS1_EviT_T9_T10_S9_lSB_S9_lSA_T11_S9_li.numbered_sgpr, 27
	.set _ZL29rocblas_internal_gemmt_kernelIiLi16ELi32ELi8ELc84ELc67ELc85ELb0ELb1E19rocblas_complex_numIfEPKS1_PKS3_PKPS1_EviT_T9_T10_S9_lSB_S9_lSA_T11_S9_li.num_named_barrier, 0
	.set _ZL29rocblas_internal_gemmt_kernelIiLi16ELi32ELi8ELc84ELc67ELc85ELb0ELb1E19rocblas_complex_numIfEPKS1_PKS3_PKPS1_EviT_T9_T10_S9_lSB_S9_lSA_T11_S9_li.private_seg_size, 0
	.set _ZL29rocblas_internal_gemmt_kernelIiLi16ELi32ELi8ELc84ELc67ELc85ELb0ELb1E19rocblas_complex_numIfEPKS1_PKS3_PKPS1_EviT_T9_T10_S9_lSB_S9_lSA_T11_S9_li.uses_vcc, 1
	.set _ZL29rocblas_internal_gemmt_kernelIiLi16ELi32ELi8ELc84ELc67ELc85ELb0ELb1E19rocblas_complex_numIfEPKS1_PKS3_PKPS1_EviT_T9_T10_S9_lSB_S9_lSA_T11_S9_li.uses_flat_scratch, 0
	.set _ZL29rocblas_internal_gemmt_kernelIiLi16ELi32ELi8ELc84ELc67ELc85ELb0ELb1E19rocblas_complex_numIfEPKS1_PKS3_PKPS1_EviT_T9_T10_S9_lSB_S9_lSA_T11_S9_li.has_dyn_sized_stack, 0
	.set _ZL29rocblas_internal_gemmt_kernelIiLi16ELi32ELi8ELc84ELc67ELc85ELb0ELb1E19rocblas_complex_numIfEPKS1_PKS3_PKPS1_EviT_T9_T10_S9_lSB_S9_lSA_T11_S9_li.has_recursion, 0
	.set _ZL29rocblas_internal_gemmt_kernelIiLi16ELi32ELi8ELc84ELc67ELc85ELb0ELb1E19rocblas_complex_numIfEPKS1_PKS3_PKPS1_EviT_T9_T10_S9_lSB_S9_lSA_T11_S9_li.has_indirect_call, 0
	.section	.AMDGPU.csdata,"",@progbits
; Kernel info:
; codeLenInByte = 2556
; TotalNumSgprs: 29
; NumVgprs: 59
; ScratchSize: 0
; MemoryBound: 1
; FloatMode: 240
; IeeeMode: 1
; LDSByteSize: 4096 bytes/workgroup (compile time only)
; SGPRBlocks: 0
; VGPRBlocks: 7
; NumSGPRsForWavesPerEU: 29
; NumVGPRsForWavesPerEU: 59
; Occupancy: 16
; WaveLimiterHint : 1
; COMPUTE_PGM_RSRC2:SCRATCH_EN: 0
; COMPUTE_PGM_RSRC2:USER_SGPR: 6
; COMPUTE_PGM_RSRC2:TRAP_HANDLER: 0
; COMPUTE_PGM_RSRC2:TGID_X_EN: 1
; COMPUTE_PGM_RSRC2:TGID_Y_EN: 1
; COMPUTE_PGM_RSRC2:TGID_Z_EN: 1
; COMPUTE_PGM_RSRC2:TIDIG_COMP_CNT: 1
	.section	.text._ZL29rocblas_internal_gemmt_kernelIiLi16ELi32ELi8ELc67ELc78ELc85ELb1ELb0E19rocblas_complex_numIfEPKS1_PKS3_PKPS1_EviT_T9_T10_S9_lSB_S9_lSA_T11_S9_li,"axG",@progbits,_ZL29rocblas_internal_gemmt_kernelIiLi16ELi32ELi8ELc67ELc78ELc85ELb1ELb0E19rocblas_complex_numIfEPKS1_PKS3_PKPS1_EviT_T9_T10_S9_lSB_S9_lSA_T11_S9_li,comdat
	.globl	_ZL29rocblas_internal_gemmt_kernelIiLi16ELi32ELi8ELc67ELc78ELc85ELb1ELb0E19rocblas_complex_numIfEPKS1_PKS3_PKPS1_EviT_T9_T10_S9_lSB_S9_lSA_T11_S9_li ; -- Begin function _ZL29rocblas_internal_gemmt_kernelIiLi16ELi32ELi8ELc67ELc78ELc85ELb1ELb0E19rocblas_complex_numIfEPKS1_PKS3_PKPS1_EviT_T9_T10_S9_lSB_S9_lSA_T11_S9_li
	.p2align	8
	.type	_ZL29rocblas_internal_gemmt_kernelIiLi16ELi32ELi8ELc67ELc78ELc85ELb1ELb0E19rocblas_complex_numIfEPKS1_PKS3_PKPS1_EviT_T9_T10_S9_lSB_S9_lSA_T11_S9_li,@function
_ZL29rocblas_internal_gemmt_kernelIiLi16ELi32ELi8ELc67ELc78ELc85ELb1ELb0E19rocblas_complex_numIfEPKS1_PKS3_PKPS1_EviT_T9_T10_S9_lSB_S9_lSA_T11_S9_li: ; @_ZL29rocblas_internal_gemmt_kernelIiLi16ELi32ELi8ELc67ELc78ELc85ELb1ELb0E19rocblas_complex_numIfEPKS1_PKS3_PKPS1_EviT_T9_T10_S9_lSB_S9_lSA_T11_S9_li
; %bb.0:
	s_clause 0x1
	s_load_dwordx4 s[12:15], s[4:5], 0x38
	s_load_dwordx4 s[0:3], s[4:5], 0x8
	s_waitcnt lgkmcnt(0)
	s_load_dwordx2 s[10:11], s[14:15], 0x0
	s_load_dwordx2 s[20:21], s[4:5], 0x0
	;; [unrolled: 1-line block ×3, first 2 shown]
	s_waitcnt lgkmcnt(0)
	s_and_b32 s0, s11, 0x7fffffff
	v_cmp_eq_f32_e64 s1, s10, 1.0
	s_cmp_eq_u32 s0, 0
	s_mov_b32 s0, 0
	s_cselect_b32 s26, -1, 0
	s_and_b32 s1, s1, s26
	s_andn2_b32 vcc_lo, exec_lo, s1
	s_mov_b32 s1, -1
	s_cbranch_vccnz .LBB366_4
; %bb.1:
	s_cmp_lg_u32 s21, 0
	s_cbranch_scc0 .LBB366_3
; %bb.2:
	v_cmp_neq_f32_e64 s0, s14, 0
	v_cmp_neq_f32_e64 s1, s15, 0
	s_or_b32 s0, s0, s1
.LBB366_3:
	s_mov_b32 s1, s0
.LBB366_4:
	s_and_b32 vcc_lo, exec_lo, s1
	s_cbranch_vccz .LBB366_32
; %bb.5:
	s_load_dwordx2 s[0:1], s[4:5], 0x48
	s_mov_b32 s9, 0
	v_cmp_eq_f32_e64 s16, s14, 0
	s_lshl_b64 s[24:25], s[8:9], 3
	v_cmp_eq_f32_e64 s8, s15, 0
	v_mov_b32_e32 v20, 0
	v_mov_b32_e32 v21, 0
	;; [unrolled: 1-line block ×8, first 2 shown]
	s_waitcnt lgkmcnt(0)
	s_add_u32 s0, s0, s24
	s_addc_u32 s1, s1, s25
	s_lshl_b32 s6, s6, 5
	s_load_dwordx2 s[22:23], s[0:1], 0x0
	s_lshl_b32 s7, s7, 5
	s_and_b32 s0, s16, s8
	s_cmp_lt_i32 s21, 1
	s_cselect_b32 s1, -1, 0
	s_or_b32 s0, s0, s1
	s_and_b32 vcc_lo, exec_lo, s0
	s_cbranch_vccnz .LBB366_16
; %bb.6:
	s_clause 0x2
	s_load_dword s1, s[4:5], 0x18
	s_load_dwordx4 s[16:19], s[4:5], 0x20
	s_load_dword s8, s[4:5], 0x30
	v_lshl_add_u32 v2, v1, 4, v0
	v_and_b32_e32 v8, 7, v0
	v_lshlrev_b32_e32 v9, 3, v0
	v_lshl_add_u32 v10, v1, 6, 0x800
	v_mov_b32_e32 v15, 0
	v_and_b32_e32 v3, 31, v2
	v_lshrrev_b32_e32 v4, 3, v2
	v_lshlrev_b32_e32 v6, 3, v8
	v_lshrrev_b32_e32 v11, 5, v2
	v_mov_b32_e32 v17, 0
	v_or_b32_e32 v2, s6, v3
	v_lshlrev_b32_e32 v5, 3, v3
	v_add_nc_u32_e32 v3, s6, v3
	v_add_nc_u32_e32 v7, s7, v4
	v_lshl_or_b32 v4, v4, 6, v6
	v_cmp_gt_i32_e32 vcc_lo, s20, v2
	v_lshl_or_b32 v12, v11, 8, v5
	s_waitcnt lgkmcnt(0)
	v_mad_i64_i32 v[2:3], null, s1, v3, 0
	s_add_u32 s18, s18, s24
	s_addc_u32 s19, s19, s25
	s_add_u32 s2, s2, s24
	v_add_nc_u32_e32 v13, 0x800, v4
	v_mad_i64_i32 v[4:5], null, s8, v7, 0
	s_addc_u32 s3, s3, s25
	s_load_dwordx2 s[18:19], s[18:19], 0x0
	s_load_dwordx2 s[2:3], s[2:3], 0x0
	v_lshlrev_b64 v[2:3], 3, v[2:3]
	s_lshl_b64 s[16:17], s[16:17], 3
	v_cmp_gt_i32_e64 s0, s20, v7
	v_lshlrev_b64 v[4:5], 3, v[4:5]
	v_lshlrev_b32_e32 v14, 3, v11
	s_lshl_b64 s[12:13], s[12:13], 3
	v_add_co_u32 v7, s1, v2, s16
	v_add_co_ci_u32_e64 v3, null, s17, v3, s1
	v_add_co_u32 v4, s1, v4, s12
	v_add_co_ci_u32_e64 v5, null, s13, v5, s1
	;; [unrolled: 2-line block ×4, first 2 shown]
	s_waitcnt lgkmcnt(0)
	v_add_co_u32 v4, s1, s2, v7
	v_add_co_ci_u32_e64 v5, null, s3, v3, s1
	v_add_co_u32 v6, s1, s18, v6
	v_mov_b32_e32 v2, 0
	v_add_co_ci_u32_e64 v7, null, s19, v14, s1
	v_mov_b32_e32 v14, 0
	v_mov_b32_e32 v16, 0
	;; [unrolled: 1-line block ×6, first 2 shown]
	s_xor_b32 s1, vcc_lo, -1
	s_xor_b32 s0, s0, -1
	s_branch .LBB366_8
.LBB366_7:                              ;   in Loop: Header=BB366_8 Depth=1
	s_or_b32 exec_lo, exec_lo, s2
	s_waitcnt lgkmcnt(0)
	s_barrier
	buffer_gl0_inv
	ds_read_b128 v[22:25], v10
	ds_read2_b64 v[26:29], v9 offset1:16
	ds_read_b128 v[30:33], v10 offset:1024
	ds_read_b128 v[34:37], v10 offset:16
	;; [unrolled: 1-line block ×4, first 2 shown]
	ds_read2_b64 v[46:49], v9 offset0:32 offset1:48
	ds_read_b128 v[50:53], v10 offset:1040
	v_add_co_u32 v4, vcc_lo, v4, 64
	v_add_co_ci_u32_e64 v5, null, 0, v5, vcc_lo
	v_add_co_u32 v6, vcc_lo, v6, 64
	v_add_co_ci_u32_e64 v7, null, 0, v7, vcc_lo
	s_add_i32 s9, s9, 8
	s_cmp_lt_i32 s9, s21
	s_waitcnt lgkmcnt(6)
	v_mul_f32_e32 v3, v23, v27
	v_mul_f32_e32 v54, v22, v27
	;; [unrolled: 1-line block ×4, first 2 shown]
	s_waitcnt lgkmcnt(5)
	v_mul_f32_e32 v57, v31, v27
	v_mul_f32_e32 v27, v30, v27
	;; [unrolled: 1-line block ×3, first 2 shown]
	v_fma_f32 v3, v22, v26, -v3
	v_fmac_f32_e32 v54, v23, v26
	v_fma_f32 v22, v22, v28, -v55
	v_fmac_f32_e32 v56, v23, v28
	;; [unrolled: 2-line block ×3, first 2 shown]
	v_mul_f32_e32 v29, v30, v29
	v_fma_f32 v26, v30, v28, -v58
	v_add_f32_e32 v3, v20, v3
	v_add_f32_e32 v20, v21, v54
	;; [unrolled: 1-line block ×6, first 2 shown]
	s_waitcnt lgkmcnt(1)
	v_mul_f32_e32 v30, v25, v47
	ds_read2_b64 v[16:19], v9 offset0:64 offset1:80
	v_fmac_f32_e32 v29, v31, v28
	v_add_f32_e32 v14, v14, v26
	v_mul_f32_e32 v26, v24, v47
	v_fma_f32 v28, v24, v46, -v30
	v_mul_f32_e32 v30, v25, v49
	v_add_f32_e32 v15, v15, v29
	v_mul_f32_e32 v29, v24, v49
	v_fmac_f32_e32 v26, v25, v46
	v_add_f32_e32 v3, v3, v28
	v_fma_f32 v24, v24, v48, -v30
	v_mul_f32_e32 v28, v33, v47
	v_fmac_f32_e32 v29, v25, v48
	v_add_f32_e32 v26, v20, v26
	v_mul_f32_e32 v20, v32, v47
	v_add_f32_e32 v24, v21, v24
	v_fma_f32 v21, v32, v46, -v28
	v_mul_f32_e32 v25, v33, v49
	v_add_f32_e32 v28, v22, v29
	v_fmac_f32_e32 v20, v33, v46
	v_mul_f32_e32 v29, v32, v49
	v_add_f32_e32 v30, v23, v21
	v_fma_f32 v21, v32, v48, -v25
	s_waitcnt lgkmcnt(0)
	v_mul_f32_e32 v22, v35, v17
	v_add_f32_e32 v25, v27, v20
	v_fmac_f32_e32 v29, v33, v48
	v_mul_f32_e32 v27, v34, v17
	v_add_f32_e32 v14, v14, v21
	v_fma_f32 v31, v34, v16, -v22
	v_mul_f32_e32 v32, v35, v19
	ds_read2_b64 v[20:23], v9 offset0:96 offset1:112
	v_fmac_f32_e32 v27, v35, v16
	v_add_f32_e32 v29, v15, v29
	v_add_f32_e32 v3, v3, v31
	v_mul_f32_e32 v15, v34, v19
	v_fma_f32 v31, v34, v18, -v32
	v_add_f32_e32 v26, v26, v27
	v_mul_f32_e32 v27, v51, v17
	v_mul_f32_e32 v17, v50, v17
	v_fmac_f32_e32 v15, v35, v18
	v_add_f32_e32 v24, v24, v31
	v_mul_f32_e32 v31, v51, v19
	v_mul_f32_e32 v19, v50, v19
	v_fmac_f32_e32 v17, v51, v16
	v_add_f32_e32 v28, v28, v15
	v_fma_f32 v27, v50, v16, -v27
	v_fma_f32 v15, v50, v18, -v31
	v_fmac_f32_e32 v19, v51, v18
	v_add_f32_e32 v31, v25, v17
	s_waitcnt lgkmcnt(0)
	v_mul_f32_e32 v18, v37, v21
	v_add_f32_e32 v32, v14, v15
	ds_read2_b64 v[14:17], v9 offset0:128 offset1:144
	v_add_f32_e32 v30, v30, v27
	v_mul_f32_e32 v25, v36, v21
	v_fma_f32 v18, v36, v20, -v18
	v_mul_f32_e32 v27, v37, v23
	v_add_f32_e32 v29, v29, v19
	v_mul_f32_e32 v19, v36, v23
	v_fmac_f32_e32 v25, v37, v20
	v_add_f32_e32 v3, v3, v18
	v_mul_f32_e32 v18, v53, v21
	v_fma_f32 v27, v36, v22, -v27
	v_fmac_f32_e32 v19, v37, v22
	v_mul_f32_e32 v21, v52, v21
	v_mul_f32_e32 v35, v53, v23
	v_fma_f32 v18, v52, v20, -v18
	v_add_f32_e32 v33, v26, v25
	v_add_f32_e32 v34, v24, v27
	ds_read_b128 v[24:27], v10 offset:1056
	v_add_f32_e32 v36, v28, v19
	v_fmac_f32_e32 v21, v53, v20
	v_mul_f32_e32 v23, v52, v23
	v_fma_f32 v19, v52, v22, -v35
	v_add_f32_e32 v35, v30, v18
	s_waitcnt lgkmcnt(1)
	v_mul_f32_e32 v18, v39, v15
	v_add_f32_e32 v37, v31, v21
	v_fmac_f32_e32 v23, v53, v22
	v_add_f32_e32 v22, v32, v19
	v_mul_f32_e32 v32, v38, v15
	v_fma_f32 v28, v38, v14, -v18
	ds_read2_b64 v[18:21], v9 offset0:160 offset1:176
	v_mul_f32_e32 v30, v39, v17
	v_mul_f32_e32 v46, v38, v17
	v_fmac_f32_e32 v32, v39, v14
	v_add_f32_e32 v23, v29, v23
	v_add_f32_e32 v3, v3, v28
	v_fma_f32 v38, v38, v16, -v30
	ds_read_b128 v[28:31], v10 offset:1072
	s_waitcnt lgkmcnt(2)
	v_mul_f32_e32 v47, v25, v15
	v_add_f32_e32 v32, v33, v32
	v_mul_f32_e32 v15, v24, v15
	v_add_f32_e32 v33, v34, v38
	v_mul_f32_e32 v38, v25, v17
	v_fmac_f32_e32 v46, v39, v16
	v_fma_f32 v34, v24, v14, -v47
	v_fmac_f32_e32 v15, v25, v14
	v_mul_f32_e32 v39, v24, v17
	v_fma_f32 v14, v24, v16, -v38
	v_add_f32_e32 v36, v36, v46
	v_add_f32_e32 v34, v35, v34
	s_waitcnt lgkmcnt(1)
	v_mul_f32_e32 v17, v41, v19
	v_add_f32_e32 v24, v37, v15
	v_fmac_f32_e32 v39, v25, v16
	v_mul_f32_e32 v25, v40, v19
	v_add_f32_e32 v22, v22, v14
	v_fma_f32 v35, v40, v18, -v17
	ds_read2_b64 v[14:17], v9 offset0:192 offset1:208
	v_mul_f32_e32 v37, v41, v21
	v_fmac_f32_e32 v25, v41, v18
	v_add_f32_e32 v38, v23, v39
	v_add_f32_e32 v3, v3, v35
	v_mul_f32_e32 v23, v40, v21
	v_fma_f32 v35, v40, v20, -v37
	v_add_f32_e32 v32, v32, v25
	v_mul_f32_e32 v25, v27, v19
	v_mul_f32_e32 v19, v26, v19
	v_fmac_f32_e32 v23, v41, v20
	v_add_f32_e32 v33, v33, v35
	v_mul_f32_e32 v35, v27, v21
	v_fma_f32 v25, v26, v18, -v25
	v_fmac_f32_e32 v19, v27, v18
	v_add_f32_e32 v18, v36, v23
	v_mul_f32_e32 v21, v26, v21
	v_fma_f32 v23, v26, v20, -v35
	v_add_f32_e32 v26, v34, v25
	v_add_f32_e32 v19, v24, v19
	s_waitcnt lgkmcnt(0)
	v_mul_f32_e32 v34, v43, v15
	v_fmac_f32_e32 v21, v27, v20
	v_add_f32_e32 v20, v22, v23
	ds_read2_b64 v[22:25], v9 offset0:224 offset1:240
	v_mul_f32_e32 v27, v42, v15
	v_fma_f32 v34, v42, v14, -v34
	v_mul_f32_e32 v35, v43, v17
	v_mul_f32_e32 v36, v42, v17
	v_add_f32_e32 v21, v38, v21
	v_fmac_f32_e32 v27, v43, v14
	v_add_f32_e32 v3, v3, v34
	v_mul_f32_e32 v34, v29, v15
	v_fma_f32 v35, v42, v16, -v35
	v_fmac_f32_e32 v36, v43, v16
	v_add_f32_e32 v27, v32, v27
	v_mul_f32_e32 v15, v28, v15
	v_fma_f32 v32, v28, v14, -v34
	v_mul_f32_e32 v34, v29, v17
	v_add_f32_e32 v33, v33, v35
	v_add_f32_e32 v35, v18, v36
	v_fmac_f32_e32 v15, v29, v14
	v_add_f32_e32 v14, v26, v32
	v_mul_f32_e32 v17, v28, v17
	v_fma_f32 v18, v28, v16, -v34
	s_waitcnt lgkmcnt(0)
	v_mul_f32_e32 v26, v45, v23
	v_mul_f32_e32 v28, v44, v23
	v_add_f32_e32 v15, v19, v15
	v_fmac_f32_e32 v17, v29, v16
	v_add_f32_e32 v29, v20, v18
	v_fma_f32 v16, v44, v22, -v26
	v_mul_f32_e32 v18, v45, v25
	v_mul_f32_e32 v19, v44, v25
	v_add_f32_e32 v26, v21, v17
	v_mul_f32_e32 v17, v30, v23
	v_add_f32_e32 v20, v3, v16
	v_fma_f32 v3, v44, v24, -v18
	v_mul_f32_e32 v16, v31, v23
	v_mul_f32_e32 v23, v31, v25
	;; [unrolled: 1-line block ×3, first 2 shown]
	v_fmac_f32_e32 v28, v45, v22
	v_fmac_f32_e32 v19, v45, v24
	v_add_f32_e32 v18, v33, v3
	v_fma_f32 v3, v30, v22, -v16
	v_fmac_f32_e32 v17, v31, v22
	v_fma_f32 v22, v30, v24, -v23
	v_fmac_f32_e32 v25, v31, v24
	v_add_f32_e32 v21, v27, v28
	v_add_f32_e32 v19, v35, v19
	;; [unrolled: 1-line block ×6, first 2 shown]
	s_barrier
	buffer_gl0_inv
	s_cbranch_scc0 .LBB366_16
.LBB366_8:                              ; =>This Inner Loop Header: Depth=1
	v_add_nc_u32_e32 v3, s9, v11
	v_cmp_le_i32_e32 vcc_lo, s21, v3
	s_or_b32 s2, s1, vcc_lo
	s_and_saveexec_b32 s3, s2
	s_xor_b32 s2, exec_lo, s3
; %bb.9:                                ;   in Loop: Header=BB366_8 Depth=1
	ds_write_b32 v12, v2
; %bb.10:                               ;   in Loop: Header=BB366_8 Depth=1
	s_or_saveexec_b32 s2, s2
	v_mov_b32_e32 v3, 0
	s_xor_b32 exec_lo, exec_lo, s2
	s_cbranch_execz .LBB366_12
; %bb.11:                               ;   in Loop: Header=BB366_8 Depth=1
	flat_load_dwordx2 v[22:23], v[4:5]
	s_waitcnt vmcnt(0) lgkmcnt(0)
	v_xor_b32_e32 v3, 0x80000000, v23
	ds_write_b32 v12, v22
.LBB366_12:                             ;   in Loop: Header=BB366_8 Depth=1
	s_or_b32 exec_lo, exec_lo, s2
	v_add_nc_u32_e32 v22, s9, v8
	ds_write_b32 v12, v3 offset:4
	v_cmp_le_i32_e32 vcc_lo, s21, v22
	s_or_b32 s2, vcc_lo, s0
	s_and_saveexec_b32 s3, s2
	s_xor_b32 s2, exec_lo, s3
; %bb.13:                               ;   in Loop: Header=BB366_8 Depth=1
	v_mov_b32_e32 v3, v2
	ds_write_b64 v13, v[2:3]
; %bb.14:                               ;   in Loop: Header=BB366_8 Depth=1
	s_andn2_saveexec_b32 s2, s2
	s_cbranch_execz .LBB366_7
; %bb.15:                               ;   in Loop: Header=BB366_8 Depth=1
	flat_load_dwordx2 v[22:23], v[6:7]
	s_waitcnt vmcnt(0) lgkmcnt(0)
	ds_write_b64 v13, v[22:23]
	s_branch .LBB366_7
.LBB366_16:
	s_clause 0x1
	s_load_dword s2, s[4:5], 0x50
	s_load_dwordx2 s[4:5], s[4:5], 0x58
	v_add_nc_u32_e32 v9, s7, v1
	v_add_nc_u32_e32 v0, s6, v0
	v_cmp_neq_f32_e64 s6, s10, 0
	v_cmp_gt_i32_e64 s0, s20, v9
	v_cmp_le_i32_e32 vcc_lo, v0, v9
	s_waitcnt lgkmcnt(0)
	v_mad_i64_i32 v[1:2], null, v9, s2, 0
	s_lshl_b64 s[4:5], s[4:5], 3
	s_add_u32 s3, s22, s4
	s_addc_u32 s4, s23, s5
	s_xor_b32 s5, s26, -1
	s_or_b32 s5, s6, s5
	v_lshlrev_b64 v[2:3], 3, v[1:2]
	v_ashrrev_i32_e32 v1, 31, v0
	v_cndmask_b32_e64 v8, 0, 1, s5
	s_and_b32 s6, s0, vcc_lo
	v_add_co_u32 v6, s1, s3, v2
	v_add_co_ci_u32_e64 v7, null, s4, v3, s1
	s_and_saveexec_b32 s1, s6
	s_cbranch_execz .LBB366_20
; %bb.17:
	v_lshlrev_b64 v[4:5], 3, v[0:1]
	v_mul_f32_e32 v2, s15, v21
	v_mul_f32_e32 v3, s14, v21
	v_fma_f32 v2, v20, s14, -v2
	v_add_co_u32 v4, vcc_lo, v6, v4
	v_fmac_f32_e32 v3, s15, v20
	v_add_co_ci_u32_e64 v5, null, v7, v5, vcc_lo
	s_andn2_b32 vcc_lo, exec_lo, s5
	s_cbranch_vccnz .LBB366_19
; %bb.18:
	flat_load_dwordx2 v[10:11], v[4:5]
	s_waitcnt vmcnt(0) lgkmcnt(0)
	v_mul_f32_e32 v12, s11, v11
	v_mul_f32_e32 v11, s10, v11
	v_fma_f32 v12, v10, s10, -v12
	v_fmac_f32_e32 v11, s11, v10
	v_add_f32_e32 v2, v2, v12
	v_add_f32_e32 v3, v3, v11
.LBB366_19:
	flat_store_dwordx2 v[4:5], v[2:3]
.LBB366_20:
	s_or_b32 exec_lo, exec_lo, s1
	v_add_nc_u32_e32 v2, 16, v0
	v_cmp_le_i32_e32 vcc_lo, v2, v9
	v_ashrrev_i32_e32 v3, 31, v2
	s_and_b32 s0, s0, vcc_lo
	s_and_saveexec_b32 s1, s0
	s_cbranch_execz .LBB366_24
; %bb.21:
	v_lshlrev_b64 v[10:11], 3, v[2:3]
	v_mul_f32_e32 v4, s15, v19
	v_mul_f32_e32 v5, s14, v19
	v_cmp_ne_u32_e32 vcc_lo, 1, v8
	v_fma_f32 v4, v18, s14, -v4
	v_add_co_u32 v6, s0, v6, v10
	v_fmac_f32_e32 v5, s15, v18
	v_add_co_ci_u32_e64 v7, null, v7, v11, s0
	s_cbranch_vccnz .LBB366_23
; %bb.22:
	flat_load_dwordx2 v[10:11], v[6:7]
	s_waitcnt vmcnt(0) lgkmcnt(0)
	v_mul_f32_e32 v12, s11, v11
	v_mul_f32_e32 v11, s10, v11
	v_fma_f32 v12, v10, s10, -v12
	v_fmac_f32_e32 v11, s11, v10
	v_add_f32_e32 v4, v4, v12
	v_add_f32_e32 v5, v5, v11
.LBB366_23:
	flat_store_dwordx2 v[6:7], v[4:5]
.LBB366_24:
	s_or_b32 exec_lo, exec_lo, s1
	v_add_nc_u32_e32 v9, 16, v9
	v_mad_i64_i32 v[4:5], null, v9, s2, 0
	v_cmp_gt_i32_e64 s0, s20, v9
	v_cmp_le_i32_e32 vcc_lo, v0, v9
	v_lshlrev_b64 v[4:5], 3, v[4:5]
	v_add_co_u32 v6, s1, s3, v4
	v_add_co_ci_u32_e64 v7, null, s4, v5, s1
	s_and_b32 s1, s0, vcc_lo
	s_and_saveexec_b32 s2, s1
	s_cbranch_execz .LBB366_28
; %bb.25:
	v_lshlrev_b64 v[0:1], 3, v[0:1]
	v_mul_f32_e32 v4, s15, v17
	v_mul_f32_e32 v5, s14, v17
	v_cmp_ne_u32_e32 vcc_lo, 1, v8
	v_fma_f32 v4, v16, s14, -v4
	v_add_co_u32 v0, s1, v6, v0
	v_fmac_f32_e32 v5, s15, v16
	v_add_co_ci_u32_e64 v1, null, v7, v1, s1
	s_cbranch_vccnz .LBB366_27
; %bb.26:
	flat_load_dwordx2 v[10:11], v[0:1]
	s_waitcnt vmcnt(0) lgkmcnt(0)
	v_mul_f32_e32 v12, s11, v11
	v_mul_f32_e32 v11, s10, v11
	v_fma_f32 v12, v10, s10, -v12
	v_fmac_f32_e32 v11, s11, v10
	v_add_f32_e32 v4, v4, v12
	v_add_f32_e32 v5, v5, v11
.LBB366_27:
	flat_store_dwordx2 v[0:1], v[4:5]
.LBB366_28:
	s_or_b32 exec_lo, exec_lo, s2
	v_cmp_le_i32_e32 vcc_lo, v2, v9
	s_and_b32 s0, s0, vcc_lo
	s_and_saveexec_b32 s1, s0
	s_cbranch_execz .LBB366_32
; %bb.29:
	v_lshlrev_b64 v[2:3], 3, v[2:3]
	v_mul_f32_e32 v0, s15, v15
	v_mul_f32_e32 v1, s14, v15
	v_cmp_ne_u32_e32 vcc_lo, 1, v8
	v_fma_f32 v0, v14, s14, -v0
	v_add_co_u32 v2, s0, v6, v2
	v_fmac_f32_e32 v1, s15, v14
	v_add_co_ci_u32_e64 v3, null, v7, v3, s0
	s_cbranch_vccnz .LBB366_31
; %bb.30:
	flat_load_dwordx2 v[4:5], v[2:3]
	s_waitcnt vmcnt(0) lgkmcnt(0)
	v_mul_f32_e32 v6, s11, v5
	v_mul_f32_e32 v5, s10, v5
	v_fma_f32 v6, v4, s10, -v6
	v_fmac_f32_e32 v5, s11, v4
	v_add_f32_e32 v0, v0, v6
	v_add_f32_e32 v1, v1, v5
.LBB366_31:
	flat_store_dwordx2 v[2:3], v[0:1]
.LBB366_32:
	s_endpgm
	.section	.rodata,"a",@progbits
	.p2align	6, 0x0
	.amdhsa_kernel _ZL29rocblas_internal_gemmt_kernelIiLi16ELi32ELi8ELc67ELc78ELc85ELb1ELb0E19rocblas_complex_numIfEPKS1_PKS3_PKPS1_EviT_T9_T10_S9_lSB_S9_lSA_T11_S9_li
		.amdhsa_group_segment_fixed_size 4096
		.amdhsa_private_segment_fixed_size 0
		.amdhsa_kernarg_size 100
		.amdhsa_user_sgpr_count 6
		.amdhsa_user_sgpr_private_segment_buffer 1
		.amdhsa_user_sgpr_dispatch_ptr 0
		.amdhsa_user_sgpr_queue_ptr 0
		.amdhsa_user_sgpr_kernarg_segment_ptr 1
		.amdhsa_user_sgpr_dispatch_id 0
		.amdhsa_user_sgpr_flat_scratch_init 0
		.amdhsa_user_sgpr_private_segment_size 0
		.amdhsa_wavefront_size32 1
		.amdhsa_uses_dynamic_stack 0
		.amdhsa_system_sgpr_private_segment_wavefront_offset 0
		.amdhsa_system_sgpr_workgroup_id_x 1
		.amdhsa_system_sgpr_workgroup_id_y 1
		.amdhsa_system_sgpr_workgroup_id_z 1
		.amdhsa_system_sgpr_workgroup_info 0
		.amdhsa_system_vgpr_workitem_id 1
		.amdhsa_next_free_vgpr 59
		.amdhsa_next_free_sgpr 27
		.amdhsa_reserve_vcc 1
		.amdhsa_reserve_flat_scratch 0
		.amdhsa_float_round_mode_32 0
		.amdhsa_float_round_mode_16_64 0
		.amdhsa_float_denorm_mode_32 3
		.amdhsa_float_denorm_mode_16_64 3
		.amdhsa_dx10_clamp 1
		.amdhsa_ieee_mode 1
		.amdhsa_fp16_overflow 0
		.amdhsa_workgroup_processor_mode 1
		.amdhsa_memory_ordered 1
		.amdhsa_forward_progress 1
		.amdhsa_shared_vgpr_count 0
		.amdhsa_exception_fp_ieee_invalid_op 0
		.amdhsa_exception_fp_denorm_src 0
		.amdhsa_exception_fp_ieee_div_zero 0
		.amdhsa_exception_fp_ieee_overflow 0
		.amdhsa_exception_fp_ieee_underflow 0
		.amdhsa_exception_fp_ieee_inexact 0
		.amdhsa_exception_int_div_zero 0
	.end_amdhsa_kernel
	.section	.text._ZL29rocblas_internal_gemmt_kernelIiLi16ELi32ELi8ELc67ELc78ELc85ELb1ELb0E19rocblas_complex_numIfEPKS1_PKS3_PKPS1_EviT_T9_T10_S9_lSB_S9_lSA_T11_S9_li,"axG",@progbits,_ZL29rocblas_internal_gemmt_kernelIiLi16ELi32ELi8ELc67ELc78ELc85ELb1ELb0E19rocblas_complex_numIfEPKS1_PKS3_PKPS1_EviT_T9_T10_S9_lSB_S9_lSA_T11_S9_li,comdat
.Lfunc_end366:
	.size	_ZL29rocblas_internal_gemmt_kernelIiLi16ELi32ELi8ELc67ELc78ELc85ELb1ELb0E19rocblas_complex_numIfEPKS1_PKS3_PKPS1_EviT_T9_T10_S9_lSB_S9_lSA_T11_S9_li, .Lfunc_end366-_ZL29rocblas_internal_gemmt_kernelIiLi16ELi32ELi8ELc67ELc78ELc85ELb1ELb0E19rocblas_complex_numIfEPKS1_PKS3_PKPS1_EviT_T9_T10_S9_lSB_S9_lSA_T11_S9_li
                                        ; -- End function
	.set _ZL29rocblas_internal_gemmt_kernelIiLi16ELi32ELi8ELc67ELc78ELc85ELb1ELb0E19rocblas_complex_numIfEPKS1_PKS3_PKPS1_EviT_T9_T10_S9_lSB_S9_lSA_T11_S9_li.num_vgpr, 59
	.set _ZL29rocblas_internal_gemmt_kernelIiLi16ELi32ELi8ELc67ELc78ELc85ELb1ELb0E19rocblas_complex_numIfEPKS1_PKS3_PKPS1_EviT_T9_T10_S9_lSB_S9_lSA_T11_S9_li.num_agpr, 0
	.set _ZL29rocblas_internal_gemmt_kernelIiLi16ELi32ELi8ELc67ELc78ELc85ELb1ELb0E19rocblas_complex_numIfEPKS1_PKS3_PKPS1_EviT_T9_T10_S9_lSB_S9_lSA_T11_S9_li.numbered_sgpr, 27
	.set _ZL29rocblas_internal_gemmt_kernelIiLi16ELi32ELi8ELc67ELc78ELc85ELb1ELb0E19rocblas_complex_numIfEPKS1_PKS3_PKPS1_EviT_T9_T10_S9_lSB_S9_lSA_T11_S9_li.num_named_barrier, 0
	.set _ZL29rocblas_internal_gemmt_kernelIiLi16ELi32ELi8ELc67ELc78ELc85ELb1ELb0E19rocblas_complex_numIfEPKS1_PKS3_PKPS1_EviT_T9_T10_S9_lSB_S9_lSA_T11_S9_li.private_seg_size, 0
	.set _ZL29rocblas_internal_gemmt_kernelIiLi16ELi32ELi8ELc67ELc78ELc85ELb1ELb0E19rocblas_complex_numIfEPKS1_PKS3_PKPS1_EviT_T9_T10_S9_lSB_S9_lSA_T11_S9_li.uses_vcc, 1
	.set _ZL29rocblas_internal_gemmt_kernelIiLi16ELi32ELi8ELc67ELc78ELc85ELb1ELb0E19rocblas_complex_numIfEPKS1_PKS3_PKPS1_EviT_T9_T10_S9_lSB_S9_lSA_T11_S9_li.uses_flat_scratch, 0
	.set _ZL29rocblas_internal_gemmt_kernelIiLi16ELi32ELi8ELc67ELc78ELc85ELb1ELb0E19rocblas_complex_numIfEPKS1_PKS3_PKPS1_EviT_T9_T10_S9_lSB_S9_lSA_T11_S9_li.has_dyn_sized_stack, 0
	.set _ZL29rocblas_internal_gemmt_kernelIiLi16ELi32ELi8ELc67ELc78ELc85ELb1ELb0E19rocblas_complex_numIfEPKS1_PKS3_PKPS1_EviT_T9_T10_S9_lSB_S9_lSA_T11_S9_li.has_recursion, 0
	.set _ZL29rocblas_internal_gemmt_kernelIiLi16ELi32ELi8ELc67ELc78ELc85ELb1ELb0E19rocblas_complex_numIfEPKS1_PKS3_PKPS1_EviT_T9_T10_S9_lSB_S9_lSA_T11_S9_li.has_indirect_call, 0
	.section	.AMDGPU.csdata,"",@progbits
; Kernel info:
; codeLenInByte = 2536
; TotalNumSgprs: 29
; NumVgprs: 59
; ScratchSize: 0
; MemoryBound: 1
; FloatMode: 240
; IeeeMode: 1
; LDSByteSize: 4096 bytes/workgroup (compile time only)
; SGPRBlocks: 0
; VGPRBlocks: 7
; NumSGPRsForWavesPerEU: 29
; NumVGPRsForWavesPerEU: 59
; Occupancy: 16
; WaveLimiterHint : 1
; COMPUTE_PGM_RSRC2:SCRATCH_EN: 0
; COMPUTE_PGM_RSRC2:USER_SGPR: 6
; COMPUTE_PGM_RSRC2:TRAP_HANDLER: 0
; COMPUTE_PGM_RSRC2:TGID_X_EN: 1
; COMPUTE_PGM_RSRC2:TGID_Y_EN: 1
; COMPUTE_PGM_RSRC2:TGID_Z_EN: 1
; COMPUTE_PGM_RSRC2:TIDIG_COMP_CNT: 1
	.section	.text._ZL29rocblas_internal_gemmt_kernelIiLi16ELi32ELi8ELc67ELc84ELc85ELb1ELb0E19rocblas_complex_numIfEPKS1_PKS3_PKPS1_EviT_T9_T10_S9_lSB_S9_lSA_T11_S9_li,"axG",@progbits,_ZL29rocblas_internal_gemmt_kernelIiLi16ELi32ELi8ELc67ELc84ELc85ELb1ELb0E19rocblas_complex_numIfEPKS1_PKS3_PKPS1_EviT_T9_T10_S9_lSB_S9_lSA_T11_S9_li,comdat
	.globl	_ZL29rocblas_internal_gemmt_kernelIiLi16ELi32ELi8ELc67ELc84ELc85ELb1ELb0E19rocblas_complex_numIfEPKS1_PKS3_PKPS1_EviT_T9_T10_S9_lSB_S9_lSA_T11_S9_li ; -- Begin function _ZL29rocblas_internal_gemmt_kernelIiLi16ELi32ELi8ELc67ELc84ELc85ELb1ELb0E19rocblas_complex_numIfEPKS1_PKS3_PKPS1_EviT_T9_T10_S9_lSB_S9_lSA_T11_S9_li
	.p2align	8
	.type	_ZL29rocblas_internal_gemmt_kernelIiLi16ELi32ELi8ELc67ELc84ELc85ELb1ELb0E19rocblas_complex_numIfEPKS1_PKS3_PKPS1_EviT_T9_T10_S9_lSB_S9_lSA_T11_S9_li,@function
_ZL29rocblas_internal_gemmt_kernelIiLi16ELi32ELi8ELc67ELc84ELc85ELb1ELb0E19rocblas_complex_numIfEPKS1_PKS3_PKPS1_EviT_T9_T10_S9_lSB_S9_lSA_T11_S9_li: ; @_ZL29rocblas_internal_gemmt_kernelIiLi16ELi32ELi8ELc67ELc84ELc85ELb1ELb0E19rocblas_complex_numIfEPKS1_PKS3_PKPS1_EviT_T9_T10_S9_lSB_S9_lSA_T11_S9_li
; %bb.0:
	s_clause 0x1
	s_load_dwordx4 s[12:15], s[4:5], 0x38
	s_load_dwordx4 s[0:3], s[4:5], 0x8
	s_waitcnt lgkmcnt(0)
	s_load_dwordx2 s[10:11], s[14:15], 0x0
	s_load_dwordx2 s[20:21], s[4:5], 0x0
	s_load_dwordx2 s[14:15], s[0:1], 0x0
	s_waitcnt lgkmcnt(0)
	s_and_b32 s0, s11, 0x7fffffff
	v_cmp_eq_f32_e64 s1, s10, 1.0
	s_cmp_eq_u32 s0, 0
	s_mov_b32 s0, 0
	s_cselect_b32 s24, -1, 0
	s_and_b32 s1, s1, s24
	s_andn2_b32 vcc_lo, exec_lo, s1
	s_mov_b32 s1, -1
	s_cbranch_vccnz .LBB367_4
; %bb.1:
	s_cmp_lg_u32 s21, 0
	s_cbranch_scc0 .LBB367_3
; %bb.2:
	v_cmp_neq_f32_e64 s0, s14, 0
	v_cmp_neq_f32_e64 s1, s15, 0
	s_or_b32 s0, s0, s1
.LBB367_3:
	s_mov_b32 s1, s0
.LBB367_4:
	s_and_b32 vcc_lo, exec_lo, s1
	s_cbranch_vccz .LBB367_32
; %bb.5:
	s_load_dwordx2 s[16:17], s[4:5], 0x48
	s_mov_b32 s9, 0
	v_cmp_eq_f32_e64 s18, s14, 0
	s_lshl_b64 s[0:1], s[8:9], 3
	v_cmp_eq_f32_e64 s19, s15, 0
	v_mov_b32_e32 v20, 0
	v_mov_b32_e32 v21, 0
	;; [unrolled: 1-line block ×8, first 2 shown]
	s_waitcnt lgkmcnt(0)
	s_add_u32 s16, s16, s0
	s_addc_u32 s17, s17, s1
	s_lshl_b32 s8, s6, 5
	s_load_dwordx2 s[22:23], s[16:17], 0x0
	s_lshl_b32 s25, s7, 5
	s_and_b32 s6, s18, s19
	s_cmp_lt_i32 s21, 1
	s_cselect_b32 s7, -1, 0
	s_or_b32 s6, s6, s7
	s_and_b32 vcc_lo, exec_lo, s6
	s_cbranch_vccnz .LBB367_16
; %bb.6:
	s_clause 0x2
	s_load_dword s6, s[4:5], 0x30
	s_load_dword s26, s[4:5], 0x18
	s_load_dwordx4 s[16:19], s[4:5], 0x20
	v_lshl_add_u32 v2, v1, 4, v0
	v_and_b32_e32 v8, 7, v0
	v_lshlrev_b32_e32 v12, 3, v0
	v_lshl_add_u32 v13, v1, 6, 0x800
	v_mov_b32_e32 v17, 0
	v_and_b32_e32 v4, 31, v2
	v_lshrrev_b32_e32 v5, 3, v2
	v_lshlrev_b32_e32 v6, 3, v8
	v_lshrrev_b32_e32 v9, 5, v2
	v_mov_b32_e32 v16, 0
	v_or_b32_e32 v2, s8, v4
	v_lshlrev_b32_e32 v7, 3, v4
	v_add_nc_u32_e32 v4, s8, v4
	v_add_nc_u32_e32 v3, s25, v5
	v_lshl_or_b32 v11, v5, 6, v6
	v_cmp_gt_i32_e32 vcc_lo, s20, v2
	v_lshl_or_b32 v10, v9, 8, v7
	s_waitcnt lgkmcnt(0)
	s_ashr_i32 s7, s6, 31
	v_mad_i64_i32 v[5:6], null, s26, v4, 0
	s_add_u32 s18, s18, s0
	s_addc_u32 s19, s19, s1
	v_mad_i64_i32 v[14:15], null, s6, v8, 0
	s_add_u32 s0, s2, s0
	s_addc_u32 s1, s3, s1
	s_load_dwordx2 s[2:3], s[18:19], 0x0
	s_load_dwordx2 s[18:19], s[0:1], 0x0
	v_lshlrev_b64 v[5:6], 3, v[5:6]
	v_ashrrev_i32_e32 v4, 31, v3
	s_lshl_b64 s[16:17], s[16:17], 3
	v_lshlrev_b64 v[14:15], 3, v[14:15]
	v_lshlrev_b32_e32 v7, 3, v9
	s_lshl_b64 s[12:13], s[12:13], 3
	v_add_co_u32 v5, s1, v5, s16
	v_cmp_gt_i32_e64 s0, s20, v3
	v_lshlrev_b64 v[3:4], 3, v[3:4]
	v_add_co_ci_u32_e64 v6, null, s17, v6, s1
	v_add_co_u32 v14, s1, v14, s12
	v_add_co_ci_u32_e64 v15, null, s13, v15, s1
	v_add_co_u32 v5, s1, v5, v7
	;; [unrolled: 2-line block ×3, first 2 shown]
	v_add_co_ci_u32_e64 v7, null, v15, v4, s1
	s_waitcnt lgkmcnt(0)
	v_add_co_u32 v4, s1, s18, v5
	v_add_co_ci_u32_e64 v5, null, s19, v6, s1
	v_add_co_u32 v6, s1, s2, v3
	v_add_nc_u32_e32 v11, 0x800, v11
	v_mov_b32_e32 v2, 0
	v_add_co_ci_u32_e64 v7, null, s3, v7, s1
	v_mov_b32_e32 v15, 0
	v_mov_b32_e32 v14, 0
	;; [unrolled: 1-line block ×6, first 2 shown]
	s_lshl_b64 s[2:3], s[6:7], 6
	s_xor_b32 s1, vcc_lo, -1
	s_xor_b32 s0, s0, -1
	s_branch .LBB367_8
.LBB367_7:                              ;   in Loop: Header=BB367_8 Depth=1
	s_or_b32 exec_lo, exec_lo, s6
	s_waitcnt lgkmcnt(0)
	s_barrier
	buffer_gl0_inv
	ds_read_b128 v[22:25], v13
	ds_read2_b64 v[26:29], v12 offset1:16
	ds_read_b128 v[30:33], v13 offset:1024
	ds_read_b128 v[34:37], v13 offset:16
	;; [unrolled: 1-line block ×4, first 2 shown]
	ds_read2_b64 v[46:49], v12 offset0:32 offset1:48
	ds_read_b128 v[50:53], v13 offset:1040
	v_add_co_u32 v4, vcc_lo, v4, 64
	v_add_co_ci_u32_e64 v5, null, 0, v5, vcc_lo
	v_add_co_u32 v6, vcc_lo, v6, s2
	v_add_co_ci_u32_e64 v7, null, s3, v7, vcc_lo
	s_add_i32 s9, s9, 8
	s_cmp_lt_i32 s9, s21
	s_waitcnt lgkmcnt(6)
	v_mul_f32_e32 v3, v23, v27
	v_mul_f32_e32 v54, v22, v27
	;; [unrolled: 1-line block ×4, first 2 shown]
	s_waitcnt lgkmcnt(5)
	v_mul_f32_e32 v57, v31, v27
	v_mul_f32_e32 v27, v30, v27
	;; [unrolled: 1-line block ×3, first 2 shown]
	v_fma_f32 v3, v22, v26, -v3
	v_fmac_f32_e32 v54, v23, v26
	v_fma_f32 v22, v22, v28, -v55
	v_fmac_f32_e32 v56, v23, v28
	;; [unrolled: 2-line block ×3, first 2 shown]
	v_mul_f32_e32 v29, v30, v29
	v_fma_f32 v26, v30, v28, -v58
	v_add_f32_e32 v3, v20, v3
	v_add_f32_e32 v20, v21, v54
	v_add_f32_e32 v21, v18, v22
	v_add_f32_e32 v22, v19, v56
	v_add_f32_e32 v23, v16, v23
	v_add_f32_e32 v27, v17, v27
	s_waitcnt lgkmcnt(1)
	v_mul_f32_e32 v30, v25, v47
	ds_read2_b64 v[16:19], v12 offset0:64 offset1:80
	v_fmac_f32_e32 v29, v31, v28
	v_add_f32_e32 v14, v14, v26
	v_mul_f32_e32 v26, v24, v47
	v_fma_f32 v28, v24, v46, -v30
	v_mul_f32_e32 v30, v25, v49
	v_add_f32_e32 v15, v15, v29
	v_mul_f32_e32 v29, v24, v49
	v_fmac_f32_e32 v26, v25, v46
	v_add_f32_e32 v3, v3, v28
	v_fma_f32 v24, v24, v48, -v30
	v_mul_f32_e32 v28, v33, v47
	v_fmac_f32_e32 v29, v25, v48
	v_add_f32_e32 v26, v20, v26
	v_mul_f32_e32 v20, v32, v47
	v_add_f32_e32 v24, v21, v24
	v_fma_f32 v21, v32, v46, -v28
	v_mul_f32_e32 v25, v33, v49
	v_add_f32_e32 v28, v22, v29
	v_fmac_f32_e32 v20, v33, v46
	v_mul_f32_e32 v29, v32, v49
	v_add_f32_e32 v30, v23, v21
	v_fma_f32 v21, v32, v48, -v25
	s_waitcnt lgkmcnt(0)
	v_mul_f32_e32 v22, v35, v17
	v_add_f32_e32 v25, v27, v20
	v_fmac_f32_e32 v29, v33, v48
	v_mul_f32_e32 v27, v34, v17
	v_add_f32_e32 v14, v14, v21
	v_fma_f32 v31, v34, v16, -v22
	v_mul_f32_e32 v32, v35, v19
	ds_read2_b64 v[20:23], v12 offset0:96 offset1:112
	v_fmac_f32_e32 v27, v35, v16
	v_add_f32_e32 v29, v15, v29
	v_add_f32_e32 v3, v3, v31
	v_mul_f32_e32 v15, v34, v19
	v_fma_f32 v31, v34, v18, -v32
	v_add_f32_e32 v26, v26, v27
	v_mul_f32_e32 v27, v51, v17
	v_mul_f32_e32 v17, v50, v17
	v_fmac_f32_e32 v15, v35, v18
	v_add_f32_e32 v24, v24, v31
	v_mul_f32_e32 v31, v51, v19
	v_mul_f32_e32 v19, v50, v19
	v_fmac_f32_e32 v17, v51, v16
	v_add_f32_e32 v28, v28, v15
	v_fma_f32 v27, v50, v16, -v27
	v_fma_f32 v15, v50, v18, -v31
	v_fmac_f32_e32 v19, v51, v18
	v_add_f32_e32 v31, v25, v17
	s_waitcnt lgkmcnt(0)
	v_mul_f32_e32 v18, v37, v21
	v_add_f32_e32 v32, v14, v15
	ds_read2_b64 v[14:17], v12 offset0:128 offset1:144
	v_add_f32_e32 v30, v30, v27
	v_mul_f32_e32 v25, v36, v21
	v_fma_f32 v18, v36, v20, -v18
	v_mul_f32_e32 v27, v37, v23
	v_add_f32_e32 v29, v29, v19
	v_mul_f32_e32 v19, v36, v23
	v_fmac_f32_e32 v25, v37, v20
	v_add_f32_e32 v3, v3, v18
	v_mul_f32_e32 v18, v53, v21
	v_fma_f32 v27, v36, v22, -v27
	v_fmac_f32_e32 v19, v37, v22
	v_mul_f32_e32 v21, v52, v21
	v_mul_f32_e32 v35, v53, v23
	v_fma_f32 v18, v52, v20, -v18
	v_add_f32_e32 v33, v26, v25
	v_add_f32_e32 v34, v24, v27
	ds_read_b128 v[24:27], v13 offset:1056
	v_add_f32_e32 v36, v28, v19
	v_fmac_f32_e32 v21, v53, v20
	v_mul_f32_e32 v23, v52, v23
	v_fma_f32 v19, v52, v22, -v35
	v_add_f32_e32 v35, v30, v18
	s_waitcnt lgkmcnt(1)
	v_mul_f32_e32 v18, v39, v15
	v_add_f32_e32 v37, v31, v21
	v_fmac_f32_e32 v23, v53, v22
	v_add_f32_e32 v22, v32, v19
	v_mul_f32_e32 v32, v38, v15
	v_fma_f32 v28, v38, v14, -v18
	ds_read2_b64 v[18:21], v12 offset0:160 offset1:176
	v_mul_f32_e32 v30, v39, v17
	v_mul_f32_e32 v46, v38, v17
	v_fmac_f32_e32 v32, v39, v14
	v_add_f32_e32 v23, v29, v23
	v_add_f32_e32 v3, v3, v28
	v_fma_f32 v38, v38, v16, -v30
	ds_read_b128 v[28:31], v13 offset:1072
	s_waitcnt lgkmcnt(2)
	v_mul_f32_e32 v47, v25, v15
	v_add_f32_e32 v32, v33, v32
	v_mul_f32_e32 v15, v24, v15
	v_add_f32_e32 v33, v34, v38
	v_mul_f32_e32 v38, v25, v17
	v_fmac_f32_e32 v46, v39, v16
	v_fma_f32 v34, v24, v14, -v47
	v_fmac_f32_e32 v15, v25, v14
	v_mul_f32_e32 v39, v24, v17
	v_fma_f32 v14, v24, v16, -v38
	v_add_f32_e32 v36, v36, v46
	v_add_f32_e32 v34, v35, v34
	s_waitcnt lgkmcnt(1)
	v_mul_f32_e32 v17, v41, v19
	v_add_f32_e32 v24, v37, v15
	v_fmac_f32_e32 v39, v25, v16
	v_mul_f32_e32 v25, v40, v19
	v_add_f32_e32 v22, v22, v14
	v_fma_f32 v35, v40, v18, -v17
	ds_read2_b64 v[14:17], v12 offset0:192 offset1:208
	v_mul_f32_e32 v37, v41, v21
	v_fmac_f32_e32 v25, v41, v18
	v_add_f32_e32 v38, v23, v39
	v_add_f32_e32 v3, v3, v35
	v_mul_f32_e32 v23, v40, v21
	v_fma_f32 v35, v40, v20, -v37
	v_add_f32_e32 v32, v32, v25
	v_mul_f32_e32 v25, v27, v19
	v_mul_f32_e32 v19, v26, v19
	v_fmac_f32_e32 v23, v41, v20
	v_add_f32_e32 v33, v33, v35
	v_mul_f32_e32 v35, v27, v21
	v_fma_f32 v25, v26, v18, -v25
	v_fmac_f32_e32 v19, v27, v18
	v_add_f32_e32 v18, v36, v23
	v_mul_f32_e32 v21, v26, v21
	v_fma_f32 v23, v26, v20, -v35
	v_add_f32_e32 v26, v34, v25
	v_add_f32_e32 v19, v24, v19
	s_waitcnt lgkmcnt(0)
	v_mul_f32_e32 v34, v43, v15
	v_fmac_f32_e32 v21, v27, v20
	v_add_f32_e32 v20, v22, v23
	ds_read2_b64 v[22:25], v12 offset0:224 offset1:240
	v_mul_f32_e32 v27, v42, v15
	v_fma_f32 v34, v42, v14, -v34
	v_mul_f32_e32 v35, v43, v17
	v_mul_f32_e32 v36, v42, v17
	v_add_f32_e32 v21, v38, v21
	v_fmac_f32_e32 v27, v43, v14
	v_add_f32_e32 v3, v3, v34
	v_mul_f32_e32 v34, v29, v15
	v_fma_f32 v35, v42, v16, -v35
	v_fmac_f32_e32 v36, v43, v16
	v_add_f32_e32 v27, v32, v27
	v_mul_f32_e32 v15, v28, v15
	v_fma_f32 v32, v28, v14, -v34
	v_mul_f32_e32 v34, v29, v17
	v_add_f32_e32 v33, v33, v35
	v_add_f32_e32 v35, v18, v36
	v_fmac_f32_e32 v15, v29, v14
	v_add_f32_e32 v14, v26, v32
	v_mul_f32_e32 v17, v28, v17
	v_fma_f32 v18, v28, v16, -v34
	s_waitcnt lgkmcnt(0)
	v_mul_f32_e32 v26, v45, v23
	v_mul_f32_e32 v28, v44, v23
	v_add_f32_e32 v15, v19, v15
	v_fmac_f32_e32 v17, v29, v16
	v_add_f32_e32 v29, v20, v18
	v_fma_f32 v16, v44, v22, -v26
	v_mul_f32_e32 v18, v45, v25
	v_mul_f32_e32 v19, v44, v25
	v_add_f32_e32 v26, v21, v17
	v_mul_f32_e32 v17, v30, v23
	v_add_f32_e32 v20, v3, v16
	v_fma_f32 v3, v44, v24, -v18
	v_mul_f32_e32 v16, v31, v23
	v_mul_f32_e32 v23, v31, v25
	;; [unrolled: 1-line block ×3, first 2 shown]
	v_fmac_f32_e32 v28, v45, v22
	v_fmac_f32_e32 v19, v45, v24
	v_add_f32_e32 v18, v33, v3
	v_fma_f32 v3, v30, v22, -v16
	v_fmac_f32_e32 v17, v31, v22
	v_fma_f32 v22, v30, v24, -v23
	v_fmac_f32_e32 v25, v31, v24
	v_add_f32_e32 v21, v27, v28
	v_add_f32_e32 v19, v35, v19
	v_add_f32_e32 v16, v14, v3
	v_add_f32_e32 v17, v15, v17
	v_add_f32_e32 v14, v29, v22
	v_add_f32_e32 v15, v26, v25
	s_barrier
	buffer_gl0_inv
	s_cbranch_scc0 .LBB367_16
.LBB367_8:                              ; =>This Inner Loop Header: Depth=1
	v_add_nc_u32_e32 v3, s9, v9
	v_cmp_le_i32_e32 vcc_lo, s21, v3
	s_or_b32 s6, s1, vcc_lo
	s_and_saveexec_b32 s7, s6
	s_xor_b32 s6, exec_lo, s7
; %bb.9:                                ;   in Loop: Header=BB367_8 Depth=1
	ds_write_b32 v10, v2
; %bb.10:                               ;   in Loop: Header=BB367_8 Depth=1
	s_or_saveexec_b32 s6, s6
	v_mov_b32_e32 v3, 0
	s_xor_b32 exec_lo, exec_lo, s6
	s_cbranch_execz .LBB367_12
; %bb.11:                               ;   in Loop: Header=BB367_8 Depth=1
	flat_load_dwordx2 v[22:23], v[4:5]
	s_waitcnt vmcnt(0) lgkmcnt(0)
	v_xor_b32_e32 v3, 0x80000000, v23
	ds_write_b32 v10, v22
.LBB367_12:                             ;   in Loop: Header=BB367_8 Depth=1
	s_or_b32 exec_lo, exec_lo, s6
	v_add_nc_u32_e32 v22, s9, v8
	ds_write_b32 v10, v3 offset:4
	v_cmp_le_i32_e32 vcc_lo, s21, v22
	s_or_b32 s6, vcc_lo, s0
	s_and_saveexec_b32 s7, s6
	s_xor_b32 s6, exec_lo, s7
; %bb.13:                               ;   in Loop: Header=BB367_8 Depth=1
	v_mov_b32_e32 v3, v2
	ds_write_b64 v11, v[2:3]
; %bb.14:                               ;   in Loop: Header=BB367_8 Depth=1
	s_andn2_saveexec_b32 s6, s6
	s_cbranch_execz .LBB367_7
; %bb.15:                               ;   in Loop: Header=BB367_8 Depth=1
	flat_load_dwordx2 v[22:23], v[6:7]
	s_waitcnt vmcnt(0) lgkmcnt(0)
	ds_write_b64 v11, v[22:23]
	s_branch .LBB367_7
.LBB367_16:
	s_clause 0x1
	s_load_dword s2, s[4:5], 0x50
	s_load_dwordx2 s[4:5], s[4:5], 0x58
	v_add_nc_u32_e32 v9, s25, v1
	v_add_nc_u32_e32 v0, s8, v0
	v_cmp_neq_f32_e64 s6, s10, 0
	v_cmp_gt_i32_e64 s0, s20, v9
	v_cmp_le_i32_e32 vcc_lo, v0, v9
	s_waitcnt lgkmcnt(0)
	v_mad_i64_i32 v[1:2], null, v9, s2, 0
	s_lshl_b64 s[4:5], s[4:5], 3
	s_add_u32 s3, s22, s4
	s_addc_u32 s4, s23, s5
	s_xor_b32 s5, s24, -1
	s_or_b32 s5, s6, s5
	v_lshlrev_b64 v[2:3], 3, v[1:2]
	v_ashrrev_i32_e32 v1, 31, v0
	v_cndmask_b32_e64 v8, 0, 1, s5
	s_and_b32 s6, s0, vcc_lo
	v_add_co_u32 v6, s1, s3, v2
	v_add_co_ci_u32_e64 v7, null, s4, v3, s1
	s_and_saveexec_b32 s1, s6
	s_cbranch_execz .LBB367_20
; %bb.17:
	v_lshlrev_b64 v[4:5], 3, v[0:1]
	v_mul_f32_e32 v2, s15, v21
	v_mul_f32_e32 v3, s14, v21
	v_fma_f32 v2, v20, s14, -v2
	v_add_co_u32 v4, vcc_lo, v6, v4
	v_fmac_f32_e32 v3, s15, v20
	v_add_co_ci_u32_e64 v5, null, v7, v5, vcc_lo
	s_andn2_b32 vcc_lo, exec_lo, s5
	s_cbranch_vccnz .LBB367_19
; %bb.18:
	flat_load_dwordx2 v[10:11], v[4:5]
	s_waitcnt vmcnt(0) lgkmcnt(0)
	v_mul_f32_e32 v12, s11, v11
	v_mul_f32_e32 v11, s10, v11
	v_fma_f32 v12, v10, s10, -v12
	v_fmac_f32_e32 v11, s11, v10
	v_add_f32_e32 v2, v2, v12
	v_add_f32_e32 v3, v3, v11
.LBB367_19:
	flat_store_dwordx2 v[4:5], v[2:3]
.LBB367_20:
	s_or_b32 exec_lo, exec_lo, s1
	v_add_nc_u32_e32 v2, 16, v0
	v_cmp_le_i32_e32 vcc_lo, v2, v9
	v_ashrrev_i32_e32 v3, 31, v2
	s_and_b32 s0, s0, vcc_lo
	s_and_saveexec_b32 s1, s0
	s_cbranch_execz .LBB367_24
; %bb.21:
	v_lshlrev_b64 v[10:11], 3, v[2:3]
	v_mul_f32_e32 v4, s15, v19
	v_mul_f32_e32 v5, s14, v19
	v_cmp_ne_u32_e32 vcc_lo, 1, v8
	v_fma_f32 v4, v18, s14, -v4
	v_add_co_u32 v6, s0, v6, v10
	v_fmac_f32_e32 v5, s15, v18
	v_add_co_ci_u32_e64 v7, null, v7, v11, s0
	s_cbranch_vccnz .LBB367_23
; %bb.22:
	flat_load_dwordx2 v[10:11], v[6:7]
	s_waitcnt vmcnt(0) lgkmcnt(0)
	v_mul_f32_e32 v12, s11, v11
	v_mul_f32_e32 v11, s10, v11
	v_fma_f32 v12, v10, s10, -v12
	v_fmac_f32_e32 v11, s11, v10
	v_add_f32_e32 v4, v4, v12
	v_add_f32_e32 v5, v5, v11
.LBB367_23:
	flat_store_dwordx2 v[6:7], v[4:5]
.LBB367_24:
	s_or_b32 exec_lo, exec_lo, s1
	v_add_nc_u32_e32 v9, 16, v9
	v_mad_i64_i32 v[4:5], null, v9, s2, 0
	v_cmp_gt_i32_e64 s0, s20, v9
	v_cmp_le_i32_e32 vcc_lo, v0, v9
	v_lshlrev_b64 v[4:5], 3, v[4:5]
	v_add_co_u32 v6, s1, s3, v4
	v_add_co_ci_u32_e64 v7, null, s4, v5, s1
	s_and_b32 s1, s0, vcc_lo
	s_and_saveexec_b32 s2, s1
	s_cbranch_execz .LBB367_28
; %bb.25:
	v_lshlrev_b64 v[0:1], 3, v[0:1]
	v_mul_f32_e32 v4, s15, v17
	v_mul_f32_e32 v5, s14, v17
	v_cmp_ne_u32_e32 vcc_lo, 1, v8
	v_fma_f32 v4, v16, s14, -v4
	v_add_co_u32 v0, s1, v6, v0
	v_fmac_f32_e32 v5, s15, v16
	v_add_co_ci_u32_e64 v1, null, v7, v1, s1
	s_cbranch_vccnz .LBB367_27
; %bb.26:
	flat_load_dwordx2 v[10:11], v[0:1]
	s_waitcnt vmcnt(0) lgkmcnt(0)
	v_mul_f32_e32 v12, s11, v11
	v_mul_f32_e32 v11, s10, v11
	v_fma_f32 v12, v10, s10, -v12
	v_fmac_f32_e32 v11, s11, v10
	v_add_f32_e32 v4, v4, v12
	v_add_f32_e32 v5, v5, v11
.LBB367_27:
	flat_store_dwordx2 v[0:1], v[4:5]
.LBB367_28:
	s_or_b32 exec_lo, exec_lo, s2
	v_cmp_le_i32_e32 vcc_lo, v2, v9
	s_and_b32 s0, s0, vcc_lo
	s_and_saveexec_b32 s1, s0
	s_cbranch_execz .LBB367_32
; %bb.29:
	v_lshlrev_b64 v[2:3], 3, v[2:3]
	v_mul_f32_e32 v0, s15, v15
	v_mul_f32_e32 v1, s14, v15
	v_cmp_ne_u32_e32 vcc_lo, 1, v8
	v_fma_f32 v0, v14, s14, -v0
	v_add_co_u32 v2, s0, v6, v2
	v_fmac_f32_e32 v1, s15, v14
	v_add_co_ci_u32_e64 v3, null, v7, v3, s0
	s_cbranch_vccnz .LBB367_31
; %bb.30:
	flat_load_dwordx2 v[4:5], v[2:3]
	s_waitcnt vmcnt(0) lgkmcnt(0)
	v_mul_f32_e32 v6, s11, v5
	v_mul_f32_e32 v5, s10, v5
	v_fma_f32 v6, v4, s10, -v6
	v_fmac_f32_e32 v5, s11, v4
	v_add_f32_e32 v0, v0, v6
	v_add_f32_e32 v1, v1, v5
.LBB367_31:
	flat_store_dwordx2 v[2:3], v[0:1]
.LBB367_32:
	s_endpgm
	.section	.rodata,"a",@progbits
	.p2align	6, 0x0
	.amdhsa_kernel _ZL29rocblas_internal_gemmt_kernelIiLi16ELi32ELi8ELc67ELc84ELc85ELb1ELb0E19rocblas_complex_numIfEPKS1_PKS3_PKPS1_EviT_T9_T10_S9_lSB_S9_lSA_T11_S9_li
		.amdhsa_group_segment_fixed_size 4096
		.amdhsa_private_segment_fixed_size 0
		.amdhsa_kernarg_size 100
		.amdhsa_user_sgpr_count 6
		.amdhsa_user_sgpr_private_segment_buffer 1
		.amdhsa_user_sgpr_dispatch_ptr 0
		.amdhsa_user_sgpr_queue_ptr 0
		.amdhsa_user_sgpr_kernarg_segment_ptr 1
		.amdhsa_user_sgpr_dispatch_id 0
		.amdhsa_user_sgpr_flat_scratch_init 0
		.amdhsa_user_sgpr_private_segment_size 0
		.amdhsa_wavefront_size32 1
		.amdhsa_uses_dynamic_stack 0
		.amdhsa_system_sgpr_private_segment_wavefront_offset 0
		.amdhsa_system_sgpr_workgroup_id_x 1
		.amdhsa_system_sgpr_workgroup_id_y 1
		.amdhsa_system_sgpr_workgroup_id_z 1
		.amdhsa_system_sgpr_workgroup_info 0
		.amdhsa_system_vgpr_workitem_id 1
		.amdhsa_next_free_vgpr 59
		.amdhsa_next_free_sgpr 27
		.amdhsa_reserve_vcc 1
		.amdhsa_reserve_flat_scratch 0
		.amdhsa_float_round_mode_32 0
		.amdhsa_float_round_mode_16_64 0
		.amdhsa_float_denorm_mode_32 3
		.amdhsa_float_denorm_mode_16_64 3
		.amdhsa_dx10_clamp 1
		.amdhsa_ieee_mode 1
		.amdhsa_fp16_overflow 0
		.amdhsa_workgroup_processor_mode 1
		.amdhsa_memory_ordered 1
		.amdhsa_forward_progress 1
		.amdhsa_shared_vgpr_count 0
		.amdhsa_exception_fp_ieee_invalid_op 0
		.amdhsa_exception_fp_denorm_src 0
		.amdhsa_exception_fp_ieee_div_zero 0
		.amdhsa_exception_fp_ieee_overflow 0
		.amdhsa_exception_fp_ieee_underflow 0
		.amdhsa_exception_fp_ieee_inexact 0
		.amdhsa_exception_int_div_zero 0
	.end_amdhsa_kernel
	.section	.text._ZL29rocblas_internal_gemmt_kernelIiLi16ELi32ELi8ELc67ELc84ELc85ELb1ELb0E19rocblas_complex_numIfEPKS1_PKS3_PKPS1_EviT_T9_T10_S9_lSB_S9_lSA_T11_S9_li,"axG",@progbits,_ZL29rocblas_internal_gemmt_kernelIiLi16ELi32ELi8ELc67ELc84ELc85ELb1ELb0E19rocblas_complex_numIfEPKS1_PKS3_PKPS1_EviT_T9_T10_S9_lSB_S9_lSA_T11_S9_li,comdat
.Lfunc_end367:
	.size	_ZL29rocblas_internal_gemmt_kernelIiLi16ELi32ELi8ELc67ELc84ELc85ELb1ELb0E19rocblas_complex_numIfEPKS1_PKS3_PKPS1_EviT_T9_T10_S9_lSB_S9_lSA_T11_S9_li, .Lfunc_end367-_ZL29rocblas_internal_gemmt_kernelIiLi16ELi32ELi8ELc67ELc84ELc85ELb1ELb0E19rocblas_complex_numIfEPKS1_PKS3_PKPS1_EviT_T9_T10_S9_lSB_S9_lSA_T11_S9_li
                                        ; -- End function
	.set _ZL29rocblas_internal_gemmt_kernelIiLi16ELi32ELi8ELc67ELc84ELc85ELb1ELb0E19rocblas_complex_numIfEPKS1_PKS3_PKPS1_EviT_T9_T10_S9_lSB_S9_lSA_T11_S9_li.num_vgpr, 59
	.set _ZL29rocblas_internal_gemmt_kernelIiLi16ELi32ELi8ELc67ELc84ELc85ELb1ELb0E19rocblas_complex_numIfEPKS1_PKS3_PKPS1_EviT_T9_T10_S9_lSB_S9_lSA_T11_S9_li.num_agpr, 0
	.set _ZL29rocblas_internal_gemmt_kernelIiLi16ELi32ELi8ELc67ELc84ELc85ELb1ELb0E19rocblas_complex_numIfEPKS1_PKS3_PKPS1_EviT_T9_T10_S9_lSB_S9_lSA_T11_S9_li.numbered_sgpr, 27
	.set _ZL29rocblas_internal_gemmt_kernelIiLi16ELi32ELi8ELc67ELc84ELc85ELb1ELb0E19rocblas_complex_numIfEPKS1_PKS3_PKPS1_EviT_T9_T10_S9_lSB_S9_lSA_T11_S9_li.num_named_barrier, 0
	.set _ZL29rocblas_internal_gemmt_kernelIiLi16ELi32ELi8ELc67ELc84ELc85ELb1ELb0E19rocblas_complex_numIfEPKS1_PKS3_PKPS1_EviT_T9_T10_S9_lSB_S9_lSA_T11_S9_li.private_seg_size, 0
	.set _ZL29rocblas_internal_gemmt_kernelIiLi16ELi32ELi8ELc67ELc84ELc85ELb1ELb0E19rocblas_complex_numIfEPKS1_PKS3_PKPS1_EviT_T9_T10_S9_lSB_S9_lSA_T11_S9_li.uses_vcc, 1
	.set _ZL29rocblas_internal_gemmt_kernelIiLi16ELi32ELi8ELc67ELc84ELc85ELb1ELb0E19rocblas_complex_numIfEPKS1_PKS3_PKPS1_EviT_T9_T10_S9_lSB_S9_lSA_T11_S9_li.uses_flat_scratch, 0
	.set _ZL29rocblas_internal_gemmt_kernelIiLi16ELi32ELi8ELc67ELc84ELc85ELb1ELb0E19rocblas_complex_numIfEPKS1_PKS3_PKPS1_EviT_T9_T10_S9_lSB_S9_lSA_T11_S9_li.has_dyn_sized_stack, 0
	.set _ZL29rocblas_internal_gemmt_kernelIiLi16ELi32ELi8ELc67ELc84ELc85ELb1ELb0E19rocblas_complex_numIfEPKS1_PKS3_PKPS1_EviT_T9_T10_S9_lSB_S9_lSA_T11_S9_li.has_recursion, 0
	.set _ZL29rocblas_internal_gemmt_kernelIiLi16ELi32ELi8ELc67ELc84ELc85ELb1ELb0E19rocblas_complex_numIfEPKS1_PKS3_PKPS1_EviT_T9_T10_S9_lSB_S9_lSA_T11_S9_li.has_indirect_call, 0
	.section	.AMDGPU.csdata,"",@progbits
; Kernel info:
; codeLenInByte = 2556
; TotalNumSgprs: 29
; NumVgprs: 59
; ScratchSize: 0
; MemoryBound: 1
; FloatMode: 240
; IeeeMode: 1
; LDSByteSize: 4096 bytes/workgroup (compile time only)
; SGPRBlocks: 0
; VGPRBlocks: 7
; NumSGPRsForWavesPerEU: 29
; NumVGPRsForWavesPerEU: 59
; Occupancy: 16
; WaveLimiterHint : 1
; COMPUTE_PGM_RSRC2:SCRATCH_EN: 0
; COMPUTE_PGM_RSRC2:USER_SGPR: 6
; COMPUTE_PGM_RSRC2:TRAP_HANDLER: 0
; COMPUTE_PGM_RSRC2:TGID_X_EN: 1
; COMPUTE_PGM_RSRC2:TGID_Y_EN: 1
; COMPUTE_PGM_RSRC2:TGID_Z_EN: 1
; COMPUTE_PGM_RSRC2:TIDIG_COMP_CNT: 1
	.section	.text._ZL29rocblas_internal_gemmt_kernelIiLi16ELi32ELi8ELc67ELc67ELc85ELb1ELb1E19rocblas_complex_numIfEPKS1_PKS3_PKPS1_EviT_T9_T10_S9_lSB_S9_lSA_T11_S9_li,"axG",@progbits,_ZL29rocblas_internal_gemmt_kernelIiLi16ELi32ELi8ELc67ELc67ELc85ELb1ELb1E19rocblas_complex_numIfEPKS1_PKS3_PKPS1_EviT_T9_T10_S9_lSB_S9_lSA_T11_S9_li,comdat
	.globl	_ZL29rocblas_internal_gemmt_kernelIiLi16ELi32ELi8ELc67ELc67ELc85ELb1ELb1E19rocblas_complex_numIfEPKS1_PKS3_PKPS1_EviT_T9_T10_S9_lSB_S9_lSA_T11_S9_li ; -- Begin function _ZL29rocblas_internal_gemmt_kernelIiLi16ELi32ELi8ELc67ELc67ELc85ELb1ELb1E19rocblas_complex_numIfEPKS1_PKS3_PKPS1_EviT_T9_T10_S9_lSB_S9_lSA_T11_S9_li
	.p2align	8
	.type	_ZL29rocblas_internal_gemmt_kernelIiLi16ELi32ELi8ELc67ELc67ELc85ELb1ELb1E19rocblas_complex_numIfEPKS1_PKS3_PKPS1_EviT_T9_T10_S9_lSB_S9_lSA_T11_S9_li,@function
_ZL29rocblas_internal_gemmt_kernelIiLi16ELi32ELi8ELc67ELc67ELc85ELb1ELb1E19rocblas_complex_numIfEPKS1_PKS3_PKPS1_EviT_T9_T10_S9_lSB_S9_lSA_T11_S9_li: ; @_ZL29rocblas_internal_gemmt_kernelIiLi16ELi32ELi8ELc67ELc67ELc85ELb1ELb1E19rocblas_complex_numIfEPKS1_PKS3_PKPS1_EviT_T9_T10_S9_lSB_S9_lSA_T11_S9_li
; %bb.0:
	s_clause 0x1
	s_load_dwordx4 s[12:15], s[4:5], 0x38
	s_load_dwordx4 s[0:3], s[4:5], 0x8
	s_waitcnt lgkmcnt(0)
	s_load_dwordx2 s[10:11], s[14:15], 0x0
	s_load_dwordx2 s[20:21], s[4:5], 0x0
	;; [unrolled: 1-line block ×3, first 2 shown]
	s_waitcnt lgkmcnt(0)
	s_and_b32 s0, s11, 0x7fffffff
	v_cmp_eq_f32_e64 s1, s10, 1.0
	s_cmp_eq_u32 s0, 0
	s_mov_b32 s0, 0
	s_cselect_b32 s24, -1, 0
	s_and_b32 s1, s1, s24
	s_andn2_b32 vcc_lo, exec_lo, s1
	s_mov_b32 s1, -1
	s_cbranch_vccnz .LBB368_4
; %bb.1:
	s_cmp_lg_u32 s21, 0
	s_cbranch_scc0 .LBB368_3
; %bb.2:
	v_cmp_neq_f32_e64 s0, s14, 0
	v_cmp_neq_f32_e64 s1, s15, 0
	s_or_b32 s0, s0, s1
.LBB368_3:
	s_mov_b32 s1, s0
.LBB368_4:
	s_and_b32 vcc_lo, exec_lo, s1
	s_cbranch_vccz .LBB368_32
; %bb.5:
	s_load_dwordx2 s[16:17], s[4:5], 0x48
	s_mov_b32 s9, 0
	v_cmp_eq_f32_e64 s18, s14, 0
	s_lshl_b64 s[0:1], s[8:9], 3
	v_cmp_eq_f32_e64 s19, s15, 0
	v_mov_b32_e32 v19, 0
	v_mov_b32_e32 v20, 0
	;; [unrolled: 1-line block ×8, first 2 shown]
	s_waitcnt lgkmcnt(0)
	s_add_u32 s16, s16, s0
	s_addc_u32 s17, s17, s1
	s_lshl_b32 s8, s6, 5
	s_load_dwordx2 s[22:23], s[16:17], 0x0
	s_lshl_b32 s25, s7, 5
	s_and_b32 s6, s18, s19
	s_cmp_lt_i32 s21, 1
	s_cselect_b32 s7, -1, 0
	s_or_b32 s6, s6, s7
	s_and_b32 vcc_lo, exec_lo, s6
	s_cbranch_vccnz .LBB368_16
; %bb.6:
	s_clause 0x2
	s_load_dword s6, s[4:5], 0x30
	s_load_dword s26, s[4:5], 0x18
	s_load_dwordx4 s[16:19], s[4:5], 0x20
	v_lshl_add_u32 v2, v1, 4, v0
	v_and_b32_e32 v6, 7, v0
	v_lshl_add_u32 v11, v1, 6, 0x800
	v_mov_b32_e32 v16, 0
	v_mov_b32_e32 v18, 0
	v_and_b32_e32 v3, 31, v2
	v_lshrrev_b32_e32 v4, 3, v2
	v_lshlrev_b32_e32 v5, 3, v6
	v_lshrrev_b32_e32 v7, 5, v2
	v_mov_b32_e32 v17, 0
	v_or_b32_e32 v8, s8, v3
	v_lshlrev_b32_e32 v9, 3, v3
	v_add_nc_u32_e32 v3, s8, v3
	v_add_nc_u32_e32 v2, s25, v4
	v_lshl_or_b32 v10, v4, 6, v5
	v_lshlrev_b32_e32 v15, 3, v7
	v_cmp_gt_i32_e32 vcc_lo, s20, v8
	s_waitcnt lgkmcnt(0)
	s_ashr_i32 s7, s6, 31
	v_mad_i64_i32 v[4:5], null, s26, v3, 0
	s_add_u32 s18, s18, s0
	s_addc_u32 s19, s19, s1
	v_mad_i64_i32 v[12:13], null, s6, v6, 0
	s_add_u32 s0, s2, s0
	s_addc_u32 s1, s3, s1
	s_load_dwordx2 s[2:3], s[18:19], 0x0
	s_load_dwordx2 s[18:19], s[0:1], 0x0
	v_lshlrev_b64 v[4:5], 3, v[4:5]
	v_ashrrev_i32_e32 v3, 31, v2
	s_lshl_b64 s[16:17], s[16:17], 3
	v_lshlrev_b64 v[13:14], 3, v[12:13]
	s_lshl_b64 s[12:13], s[12:13], 3
	v_cmp_gt_i32_e64 s0, s20, v2
	v_add_co_u32 v4, s1, v4, s16
	v_lshlrev_b64 v[2:3], 3, v[2:3]
	v_add_co_ci_u32_e64 v5, null, s17, v5, s1
	v_add_co_u32 v13, s1, v13, s12
	v_add_co_ci_u32_e64 v14, null, s13, v14, s1
	v_add_co_u32 v4, s1, v4, v15
	;; [unrolled: 2-line block ×3, first 2 shown]
	v_add_co_ci_u32_e64 v14, null, v14, v3, s1
	s_waitcnt lgkmcnt(0)
	v_add_co_u32 v2, s1, s18, v4
	v_add_co_ci_u32_e64 v3, null, s19, v5, s1
	v_add_co_u32 v4, s1, s2, v13
	v_lshl_or_b32 v8, v7, 8, v9
	v_add_nc_u32_e32 v9, 0x800, v10
	v_lshlrev_b32_e32 v10, 3, v0
	v_mov_b32_e32 v12, 0
	v_add_co_ci_u32_e64 v5, null, s3, v14, s1
	v_mov_b32_e32 v14, 0
	v_mov_b32_e32 v13, 0
	;; [unrolled: 1-line block ×5, first 2 shown]
	s_lshl_b64 s[2:3], s[6:7], 6
	s_xor_b32 s1, vcc_lo, -1
	s_xor_b32 s0, s0, -1
	s_branch .LBB368_8
.LBB368_7:                              ;   in Loop: Header=BB368_8 Depth=1
	s_or_b32 exec_lo, exec_lo, s6
	ds_write_b32 v9, v21 offset:4
	s_waitcnt lgkmcnt(0)
	s_barrier
	buffer_gl0_inv
	ds_read_b128 v[21:24], v11
	ds_read2_b64 v[25:28], v10 offset1:16
	ds_read_b128 v[29:32], v11 offset:1024
	ds_read_b128 v[33:36], v11 offset:16
	;; [unrolled: 1-line block ×4, first 2 shown]
	ds_read2_b64 v[45:48], v10 offset0:32 offset1:48
	ds_read_b128 v[49:52], v11 offset:1040
	v_add_co_u32 v2, vcc_lo, v2, 64
	v_add_co_ci_u32_e64 v3, null, 0, v3, vcc_lo
	v_add_co_u32 v4, vcc_lo, v4, s2
	v_add_co_ci_u32_e64 v5, null, s3, v5, vcc_lo
	s_add_i32 s9, s9, 8
	s_cmp_lt_i32 s9, s21
	s_waitcnt lgkmcnt(6)
	v_mul_f32_e32 v53, v22, v26
	v_mul_f32_e32 v54, v21, v26
	;; [unrolled: 1-line block ×4, first 2 shown]
	s_waitcnt lgkmcnt(5)
	v_mul_f32_e32 v57, v30, v26
	v_mul_f32_e32 v26, v29, v26
	;; [unrolled: 1-line block ×3, first 2 shown]
	v_fma_f32 v53, v21, v25, -v53
	v_fmac_f32_e32 v54, v22, v25
	v_fma_f32 v21, v21, v27, -v55
	v_fmac_f32_e32 v56, v22, v27
	;; [unrolled: 2-line block ×3, first 2 shown]
	v_mul_f32_e32 v28, v29, v28
	v_fma_f32 v25, v29, v27, -v58
	v_add_f32_e32 v19, v19, v53
	v_add_f32_e32 v21, v17, v21
	;; [unrolled: 1-line block ×5, first 2 shown]
	s_waitcnt lgkmcnt(1)
	v_mul_f32_e32 v53, v24, v46
	ds_read2_b64 v[15:18], v10 offset0:64 offset1:80
	v_fmac_f32_e32 v28, v30, v27
	v_add_f32_e32 v13, v13, v25
	v_mul_f32_e32 v25, v23, v46
	v_fma_f32 v27, v23, v45, -v53
	v_mul_f32_e32 v30, v24, v48
	v_add_f32_e32 v20, v20, v54
	v_add_f32_e32 v14, v14, v28
	v_fmac_f32_e32 v25, v24, v45
	v_mul_f32_e32 v28, v23, v48
	v_add_f32_e32 v27, v19, v27
	v_fma_f32 v19, v23, v47, -v30
	v_mul_f32_e32 v23, v32, v46
	v_add_f32_e32 v25, v20, v25
	v_fmac_f32_e32 v28, v24, v47
	v_mul_f32_e32 v20, v31, v46
	v_add_f32_e32 v24, v21, v19
	v_fma_f32 v19, v31, v45, -v23
	v_mul_f32_e32 v21, v32, v48
	v_add_f32_e32 v23, v29, v28
	v_fmac_f32_e32 v20, v32, v45
	v_mul_f32_e32 v28, v31, v48
	v_add_f32_e32 v29, v22, v19
	v_fma_f32 v19, v31, v47, -v21
	s_waitcnt lgkmcnt(0)
	v_mul_f32_e32 v21, v34, v16
	v_add_f32_e32 v26, v26, v20
	v_fmac_f32_e32 v28, v32, v47
	v_mul_f32_e32 v30, v33, v16
	v_add_f32_e32 v13, v13, v19
	v_fma_f32 v31, v33, v15, -v21
	v_mul_f32_e32 v32, v34, v18
	ds_read2_b64 v[19:22], v10 offset0:96 offset1:112
	v_fmac_f32_e32 v30, v34, v15
	v_add_f32_e32 v28, v14, v28
	v_add_f32_e32 v27, v27, v31
	v_mul_f32_e32 v14, v33, v18
	v_fma_f32 v31, v33, v17, -v32
	v_add_f32_e32 v25, v25, v30
	v_mul_f32_e32 v30, v50, v16
	v_mul_f32_e32 v16, v49, v16
	v_fmac_f32_e32 v14, v34, v17
	v_add_f32_e32 v24, v24, v31
	v_mul_f32_e32 v31, v50, v18
	v_fma_f32 v30, v49, v15, -v30
	v_fmac_f32_e32 v16, v50, v15
	v_mul_f32_e32 v18, v49, v18
	v_add_f32_e32 v32, v23, v14
	v_fma_f32 v14, v49, v17, -v31
	v_add_f32_e32 v29, v29, v30
	v_add_f32_e32 v30, v26, v16
	v_fmac_f32_e32 v18, v50, v17
	s_waitcnt lgkmcnt(0)
	v_mul_f32_e32 v17, v36, v20
	v_add_f32_e32 v31, v13, v14
	ds_read2_b64 v[13:16], v10 offset0:128 offset1:144
	v_mul_f32_e32 v23, v35, v20
	v_mul_f32_e32 v26, v36, v22
	v_fma_f32 v17, v35, v19, -v17
	v_add_f32_e32 v28, v28, v18
	v_mul_f32_e32 v18, v35, v22
	v_fmac_f32_e32 v23, v36, v19
	v_fma_f32 v26, v35, v21, -v26
	v_add_f32_e32 v27, v27, v17
	v_mul_f32_e32 v17, v52, v20
	v_fmac_f32_e32 v18, v36, v21
	v_mul_f32_e32 v20, v51, v20
	v_mul_f32_e32 v35, v52, v22
	v_add_f32_e32 v33, v25, v23
	v_fma_f32 v17, v51, v19, -v17
	v_add_f32_e32 v34, v24, v26
	ds_read_b128 v[23:26], v11 offset:1056
	v_add_f32_e32 v32, v32, v18
	v_fmac_f32_e32 v20, v52, v19
	v_mul_f32_e32 v22, v51, v22
	v_fma_f32 v18, v51, v21, -v35
	v_add_f32_e32 v35, v29, v17
	s_waitcnt lgkmcnt(1)
	v_mul_f32_e32 v17, v38, v14
	v_add_f32_e32 v36, v30, v20
	v_fmac_f32_e32 v22, v52, v21
	v_add_f32_e32 v21, v31, v18
	v_mul_f32_e32 v31, v37, v14
	v_fma_f32 v29, v37, v13, -v17
	ds_read2_b64 v[17:20], v10 offset0:160 offset1:176
	v_mul_f32_e32 v30, v38, v16
	v_mul_f32_e32 v46, v37, v16
	v_fmac_f32_e32 v31, v38, v13
	v_add_f32_e32 v22, v28, v22
	v_add_f32_e32 v45, v27, v29
	v_fma_f32 v37, v37, v15, -v30
	ds_read_b128 v[27:30], v11 offset:1072
	s_waitcnt lgkmcnt(2)
	v_mul_f32_e32 v47, v24, v14
	v_add_f32_e32 v31, v33, v31
	v_mul_f32_e32 v14, v23, v14
	v_add_f32_e32 v33, v34, v37
	v_mul_f32_e32 v37, v24, v16
	v_fmac_f32_e32 v46, v38, v15
	v_fma_f32 v34, v23, v13, -v47
	v_fmac_f32_e32 v14, v24, v13
	v_mul_f32_e32 v38, v23, v16
	v_fma_f32 v13, v23, v15, -v37
	v_add_f32_e32 v32, v32, v46
	v_add_f32_e32 v34, v35, v34
	s_waitcnt lgkmcnt(1)
	v_mul_f32_e32 v16, v40, v18
	v_add_f32_e32 v23, v36, v14
	v_fmac_f32_e32 v38, v24, v15
	v_mul_f32_e32 v24, v39, v18
	v_add_f32_e32 v21, v21, v13
	v_fma_f32 v35, v39, v17, -v16
	ds_read2_b64 v[13:16], v10 offset0:192 offset1:208
	v_mul_f32_e32 v36, v40, v20
	v_fmac_f32_e32 v24, v40, v17
	v_add_f32_e32 v37, v22, v38
	v_mul_f32_e32 v22, v39, v20
	v_add_f32_e32 v35, v45, v35
	v_fma_f32 v36, v39, v19, -v36
	v_add_f32_e32 v31, v31, v24
	v_mul_f32_e32 v24, v26, v18
	v_mul_f32_e32 v18, v25, v18
	v_fmac_f32_e32 v22, v40, v19
	v_add_f32_e32 v33, v33, v36
	v_mul_f32_e32 v36, v26, v20
	v_fma_f32 v24, v25, v17, -v24
	v_fmac_f32_e32 v18, v26, v17
	v_add_f32_e32 v17, v32, v22
	v_mul_f32_e32 v20, v25, v20
	v_fma_f32 v22, v25, v19, -v36
	v_add_f32_e32 v25, v34, v24
	v_add_f32_e32 v18, v23, v18
	s_waitcnt lgkmcnt(0)
	v_mul_f32_e32 v32, v42, v14
	v_fmac_f32_e32 v20, v26, v19
	v_add_f32_e32 v19, v21, v22
	ds_read2_b64 v[21:24], v10 offset0:224 offset1:240
	v_mul_f32_e32 v26, v41, v14
	v_fma_f32 v32, v41, v13, -v32
	v_mul_f32_e32 v34, v42, v16
	v_mul_f32_e32 v36, v41, v16
	v_add_f32_e32 v20, v37, v20
	v_fmac_f32_e32 v26, v42, v13
	v_add_f32_e32 v32, v35, v32
	v_mul_f32_e32 v35, v28, v14
	v_fma_f32 v34, v41, v15, -v34
	v_fmac_f32_e32 v36, v42, v15
	v_add_f32_e32 v26, v31, v26
	v_mul_f32_e32 v14, v27, v14
	v_fma_f32 v31, v27, v13, -v35
	v_add_f32_e32 v33, v33, v34
	v_mul_f32_e32 v34, v28, v16
	v_add_f32_e32 v35, v17, v36
	v_fmac_f32_e32 v14, v28, v13
	v_add_f32_e32 v13, v25, v31
	v_mul_f32_e32 v16, v27, v16
	v_fma_f32 v17, v27, v15, -v34
	s_waitcnt lgkmcnt(0)
	v_mul_f32_e32 v25, v44, v22
	v_mul_f32_e32 v27, v43, v22
	v_add_f32_e32 v14, v18, v14
	v_fmac_f32_e32 v16, v28, v15
	v_add_f32_e32 v28, v19, v17
	v_fma_f32 v15, v43, v21, -v25
	v_fmac_f32_e32 v27, v44, v21
	v_mul_f32_e32 v17, v44, v24
	v_mul_f32_e32 v18, v43, v24
	v_add_f32_e32 v25, v20, v16
	v_add_f32_e32 v19, v32, v15
	;; [unrolled: 1-line block ×3, first 2 shown]
	v_fma_f32 v15, v43, v23, -v17
	v_mul_f32_e32 v16, v30, v22
	v_mul_f32_e32 v22, v29, v22
	v_mul_f32_e32 v26, v30, v24
	v_mul_f32_e32 v24, v29, v24
	v_fmac_f32_e32 v18, v44, v23
	v_add_f32_e32 v17, v33, v15
	v_fma_f32 v15, v29, v21, -v16
	v_fmac_f32_e32 v22, v30, v21
	v_fma_f32 v21, v29, v23, -v26
	v_fmac_f32_e32 v24, v30, v23
	v_add_f32_e32 v18, v35, v18
	v_add_f32_e32 v15, v13, v15
	;; [unrolled: 1-line block ×5, first 2 shown]
	s_barrier
	buffer_gl0_inv
	s_cbranch_scc0 .LBB368_16
.LBB368_8:                              ; =>This Inner Loop Header: Depth=1
	v_add_nc_u32_e32 v21, s9, v7
	v_cmp_le_i32_e32 vcc_lo, s21, v21
	s_or_b32 s6, s1, vcc_lo
	s_and_saveexec_b32 s7, s6
	s_xor_b32 s6, exec_lo, s7
; %bb.9:                                ;   in Loop: Header=BB368_8 Depth=1
	ds_write_b32 v8, v12
; %bb.10:                               ;   in Loop: Header=BB368_8 Depth=1
	s_or_saveexec_b32 s6, s6
	v_mov_b32_e32 v21, 0
	s_xor_b32 exec_lo, exec_lo, s6
	s_cbranch_execz .LBB368_12
; %bb.11:                               ;   in Loop: Header=BB368_8 Depth=1
	flat_load_dwordx2 v[22:23], v[2:3]
	s_waitcnt vmcnt(0) lgkmcnt(0)
	v_xor_b32_e32 v21, 0x80000000, v23
	ds_write_b32 v8, v22
.LBB368_12:                             ;   in Loop: Header=BB368_8 Depth=1
	s_or_b32 exec_lo, exec_lo, s6
	v_add_nc_u32_e32 v22, s9, v6
	ds_write_b32 v8, v21 offset:4
	v_cmp_le_i32_e32 vcc_lo, s21, v22
	s_or_b32 s6, vcc_lo, s0
	s_and_saveexec_b32 s7, s6
	s_xor_b32 s6, exec_lo, s7
; %bb.13:                               ;   in Loop: Header=BB368_8 Depth=1
	ds_write_b32 v9, v12
; %bb.14:                               ;   in Loop: Header=BB368_8 Depth=1
	s_or_saveexec_b32 s6, s6
	v_mov_b32_e32 v21, 0
	s_xor_b32 exec_lo, exec_lo, s6
	s_cbranch_execz .LBB368_7
; %bb.15:                               ;   in Loop: Header=BB368_8 Depth=1
	flat_load_dwordx2 v[22:23], v[4:5]
	s_waitcnt vmcnt(0) lgkmcnt(0)
	v_xor_b32_e32 v21, 0x80000000, v23
	ds_write_b32 v9, v22
	s_branch .LBB368_7
.LBB368_16:
	s_clause 0x1
	s_load_dword s2, s[4:5], 0x50
	s_load_dwordx2 s[4:5], s[4:5], 0x58
	v_add_nc_u32_e32 v9, s25, v1
	v_add_nc_u32_e32 v0, s8, v0
	v_cmp_neq_f32_e64 s6, s10, 0
	v_cmp_gt_i32_e64 s0, s20, v9
	v_cmp_le_i32_e32 vcc_lo, v0, v9
	s_waitcnt lgkmcnt(0)
	v_mad_i64_i32 v[1:2], null, v9, s2, 0
	s_lshl_b64 s[4:5], s[4:5], 3
	s_add_u32 s3, s22, s4
	s_addc_u32 s4, s23, s5
	s_xor_b32 s5, s24, -1
	s_or_b32 s5, s6, s5
	v_lshlrev_b64 v[2:3], 3, v[1:2]
	v_ashrrev_i32_e32 v1, 31, v0
	v_cndmask_b32_e64 v8, 0, 1, s5
	s_and_b32 s6, s0, vcc_lo
	v_add_co_u32 v6, s1, s3, v2
	v_add_co_ci_u32_e64 v7, null, s4, v3, s1
	s_and_saveexec_b32 s1, s6
	s_cbranch_execz .LBB368_20
; %bb.17:
	v_lshlrev_b64 v[4:5], 3, v[0:1]
	v_mul_f32_e32 v2, s15, v20
	v_mul_f32_e32 v3, s14, v20
	v_fma_f32 v2, v19, s14, -v2
	v_add_co_u32 v4, vcc_lo, v6, v4
	v_fmac_f32_e32 v3, s15, v19
	v_add_co_ci_u32_e64 v5, null, v7, v5, vcc_lo
	s_andn2_b32 vcc_lo, exec_lo, s5
	s_cbranch_vccnz .LBB368_19
; %bb.18:
	flat_load_dwordx2 v[10:11], v[4:5]
	s_waitcnt vmcnt(0) lgkmcnt(0)
	v_mul_f32_e32 v12, s11, v11
	v_mul_f32_e32 v11, s10, v11
	v_fma_f32 v12, v10, s10, -v12
	v_fmac_f32_e32 v11, s11, v10
	v_add_f32_e32 v2, v2, v12
	v_add_f32_e32 v3, v3, v11
.LBB368_19:
	flat_store_dwordx2 v[4:5], v[2:3]
.LBB368_20:
	s_or_b32 exec_lo, exec_lo, s1
	v_add_nc_u32_e32 v2, 16, v0
	v_cmp_le_i32_e32 vcc_lo, v2, v9
	v_ashrrev_i32_e32 v3, 31, v2
	s_and_b32 s0, s0, vcc_lo
	s_and_saveexec_b32 s1, s0
	s_cbranch_execz .LBB368_24
; %bb.21:
	v_lshlrev_b64 v[10:11], 3, v[2:3]
	v_mul_f32_e32 v4, s15, v18
	v_mul_f32_e32 v5, s14, v18
	v_cmp_ne_u32_e32 vcc_lo, 1, v8
	v_fma_f32 v4, v17, s14, -v4
	v_add_co_u32 v6, s0, v6, v10
	v_fmac_f32_e32 v5, s15, v17
	v_add_co_ci_u32_e64 v7, null, v7, v11, s0
	s_cbranch_vccnz .LBB368_23
; %bb.22:
	flat_load_dwordx2 v[10:11], v[6:7]
	s_waitcnt vmcnt(0) lgkmcnt(0)
	v_mul_f32_e32 v12, s11, v11
	v_mul_f32_e32 v11, s10, v11
	v_fma_f32 v12, v10, s10, -v12
	v_fmac_f32_e32 v11, s11, v10
	v_add_f32_e32 v4, v4, v12
	v_add_f32_e32 v5, v5, v11
.LBB368_23:
	flat_store_dwordx2 v[6:7], v[4:5]
.LBB368_24:
	s_or_b32 exec_lo, exec_lo, s1
	v_add_nc_u32_e32 v9, 16, v9
	v_mad_i64_i32 v[4:5], null, v9, s2, 0
	v_cmp_gt_i32_e64 s0, s20, v9
	v_cmp_le_i32_e32 vcc_lo, v0, v9
	v_lshlrev_b64 v[4:5], 3, v[4:5]
	v_add_co_u32 v6, s1, s3, v4
	v_add_co_ci_u32_e64 v7, null, s4, v5, s1
	s_and_b32 s1, s0, vcc_lo
	s_and_saveexec_b32 s2, s1
	s_cbranch_execz .LBB368_28
; %bb.25:
	v_lshlrev_b64 v[0:1], 3, v[0:1]
	v_mul_f32_e32 v4, s15, v16
	v_mul_f32_e32 v5, s14, v16
	v_cmp_ne_u32_e32 vcc_lo, 1, v8
	v_fma_f32 v4, v15, s14, -v4
	v_add_co_u32 v0, s1, v6, v0
	v_fmac_f32_e32 v5, s15, v15
	v_add_co_ci_u32_e64 v1, null, v7, v1, s1
	s_cbranch_vccnz .LBB368_27
; %bb.26:
	flat_load_dwordx2 v[10:11], v[0:1]
	s_waitcnt vmcnt(0) lgkmcnt(0)
	v_mul_f32_e32 v12, s11, v11
	v_mul_f32_e32 v11, s10, v11
	v_fma_f32 v12, v10, s10, -v12
	v_fmac_f32_e32 v11, s11, v10
	v_add_f32_e32 v4, v4, v12
	v_add_f32_e32 v5, v5, v11
.LBB368_27:
	flat_store_dwordx2 v[0:1], v[4:5]
.LBB368_28:
	s_or_b32 exec_lo, exec_lo, s2
	v_cmp_le_i32_e32 vcc_lo, v2, v9
	s_and_b32 s0, s0, vcc_lo
	s_and_saveexec_b32 s1, s0
	s_cbranch_execz .LBB368_32
; %bb.29:
	v_lshlrev_b64 v[2:3], 3, v[2:3]
	v_mul_f32_e32 v0, s15, v14
	v_mul_f32_e32 v1, s14, v14
	v_cmp_ne_u32_e32 vcc_lo, 1, v8
	v_fma_f32 v0, v13, s14, -v0
	v_add_co_u32 v2, s0, v6, v2
	v_fmac_f32_e32 v1, s15, v13
	v_add_co_ci_u32_e64 v3, null, v7, v3, s0
	s_cbranch_vccnz .LBB368_31
; %bb.30:
	flat_load_dwordx2 v[4:5], v[2:3]
	s_waitcnt vmcnt(0) lgkmcnt(0)
	v_mul_f32_e32 v6, s11, v5
	v_mul_f32_e32 v5, s10, v5
	v_fma_f32 v6, v4, s10, -v6
	v_fmac_f32_e32 v5, s11, v4
	v_add_f32_e32 v0, v0, v6
	v_add_f32_e32 v1, v1, v5
.LBB368_31:
	flat_store_dwordx2 v[2:3], v[0:1]
.LBB368_32:
	s_endpgm
	.section	.rodata,"a",@progbits
	.p2align	6, 0x0
	.amdhsa_kernel _ZL29rocblas_internal_gemmt_kernelIiLi16ELi32ELi8ELc67ELc67ELc85ELb1ELb1E19rocblas_complex_numIfEPKS1_PKS3_PKPS1_EviT_T9_T10_S9_lSB_S9_lSA_T11_S9_li
		.amdhsa_group_segment_fixed_size 4096
		.amdhsa_private_segment_fixed_size 0
		.amdhsa_kernarg_size 100
		.amdhsa_user_sgpr_count 6
		.amdhsa_user_sgpr_private_segment_buffer 1
		.amdhsa_user_sgpr_dispatch_ptr 0
		.amdhsa_user_sgpr_queue_ptr 0
		.amdhsa_user_sgpr_kernarg_segment_ptr 1
		.amdhsa_user_sgpr_dispatch_id 0
		.amdhsa_user_sgpr_flat_scratch_init 0
		.amdhsa_user_sgpr_private_segment_size 0
		.amdhsa_wavefront_size32 1
		.amdhsa_uses_dynamic_stack 0
		.amdhsa_system_sgpr_private_segment_wavefront_offset 0
		.amdhsa_system_sgpr_workgroup_id_x 1
		.amdhsa_system_sgpr_workgroup_id_y 1
		.amdhsa_system_sgpr_workgroup_id_z 1
		.amdhsa_system_sgpr_workgroup_info 0
		.amdhsa_system_vgpr_workitem_id 1
		.amdhsa_next_free_vgpr 59
		.amdhsa_next_free_sgpr 27
		.amdhsa_reserve_vcc 1
		.amdhsa_reserve_flat_scratch 0
		.amdhsa_float_round_mode_32 0
		.amdhsa_float_round_mode_16_64 0
		.amdhsa_float_denorm_mode_32 3
		.amdhsa_float_denorm_mode_16_64 3
		.amdhsa_dx10_clamp 1
		.amdhsa_ieee_mode 1
		.amdhsa_fp16_overflow 0
		.amdhsa_workgroup_processor_mode 1
		.amdhsa_memory_ordered 1
		.amdhsa_forward_progress 1
		.amdhsa_shared_vgpr_count 0
		.amdhsa_exception_fp_ieee_invalid_op 0
		.amdhsa_exception_fp_denorm_src 0
		.amdhsa_exception_fp_ieee_div_zero 0
		.amdhsa_exception_fp_ieee_overflow 0
		.amdhsa_exception_fp_ieee_underflow 0
		.amdhsa_exception_fp_ieee_inexact 0
		.amdhsa_exception_int_div_zero 0
	.end_amdhsa_kernel
	.section	.text._ZL29rocblas_internal_gemmt_kernelIiLi16ELi32ELi8ELc67ELc67ELc85ELb1ELb1E19rocblas_complex_numIfEPKS1_PKS3_PKPS1_EviT_T9_T10_S9_lSB_S9_lSA_T11_S9_li,"axG",@progbits,_ZL29rocblas_internal_gemmt_kernelIiLi16ELi32ELi8ELc67ELc67ELc85ELb1ELb1E19rocblas_complex_numIfEPKS1_PKS3_PKPS1_EviT_T9_T10_S9_lSB_S9_lSA_T11_S9_li,comdat
.Lfunc_end368:
	.size	_ZL29rocblas_internal_gemmt_kernelIiLi16ELi32ELi8ELc67ELc67ELc85ELb1ELb1E19rocblas_complex_numIfEPKS1_PKS3_PKPS1_EviT_T9_T10_S9_lSB_S9_lSA_T11_S9_li, .Lfunc_end368-_ZL29rocblas_internal_gemmt_kernelIiLi16ELi32ELi8ELc67ELc67ELc85ELb1ELb1E19rocblas_complex_numIfEPKS1_PKS3_PKPS1_EviT_T9_T10_S9_lSB_S9_lSA_T11_S9_li
                                        ; -- End function
	.set _ZL29rocblas_internal_gemmt_kernelIiLi16ELi32ELi8ELc67ELc67ELc85ELb1ELb1E19rocblas_complex_numIfEPKS1_PKS3_PKPS1_EviT_T9_T10_S9_lSB_S9_lSA_T11_S9_li.num_vgpr, 59
	.set _ZL29rocblas_internal_gemmt_kernelIiLi16ELi32ELi8ELc67ELc67ELc85ELb1ELb1E19rocblas_complex_numIfEPKS1_PKS3_PKPS1_EviT_T9_T10_S9_lSB_S9_lSA_T11_S9_li.num_agpr, 0
	.set _ZL29rocblas_internal_gemmt_kernelIiLi16ELi32ELi8ELc67ELc67ELc85ELb1ELb1E19rocblas_complex_numIfEPKS1_PKS3_PKPS1_EviT_T9_T10_S9_lSB_S9_lSA_T11_S9_li.numbered_sgpr, 27
	.set _ZL29rocblas_internal_gemmt_kernelIiLi16ELi32ELi8ELc67ELc67ELc85ELb1ELb1E19rocblas_complex_numIfEPKS1_PKS3_PKPS1_EviT_T9_T10_S9_lSB_S9_lSA_T11_S9_li.num_named_barrier, 0
	.set _ZL29rocblas_internal_gemmt_kernelIiLi16ELi32ELi8ELc67ELc67ELc85ELb1ELb1E19rocblas_complex_numIfEPKS1_PKS3_PKPS1_EviT_T9_T10_S9_lSB_S9_lSA_T11_S9_li.private_seg_size, 0
	.set _ZL29rocblas_internal_gemmt_kernelIiLi16ELi32ELi8ELc67ELc67ELc85ELb1ELb1E19rocblas_complex_numIfEPKS1_PKS3_PKPS1_EviT_T9_T10_S9_lSB_S9_lSA_T11_S9_li.uses_vcc, 1
	.set _ZL29rocblas_internal_gemmt_kernelIiLi16ELi32ELi8ELc67ELc67ELc85ELb1ELb1E19rocblas_complex_numIfEPKS1_PKS3_PKPS1_EviT_T9_T10_S9_lSB_S9_lSA_T11_S9_li.uses_flat_scratch, 0
	.set _ZL29rocblas_internal_gemmt_kernelIiLi16ELi32ELi8ELc67ELc67ELc85ELb1ELb1E19rocblas_complex_numIfEPKS1_PKS3_PKPS1_EviT_T9_T10_S9_lSB_S9_lSA_T11_S9_li.has_dyn_sized_stack, 0
	.set _ZL29rocblas_internal_gemmt_kernelIiLi16ELi32ELi8ELc67ELc67ELc85ELb1ELb1E19rocblas_complex_numIfEPKS1_PKS3_PKPS1_EviT_T9_T10_S9_lSB_S9_lSA_T11_S9_li.has_recursion, 0
	.set _ZL29rocblas_internal_gemmt_kernelIiLi16ELi32ELi8ELc67ELc67ELc85ELb1ELb1E19rocblas_complex_numIfEPKS1_PKS3_PKPS1_EviT_T9_T10_S9_lSB_S9_lSA_T11_S9_li.has_indirect_call, 0
	.section	.AMDGPU.csdata,"",@progbits
; Kernel info:
; codeLenInByte = 2576
; TotalNumSgprs: 29
; NumVgprs: 59
; ScratchSize: 0
; MemoryBound: 0
; FloatMode: 240
; IeeeMode: 1
; LDSByteSize: 4096 bytes/workgroup (compile time only)
; SGPRBlocks: 0
; VGPRBlocks: 7
; NumSGPRsForWavesPerEU: 29
; NumVGPRsForWavesPerEU: 59
; Occupancy: 16
; WaveLimiterHint : 1
; COMPUTE_PGM_RSRC2:SCRATCH_EN: 0
; COMPUTE_PGM_RSRC2:USER_SGPR: 6
; COMPUTE_PGM_RSRC2:TRAP_HANDLER: 0
; COMPUTE_PGM_RSRC2:TGID_X_EN: 1
; COMPUTE_PGM_RSRC2:TGID_Y_EN: 1
; COMPUTE_PGM_RSRC2:TGID_Z_EN: 1
; COMPUTE_PGM_RSRC2:TIDIG_COMP_CNT: 1
	.section	.text._ZL29rocblas_internal_gemmt_kernelIiLi16ELi32ELi8ELc78ELc78ELc76ELb0ELb0E19rocblas_complex_numIfEPKS1_PKS3_PKPS1_EviT_T9_T10_S9_lSB_S9_lSA_T11_S9_li,"axG",@progbits,_ZL29rocblas_internal_gemmt_kernelIiLi16ELi32ELi8ELc78ELc78ELc76ELb0ELb0E19rocblas_complex_numIfEPKS1_PKS3_PKPS1_EviT_T9_T10_S9_lSB_S9_lSA_T11_S9_li,comdat
	.globl	_ZL29rocblas_internal_gemmt_kernelIiLi16ELi32ELi8ELc78ELc78ELc76ELb0ELb0E19rocblas_complex_numIfEPKS1_PKS3_PKPS1_EviT_T9_T10_S9_lSB_S9_lSA_T11_S9_li ; -- Begin function _ZL29rocblas_internal_gemmt_kernelIiLi16ELi32ELi8ELc78ELc78ELc76ELb0ELb0E19rocblas_complex_numIfEPKS1_PKS3_PKPS1_EviT_T9_T10_S9_lSB_S9_lSA_T11_S9_li
	.p2align	8
	.type	_ZL29rocblas_internal_gemmt_kernelIiLi16ELi32ELi8ELc78ELc78ELc76ELb0ELb0E19rocblas_complex_numIfEPKS1_PKS3_PKPS1_EviT_T9_T10_S9_lSB_S9_lSA_T11_S9_li,@function
_ZL29rocblas_internal_gemmt_kernelIiLi16ELi32ELi8ELc78ELc78ELc76ELb0ELb0E19rocblas_complex_numIfEPKS1_PKS3_PKPS1_EviT_T9_T10_S9_lSB_S9_lSA_T11_S9_li: ; @_ZL29rocblas_internal_gemmt_kernelIiLi16ELi32ELi8ELc78ELc78ELc76ELb0ELb0E19rocblas_complex_numIfEPKS1_PKS3_PKPS1_EviT_T9_T10_S9_lSB_S9_lSA_T11_S9_li
; %bb.0:
	s_clause 0x1
	s_load_dwordx4 s[12:15], s[4:5], 0x38
	s_load_dwordx4 s[0:3], s[4:5], 0x8
	s_waitcnt lgkmcnt(0)
	s_load_dwordx2 s[10:11], s[14:15], 0x0
	s_load_dwordx2 s[20:21], s[4:5], 0x0
	s_load_dwordx2 s[14:15], s[0:1], 0x0
	s_waitcnt lgkmcnt(0)
	s_and_b32 s0, s11, 0x7fffffff
	v_cmp_eq_f32_e64 s1, s10, 1.0
	s_cmp_eq_u32 s0, 0
	s_mov_b32 s0, 0
	s_cselect_b32 s26, -1, 0
	s_and_b32 s1, s1, s26
	s_andn2_b32 vcc_lo, exec_lo, s1
	s_mov_b32 s1, -1
	s_cbranch_vccnz .LBB369_4
; %bb.1:
	s_cmp_lg_u32 s21, 0
	s_cbranch_scc0 .LBB369_3
; %bb.2:
	v_cmp_neq_f32_e64 s0, s14, 0
	v_cmp_neq_f32_e64 s1, s15, 0
	s_or_b32 s0, s0, s1
.LBB369_3:
	s_mov_b32 s1, s0
.LBB369_4:
	s_and_b32 vcc_lo, exec_lo, s1
	s_cbranch_vccz .LBB369_32
; %bb.5:
	s_load_dwordx2 s[0:1], s[4:5], 0x48
	s_mov_b32 s9, 0
	v_cmp_eq_f32_e64 s16, s14, 0
	s_lshl_b64 s[24:25], s[8:9], 3
	v_cmp_eq_f32_e64 s17, s15, 0
	v_mov_b32_e32 v20, 0
	v_mov_b32_e32 v21, 0
	;; [unrolled: 1-line block ×8, first 2 shown]
	s_waitcnt lgkmcnt(0)
	s_add_u32 s0, s0, s24
	s_addc_u32 s1, s1, s25
	s_lshl_b32 s8, s6, 5
	s_load_dwordx2 s[22:23], s[0:1], 0x0
	s_lshl_b32 s27, s7, 5
	s_and_b32 s0, s16, s17
	s_cmp_lt_i32 s21, 1
	s_cselect_b32 s1, -1, 0
	s_or_b32 s0, s0, s1
	s_and_b32 vcc_lo, exec_lo, s0
	s_cbranch_vccnz .LBB369_16
; %bb.6:
	s_clause 0x1
	s_load_dword s6, s[4:5], 0x18
	s_load_dwordx4 s[16:19], s[4:5], 0x20
	v_lshl_add_u32 v2, v1, 4, v0
	v_and_b32_e32 v8, 7, v0
	s_load_dword s1, s[4:5], 0x30
	v_lshlrev_b32_e32 v9, 3, v0
	v_lshl_add_u32 v13, v1, 6, 0x800
	v_lshrrev_b32_e32 v4, 3, v2
	v_lshlrev_b32_e32 v14, 3, v8
	v_and_b32_e32 v3, 31, v2
	v_lshrrev_b32_e32 v10, 5, v2
	v_mov_b32_e32 v17, 0
	v_add_nc_u32_e32 v7, s27, v4
	v_lshl_or_b32 v4, v4, 6, v14
	v_or_b32_e32 v5, s8, v3
	v_lshlrev_b32_e32 v6, 3, v3
	v_add_nc_u32_e32 v2, s8, v3
	v_cmp_gt_i32_e64 s0, s20, v7
	v_add_nc_u32_e32 v12, 0x800, v4
	v_cmp_gt_i32_e32 vcc_lo, s20, v5
	s_waitcnt lgkmcnt(0)
	v_mad_i64_i32 v[3:4], null, v10, s6, 0
	s_ashr_i32 s7, s6, 31
	s_add_u32 s18, s18, s24
	s_addc_u32 s19, s19, s25
	s_add_u32 s2, s2, s24
	s_addc_u32 s3, s3, s25
	s_load_dwordx2 s[18:19], s[18:19], 0x0
	s_load_dwordx2 s[2:3], s[2:3], 0x0
	v_lshl_or_b32 v11, v10, 8, v6
	v_lshlrev_b64 v[4:5], 3, v[3:4]
	v_mad_i64_i32 v[6:7], null, s1, v7, 0
	v_ashrrev_i32_e32 v3, 31, v2
	s_lshl_b64 s[16:17], s[16:17], 3
	s_lshl_b64 s[12:13], s[12:13], 3
	v_add_co_u32 v15, s1, v4, s16
	v_lshlrev_b64 v[2:3], 3, v[2:3]
	v_add_co_ci_u32_e64 v16, null, s17, v5, s1
	v_lshlrev_b64 v[4:5], 3, v[6:7]
	v_mov_b32_e32 v19, 0
	v_mov_b32_e32 v18, 0
	v_add_co_u32 v2, s1, v15, v2
	v_add_co_ci_u32_e64 v3, null, v16, v3, s1
	v_add_co_u32 v4, s1, v4, s12
	v_add_co_ci_u32_e64 v5, null, s13, v5, s1
	s_waitcnt lgkmcnt(0)
	v_add_co_u32 v2, s1, s2, v2
	v_add_co_ci_u32_e64 v3, null, s3, v3, s1
	v_add_co_u32 v6, s1, v4, v14
	v_add_co_ci_u32_e64 v5, null, 0, v5, s1
	v_mov_b32_e32 v4, 0
	v_add_co_u32 v6, s1, s18, v6
	v_add_co_ci_u32_e64 v7, null, s19, v5, s1
	v_mov_b32_e32 v15, 0
	v_mov_b32_e32 v14, 0
	;; [unrolled: 1-line block ×5, first 2 shown]
	s_lshl_b64 s[2:3], s[6:7], 6
	s_xor_b32 s1, vcc_lo, -1
	s_xor_b32 s0, s0, -1
	s_branch .LBB369_8
.LBB369_7:                              ;   in Loop: Header=BB369_8 Depth=1
	s_or_b32 exec_lo, exec_lo, s6
	s_waitcnt lgkmcnt(0)
	s_barrier
	buffer_gl0_inv
	ds_read_b128 v[22:25], v13
	ds_read2_b64 v[26:29], v9 offset1:16
	ds_read_b128 v[30:33], v13 offset:1024
	ds_read_b128 v[34:37], v13 offset:16
	;; [unrolled: 1-line block ×4, first 2 shown]
	ds_read2_b64 v[46:49], v9 offset0:32 offset1:48
	ds_read_b128 v[50:53], v13 offset:1040
	v_add_co_u32 v2, vcc_lo, v2, s2
	v_add_co_ci_u32_e64 v3, null, s3, v3, vcc_lo
	v_add_co_u32 v6, vcc_lo, v6, 64
	v_add_co_ci_u32_e64 v7, null, 0, v7, vcc_lo
	s_add_i32 s9, s9, 8
	s_cmp_lt_i32 s9, s21
	s_waitcnt lgkmcnt(6)
	v_mul_f32_e32 v5, v23, v27
	v_mul_f32_e32 v54, v22, v27
	;; [unrolled: 1-line block ×4, first 2 shown]
	s_waitcnt lgkmcnt(5)
	v_mul_f32_e32 v57, v31, v27
	v_mul_f32_e32 v27, v30, v27
	;; [unrolled: 1-line block ×3, first 2 shown]
	v_fma_f32 v5, v22, v26, -v5
	v_fmac_f32_e32 v54, v23, v26
	v_fma_f32 v22, v22, v28, -v55
	v_fmac_f32_e32 v56, v23, v28
	;; [unrolled: 2-line block ×3, first 2 shown]
	v_mul_f32_e32 v29, v30, v29
	v_fma_f32 v26, v30, v28, -v58
	v_add_f32_e32 v5, v20, v5
	v_add_f32_e32 v20, v21, v54
	;; [unrolled: 1-line block ×6, first 2 shown]
	s_waitcnt lgkmcnt(1)
	v_mul_f32_e32 v30, v25, v47
	ds_read2_b64 v[16:19], v9 offset0:64 offset1:80
	v_fmac_f32_e32 v29, v31, v28
	v_add_f32_e32 v14, v14, v26
	v_mul_f32_e32 v26, v24, v47
	v_fma_f32 v28, v24, v46, -v30
	v_mul_f32_e32 v30, v25, v49
	v_add_f32_e32 v15, v15, v29
	v_mul_f32_e32 v29, v24, v49
	v_fmac_f32_e32 v26, v25, v46
	v_add_f32_e32 v5, v5, v28
	v_fma_f32 v24, v24, v48, -v30
	v_mul_f32_e32 v28, v33, v47
	v_fmac_f32_e32 v29, v25, v48
	v_add_f32_e32 v26, v20, v26
	v_mul_f32_e32 v20, v32, v47
	v_add_f32_e32 v24, v21, v24
	v_fma_f32 v21, v32, v46, -v28
	v_mul_f32_e32 v25, v33, v49
	v_add_f32_e32 v28, v22, v29
	v_fmac_f32_e32 v20, v33, v46
	v_mul_f32_e32 v29, v32, v49
	v_add_f32_e32 v30, v23, v21
	v_fma_f32 v21, v32, v48, -v25
	s_waitcnt lgkmcnt(0)
	v_mul_f32_e32 v22, v35, v17
	v_add_f32_e32 v25, v27, v20
	v_fmac_f32_e32 v29, v33, v48
	v_mul_f32_e32 v27, v34, v17
	v_add_f32_e32 v14, v14, v21
	v_fma_f32 v31, v34, v16, -v22
	v_mul_f32_e32 v32, v35, v19
	ds_read2_b64 v[20:23], v9 offset0:96 offset1:112
	v_fmac_f32_e32 v27, v35, v16
	v_add_f32_e32 v29, v15, v29
	v_add_f32_e32 v5, v5, v31
	v_mul_f32_e32 v15, v34, v19
	v_fma_f32 v31, v34, v18, -v32
	v_add_f32_e32 v26, v26, v27
	v_mul_f32_e32 v27, v51, v17
	v_mul_f32_e32 v17, v50, v17
	v_fmac_f32_e32 v15, v35, v18
	v_add_f32_e32 v24, v24, v31
	v_mul_f32_e32 v31, v51, v19
	v_mul_f32_e32 v19, v50, v19
	v_fmac_f32_e32 v17, v51, v16
	v_add_f32_e32 v28, v28, v15
	v_fma_f32 v27, v50, v16, -v27
	v_fma_f32 v15, v50, v18, -v31
	v_fmac_f32_e32 v19, v51, v18
	v_add_f32_e32 v31, v25, v17
	s_waitcnt lgkmcnt(0)
	v_mul_f32_e32 v18, v37, v21
	v_add_f32_e32 v32, v14, v15
	ds_read2_b64 v[14:17], v9 offset0:128 offset1:144
	v_add_f32_e32 v30, v30, v27
	v_mul_f32_e32 v25, v36, v21
	v_fma_f32 v18, v36, v20, -v18
	v_mul_f32_e32 v27, v37, v23
	v_add_f32_e32 v29, v29, v19
	v_mul_f32_e32 v19, v36, v23
	v_fmac_f32_e32 v25, v37, v20
	v_add_f32_e32 v5, v5, v18
	v_mul_f32_e32 v18, v53, v21
	v_fma_f32 v27, v36, v22, -v27
	v_fmac_f32_e32 v19, v37, v22
	v_mul_f32_e32 v21, v52, v21
	v_mul_f32_e32 v35, v53, v23
	v_fma_f32 v18, v52, v20, -v18
	v_add_f32_e32 v33, v26, v25
	v_add_f32_e32 v34, v24, v27
	ds_read_b128 v[24:27], v13 offset:1056
	v_add_f32_e32 v36, v28, v19
	v_fmac_f32_e32 v21, v53, v20
	v_mul_f32_e32 v23, v52, v23
	v_fma_f32 v19, v52, v22, -v35
	v_add_f32_e32 v35, v30, v18
	s_waitcnt lgkmcnt(1)
	v_mul_f32_e32 v18, v39, v15
	v_add_f32_e32 v37, v31, v21
	v_fmac_f32_e32 v23, v53, v22
	v_add_f32_e32 v22, v32, v19
	v_mul_f32_e32 v32, v38, v15
	v_fma_f32 v28, v38, v14, -v18
	ds_read2_b64 v[18:21], v9 offset0:160 offset1:176
	v_mul_f32_e32 v30, v39, v17
	v_mul_f32_e32 v46, v38, v17
	v_fmac_f32_e32 v32, v39, v14
	v_add_f32_e32 v23, v29, v23
	v_add_f32_e32 v5, v5, v28
	v_fma_f32 v38, v38, v16, -v30
	ds_read_b128 v[28:31], v13 offset:1072
	s_waitcnt lgkmcnt(2)
	v_mul_f32_e32 v47, v25, v15
	v_add_f32_e32 v32, v33, v32
	v_mul_f32_e32 v15, v24, v15
	v_add_f32_e32 v33, v34, v38
	v_mul_f32_e32 v38, v25, v17
	v_fmac_f32_e32 v46, v39, v16
	v_fma_f32 v34, v24, v14, -v47
	v_fmac_f32_e32 v15, v25, v14
	v_mul_f32_e32 v39, v24, v17
	v_fma_f32 v14, v24, v16, -v38
	v_add_f32_e32 v36, v36, v46
	v_add_f32_e32 v34, v35, v34
	s_waitcnt lgkmcnt(1)
	v_mul_f32_e32 v17, v41, v19
	v_add_f32_e32 v24, v37, v15
	v_fmac_f32_e32 v39, v25, v16
	v_mul_f32_e32 v25, v40, v19
	v_add_f32_e32 v22, v22, v14
	v_fma_f32 v35, v40, v18, -v17
	ds_read2_b64 v[14:17], v9 offset0:192 offset1:208
	v_mul_f32_e32 v37, v41, v21
	v_fmac_f32_e32 v25, v41, v18
	v_add_f32_e32 v38, v23, v39
	v_add_f32_e32 v5, v5, v35
	v_mul_f32_e32 v23, v40, v21
	v_fma_f32 v35, v40, v20, -v37
	v_add_f32_e32 v32, v32, v25
	v_mul_f32_e32 v25, v27, v19
	v_mul_f32_e32 v19, v26, v19
	v_fmac_f32_e32 v23, v41, v20
	v_add_f32_e32 v33, v33, v35
	v_mul_f32_e32 v35, v27, v21
	v_fma_f32 v25, v26, v18, -v25
	v_fmac_f32_e32 v19, v27, v18
	v_add_f32_e32 v18, v36, v23
	v_mul_f32_e32 v21, v26, v21
	v_fma_f32 v23, v26, v20, -v35
	v_add_f32_e32 v26, v34, v25
	v_add_f32_e32 v19, v24, v19
	s_waitcnt lgkmcnt(0)
	v_mul_f32_e32 v34, v43, v15
	v_fmac_f32_e32 v21, v27, v20
	v_add_f32_e32 v20, v22, v23
	ds_read2_b64 v[22:25], v9 offset0:224 offset1:240
	v_mul_f32_e32 v27, v42, v15
	v_fma_f32 v34, v42, v14, -v34
	v_mul_f32_e32 v35, v43, v17
	v_mul_f32_e32 v36, v42, v17
	v_add_f32_e32 v21, v38, v21
	v_fmac_f32_e32 v27, v43, v14
	v_add_f32_e32 v5, v5, v34
	v_mul_f32_e32 v34, v29, v15
	v_fma_f32 v35, v42, v16, -v35
	v_fmac_f32_e32 v36, v43, v16
	v_add_f32_e32 v27, v32, v27
	v_mul_f32_e32 v15, v28, v15
	v_fma_f32 v32, v28, v14, -v34
	v_mul_f32_e32 v34, v29, v17
	v_add_f32_e32 v33, v33, v35
	v_add_f32_e32 v35, v18, v36
	v_fmac_f32_e32 v15, v29, v14
	v_add_f32_e32 v14, v26, v32
	v_mul_f32_e32 v17, v28, v17
	v_fma_f32 v18, v28, v16, -v34
	s_waitcnt lgkmcnt(0)
	v_mul_f32_e32 v26, v45, v23
	v_mul_f32_e32 v28, v44, v23
	v_add_f32_e32 v15, v19, v15
	v_fmac_f32_e32 v17, v29, v16
	v_add_f32_e32 v29, v20, v18
	v_fma_f32 v16, v44, v22, -v26
	v_mul_f32_e32 v18, v45, v25
	v_mul_f32_e32 v19, v44, v25
	v_add_f32_e32 v26, v21, v17
	v_mul_f32_e32 v17, v30, v23
	v_add_f32_e32 v20, v5, v16
	v_fma_f32 v5, v44, v24, -v18
	v_mul_f32_e32 v16, v31, v23
	v_mul_f32_e32 v23, v31, v25
	;; [unrolled: 1-line block ×3, first 2 shown]
	v_fmac_f32_e32 v28, v45, v22
	v_fmac_f32_e32 v19, v45, v24
	v_add_f32_e32 v18, v33, v5
	v_fma_f32 v5, v30, v22, -v16
	v_fmac_f32_e32 v17, v31, v22
	v_fma_f32 v22, v30, v24, -v23
	v_fmac_f32_e32 v25, v31, v24
	v_add_f32_e32 v21, v27, v28
	v_add_f32_e32 v19, v35, v19
	;; [unrolled: 1-line block ×6, first 2 shown]
	s_barrier
	buffer_gl0_inv
	s_cbranch_scc0 .LBB369_16
.LBB369_8:                              ; =>This Inner Loop Header: Depth=1
	v_add_nc_u32_e32 v5, s9, v10
	v_cmp_le_i32_e32 vcc_lo, s21, v5
	s_or_b32 s6, s1, vcc_lo
	s_and_saveexec_b32 s7, s6
	s_xor_b32 s6, exec_lo, s7
; %bb.9:                                ;   in Loop: Header=BB369_8 Depth=1
	v_mov_b32_e32 v5, v4
	ds_write_b64 v11, v[4:5]
; %bb.10:                               ;   in Loop: Header=BB369_8 Depth=1
	s_andn2_saveexec_b32 s6, s6
	s_cbranch_execz .LBB369_12
; %bb.11:                               ;   in Loop: Header=BB369_8 Depth=1
	flat_load_dwordx2 v[22:23], v[2:3]
	s_waitcnt vmcnt(0) lgkmcnt(0)
	ds_write_b64 v11, v[22:23]
.LBB369_12:                             ;   in Loop: Header=BB369_8 Depth=1
	s_or_b32 exec_lo, exec_lo, s6
	v_add_nc_u32_e32 v5, s9, v8
	v_cmp_le_i32_e32 vcc_lo, s21, v5
	s_or_b32 s6, vcc_lo, s0
	s_and_saveexec_b32 s7, s6
	s_xor_b32 s6, exec_lo, s7
; %bb.13:                               ;   in Loop: Header=BB369_8 Depth=1
	v_mov_b32_e32 v5, v4
	ds_write_b64 v12, v[4:5]
; %bb.14:                               ;   in Loop: Header=BB369_8 Depth=1
	s_andn2_saveexec_b32 s6, s6
	s_cbranch_execz .LBB369_7
; %bb.15:                               ;   in Loop: Header=BB369_8 Depth=1
	flat_load_dwordx2 v[22:23], v[6:7]
	s_waitcnt vmcnt(0) lgkmcnt(0)
	ds_write_b64 v12, v[22:23]
	s_branch .LBB369_7
.LBB369_16:
	s_clause 0x1
	s_load_dword s3, s[4:5], 0x50
	s_load_dwordx2 s[4:5], s[4:5], 0x58
	v_add_nc_u32_e32 v9, s27, v1
	v_add_nc_u32_e32 v0, s8, v0
	v_cmp_neq_f32_e64 s2, s10, 0
	v_cmp_le_i32_e32 vcc_lo, v9, v0
	v_cmp_gt_i32_e64 s0, s20, v0
	s_waitcnt lgkmcnt(0)
	v_mad_i64_i32 v[1:2], null, v9, s3, 0
	s_lshl_b64 s[4:5], s[4:5], 3
	s_add_u32 s4, s22, s4
	s_addc_u32 s5, s23, s5
	s_xor_b32 s6, s26, -1
	s_or_b32 s2, s2, s6
	v_lshlrev_b64 v[2:3], 3, v[1:2]
	v_ashrrev_i32_e32 v1, 31, v0
	v_cndmask_b32_e64 v8, 0, 1, s2
	s_and_b32 s6, vcc_lo, s0
	v_add_co_u32 v6, s1, s4, v2
	v_add_co_ci_u32_e64 v7, null, s5, v3, s1
	s_and_saveexec_b32 s1, s6
	s_cbranch_execz .LBB369_20
; %bb.17:
	v_lshlrev_b64 v[4:5], 3, v[0:1]
	v_mul_f32_e32 v2, s15, v21
	v_mul_f32_e32 v3, s14, v21
	v_fma_f32 v2, v20, s14, -v2
	v_add_co_u32 v4, vcc_lo, v6, v4
	v_fmac_f32_e32 v3, s15, v20
	v_add_co_ci_u32_e64 v5, null, v7, v5, vcc_lo
	s_andn2_b32 vcc_lo, exec_lo, s2
	s_cbranch_vccnz .LBB369_19
; %bb.18:
	flat_load_dwordx2 v[10:11], v[4:5]
	s_waitcnt vmcnt(0) lgkmcnt(0)
	v_mul_f32_e32 v12, s11, v11
	v_mul_f32_e32 v11, s10, v11
	v_fma_f32 v12, v10, s10, -v12
	v_fmac_f32_e32 v11, s11, v10
	v_add_f32_e32 v2, v2, v12
	v_add_f32_e32 v3, v3, v11
.LBB369_19:
	flat_store_dwordx2 v[4:5], v[2:3]
.LBB369_20:
	s_or_b32 exec_lo, exec_lo, s1
	v_add_nc_u32_e32 v2, 16, v0
	v_cmp_le_i32_e32 vcc_lo, v9, v2
	v_cmp_gt_i32_e64 s1, s20, v2
	v_ashrrev_i32_e32 v3, 31, v2
	s_and_b32 s2, vcc_lo, s1
	s_and_saveexec_b32 s6, s2
	s_cbranch_execz .LBB369_24
; %bb.21:
	v_lshlrev_b64 v[10:11], 3, v[2:3]
	v_mul_f32_e32 v4, s15, v19
	v_mul_f32_e32 v5, s14, v19
	v_cmp_ne_u32_e32 vcc_lo, 1, v8
	v_fma_f32 v4, v18, s14, -v4
	v_add_co_u32 v6, s2, v6, v10
	v_fmac_f32_e32 v5, s15, v18
	v_add_co_ci_u32_e64 v7, null, v7, v11, s2
	s_cbranch_vccnz .LBB369_23
; %bb.22:
	flat_load_dwordx2 v[10:11], v[6:7]
	s_waitcnt vmcnt(0) lgkmcnt(0)
	v_mul_f32_e32 v12, s11, v11
	v_mul_f32_e32 v11, s10, v11
	v_fma_f32 v12, v10, s10, -v12
	v_fmac_f32_e32 v11, s11, v10
	v_add_f32_e32 v4, v4, v12
	v_add_f32_e32 v5, v5, v11
.LBB369_23:
	flat_store_dwordx2 v[6:7], v[4:5]
.LBB369_24:
	s_or_b32 exec_lo, exec_lo, s6
	v_add_nc_u32_e32 v9, 16, v9
	v_mad_i64_i32 v[4:5], null, v9, s3, 0
	v_cmp_le_i32_e32 vcc_lo, v9, v0
	s_and_b32 s0, vcc_lo, s0
	v_lshlrev_b64 v[4:5], 3, v[4:5]
	v_add_co_u32 v6, s2, s4, v4
	v_add_co_ci_u32_e64 v7, null, s5, v5, s2
	s_and_saveexec_b32 s2, s0
	s_cbranch_execz .LBB369_28
; %bb.25:
	v_lshlrev_b64 v[0:1], 3, v[0:1]
	v_mul_f32_e32 v4, s15, v17
	v_mul_f32_e32 v5, s14, v17
	v_cmp_ne_u32_e32 vcc_lo, 1, v8
	v_fma_f32 v4, v16, s14, -v4
	v_add_co_u32 v0, s0, v6, v0
	v_fmac_f32_e32 v5, s15, v16
	v_add_co_ci_u32_e64 v1, null, v7, v1, s0
	s_cbranch_vccnz .LBB369_27
; %bb.26:
	flat_load_dwordx2 v[10:11], v[0:1]
	s_waitcnt vmcnt(0) lgkmcnt(0)
	v_mul_f32_e32 v12, s11, v11
	v_mul_f32_e32 v11, s10, v11
	v_fma_f32 v12, v10, s10, -v12
	v_fmac_f32_e32 v11, s11, v10
	v_add_f32_e32 v4, v4, v12
	v_add_f32_e32 v5, v5, v11
.LBB369_27:
	flat_store_dwordx2 v[0:1], v[4:5]
.LBB369_28:
	s_or_b32 exec_lo, exec_lo, s2
	v_cmp_le_i32_e32 vcc_lo, v9, v2
	s_and_b32 s0, vcc_lo, s1
	s_and_saveexec_b32 s1, s0
	s_cbranch_execz .LBB369_32
; %bb.29:
	v_lshlrev_b64 v[2:3], 3, v[2:3]
	v_mul_f32_e32 v0, s15, v15
	v_mul_f32_e32 v1, s14, v15
	v_cmp_ne_u32_e32 vcc_lo, 1, v8
	v_fma_f32 v0, v14, s14, -v0
	v_add_co_u32 v2, s0, v6, v2
	v_fmac_f32_e32 v1, s15, v14
	v_add_co_ci_u32_e64 v3, null, v7, v3, s0
	s_cbranch_vccnz .LBB369_31
; %bb.30:
	flat_load_dwordx2 v[4:5], v[2:3]
	s_waitcnt vmcnt(0) lgkmcnt(0)
	v_mul_f32_e32 v6, s11, v5
	v_mul_f32_e32 v5, s10, v5
	v_fma_f32 v6, v4, s10, -v6
	v_fmac_f32_e32 v5, s11, v4
	v_add_f32_e32 v0, v0, v6
	v_add_f32_e32 v1, v1, v5
.LBB369_31:
	flat_store_dwordx2 v[2:3], v[0:1]
.LBB369_32:
	s_endpgm
	.section	.rodata,"a",@progbits
	.p2align	6, 0x0
	.amdhsa_kernel _ZL29rocblas_internal_gemmt_kernelIiLi16ELi32ELi8ELc78ELc78ELc76ELb0ELb0E19rocblas_complex_numIfEPKS1_PKS3_PKPS1_EviT_T9_T10_S9_lSB_S9_lSA_T11_S9_li
		.amdhsa_group_segment_fixed_size 4096
		.amdhsa_private_segment_fixed_size 0
		.amdhsa_kernarg_size 100
		.amdhsa_user_sgpr_count 6
		.amdhsa_user_sgpr_private_segment_buffer 1
		.amdhsa_user_sgpr_dispatch_ptr 0
		.amdhsa_user_sgpr_queue_ptr 0
		.amdhsa_user_sgpr_kernarg_segment_ptr 1
		.amdhsa_user_sgpr_dispatch_id 0
		.amdhsa_user_sgpr_flat_scratch_init 0
		.amdhsa_user_sgpr_private_segment_size 0
		.amdhsa_wavefront_size32 1
		.amdhsa_uses_dynamic_stack 0
		.amdhsa_system_sgpr_private_segment_wavefront_offset 0
		.amdhsa_system_sgpr_workgroup_id_x 1
		.amdhsa_system_sgpr_workgroup_id_y 1
		.amdhsa_system_sgpr_workgroup_id_z 1
		.amdhsa_system_sgpr_workgroup_info 0
		.amdhsa_system_vgpr_workitem_id 1
		.amdhsa_next_free_vgpr 59
		.amdhsa_next_free_sgpr 28
		.amdhsa_reserve_vcc 1
		.amdhsa_reserve_flat_scratch 0
		.amdhsa_float_round_mode_32 0
		.amdhsa_float_round_mode_16_64 0
		.amdhsa_float_denorm_mode_32 3
		.amdhsa_float_denorm_mode_16_64 3
		.amdhsa_dx10_clamp 1
		.amdhsa_ieee_mode 1
		.amdhsa_fp16_overflow 0
		.amdhsa_workgroup_processor_mode 1
		.amdhsa_memory_ordered 1
		.amdhsa_forward_progress 1
		.amdhsa_shared_vgpr_count 0
		.amdhsa_exception_fp_ieee_invalid_op 0
		.amdhsa_exception_fp_denorm_src 0
		.amdhsa_exception_fp_ieee_div_zero 0
		.amdhsa_exception_fp_ieee_overflow 0
		.amdhsa_exception_fp_ieee_underflow 0
		.amdhsa_exception_fp_ieee_inexact 0
		.amdhsa_exception_int_div_zero 0
	.end_amdhsa_kernel
	.section	.text._ZL29rocblas_internal_gemmt_kernelIiLi16ELi32ELi8ELc78ELc78ELc76ELb0ELb0E19rocblas_complex_numIfEPKS1_PKS3_PKPS1_EviT_T9_T10_S9_lSB_S9_lSA_T11_S9_li,"axG",@progbits,_ZL29rocblas_internal_gemmt_kernelIiLi16ELi32ELi8ELc78ELc78ELc76ELb0ELb0E19rocblas_complex_numIfEPKS1_PKS3_PKPS1_EviT_T9_T10_S9_lSB_S9_lSA_T11_S9_li,comdat
.Lfunc_end369:
	.size	_ZL29rocblas_internal_gemmt_kernelIiLi16ELi32ELi8ELc78ELc78ELc76ELb0ELb0E19rocblas_complex_numIfEPKS1_PKS3_PKPS1_EviT_T9_T10_S9_lSB_S9_lSA_T11_S9_li, .Lfunc_end369-_ZL29rocblas_internal_gemmt_kernelIiLi16ELi32ELi8ELc78ELc78ELc76ELb0ELb0E19rocblas_complex_numIfEPKS1_PKS3_PKPS1_EviT_T9_T10_S9_lSB_S9_lSA_T11_S9_li
                                        ; -- End function
	.set _ZL29rocblas_internal_gemmt_kernelIiLi16ELi32ELi8ELc78ELc78ELc76ELb0ELb0E19rocblas_complex_numIfEPKS1_PKS3_PKPS1_EviT_T9_T10_S9_lSB_S9_lSA_T11_S9_li.num_vgpr, 59
	.set _ZL29rocblas_internal_gemmt_kernelIiLi16ELi32ELi8ELc78ELc78ELc76ELb0ELb0E19rocblas_complex_numIfEPKS1_PKS3_PKPS1_EviT_T9_T10_S9_lSB_S9_lSA_T11_S9_li.num_agpr, 0
	.set _ZL29rocblas_internal_gemmt_kernelIiLi16ELi32ELi8ELc78ELc78ELc76ELb0ELb0E19rocblas_complex_numIfEPKS1_PKS3_PKPS1_EviT_T9_T10_S9_lSB_S9_lSA_T11_S9_li.numbered_sgpr, 28
	.set _ZL29rocblas_internal_gemmt_kernelIiLi16ELi32ELi8ELc78ELc78ELc76ELb0ELb0E19rocblas_complex_numIfEPKS1_PKS3_PKPS1_EviT_T9_T10_S9_lSB_S9_lSA_T11_S9_li.num_named_barrier, 0
	.set _ZL29rocblas_internal_gemmt_kernelIiLi16ELi32ELi8ELc78ELc78ELc76ELb0ELb0E19rocblas_complex_numIfEPKS1_PKS3_PKPS1_EviT_T9_T10_S9_lSB_S9_lSA_T11_S9_li.private_seg_size, 0
	.set _ZL29rocblas_internal_gemmt_kernelIiLi16ELi32ELi8ELc78ELc78ELc76ELb0ELb0E19rocblas_complex_numIfEPKS1_PKS3_PKPS1_EviT_T9_T10_S9_lSB_S9_lSA_T11_S9_li.uses_vcc, 1
	.set _ZL29rocblas_internal_gemmt_kernelIiLi16ELi32ELi8ELc78ELc78ELc76ELb0ELb0E19rocblas_complex_numIfEPKS1_PKS3_PKPS1_EviT_T9_T10_S9_lSB_S9_lSA_T11_S9_li.uses_flat_scratch, 0
	.set _ZL29rocblas_internal_gemmt_kernelIiLi16ELi32ELi8ELc78ELc78ELc76ELb0ELb0E19rocblas_complex_numIfEPKS1_PKS3_PKPS1_EviT_T9_T10_S9_lSB_S9_lSA_T11_S9_li.has_dyn_sized_stack, 0
	.set _ZL29rocblas_internal_gemmt_kernelIiLi16ELi32ELi8ELc78ELc78ELc76ELb0ELb0E19rocblas_complex_numIfEPKS1_PKS3_PKPS1_EviT_T9_T10_S9_lSB_S9_lSA_T11_S9_li.has_recursion, 0
	.set _ZL29rocblas_internal_gemmt_kernelIiLi16ELi32ELi8ELc78ELc78ELc76ELb0ELb0E19rocblas_complex_numIfEPKS1_PKS3_PKPS1_EviT_T9_T10_S9_lSB_S9_lSA_T11_S9_li.has_indirect_call, 0
	.section	.AMDGPU.csdata,"",@progbits
; Kernel info:
; codeLenInByte = 2532
; TotalNumSgprs: 30
; NumVgprs: 59
; ScratchSize: 0
; MemoryBound: 1
; FloatMode: 240
; IeeeMode: 1
; LDSByteSize: 4096 bytes/workgroup (compile time only)
; SGPRBlocks: 0
; VGPRBlocks: 7
; NumSGPRsForWavesPerEU: 30
; NumVGPRsForWavesPerEU: 59
; Occupancy: 16
; WaveLimiterHint : 1
; COMPUTE_PGM_RSRC2:SCRATCH_EN: 0
; COMPUTE_PGM_RSRC2:USER_SGPR: 6
; COMPUTE_PGM_RSRC2:TRAP_HANDLER: 0
; COMPUTE_PGM_RSRC2:TGID_X_EN: 1
; COMPUTE_PGM_RSRC2:TGID_Y_EN: 1
; COMPUTE_PGM_RSRC2:TGID_Z_EN: 1
; COMPUTE_PGM_RSRC2:TIDIG_COMP_CNT: 1
	.section	.text._ZL29rocblas_internal_gemmt_kernelIiLi16ELi32ELi8ELc78ELc84ELc76ELb0ELb0E19rocblas_complex_numIfEPKS1_PKS3_PKPS1_EviT_T9_T10_S9_lSB_S9_lSA_T11_S9_li,"axG",@progbits,_ZL29rocblas_internal_gemmt_kernelIiLi16ELi32ELi8ELc78ELc84ELc76ELb0ELb0E19rocblas_complex_numIfEPKS1_PKS3_PKPS1_EviT_T9_T10_S9_lSB_S9_lSA_T11_S9_li,comdat
	.globl	_ZL29rocblas_internal_gemmt_kernelIiLi16ELi32ELi8ELc78ELc84ELc76ELb0ELb0E19rocblas_complex_numIfEPKS1_PKS3_PKPS1_EviT_T9_T10_S9_lSB_S9_lSA_T11_S9_li ; -- Begin function _ZL29rocblas_internal_gemmt_kernelIiLi16ELi32ELi8ELc78ELc84ELc76ELb0ELb0E19rocblas_complex_numIfEPKS1_PKS3_PKPS1_EviT_T9_T10_S9_lSB_S9_lSA_T11_S9_li
	.p2align	8
	.type	_ZL29rocblas_internal_gemmt_kernelIiLi16ELi32ELi8ELc78ELc84ELc76ELb0ELb0E19rocblas_complex_numIfEPKS1_PKS3_PKPS1_EviT_T9_T10_S9_lSB_S9_lSA_T11_S9_li,@function
_ZL29rocblas_internal_gemmt_kernelIiLi16ELi32ELi8ELc78ELc84ELc76ELb0ELb0E19rocblas_complex_numIfEPKS1_PKS3_PKPS1_EviT_T9_T10_S9_lSB_S9_lSA_T11_S9_li: ; @_ZL29rocblas_internal_gemmt_kernelIiLi16ELi32ELi8ELc78ELc84ELc76ELb0ELb0E19rocblas_complex_numIfEPKS1_PKS3_PKPS1_EviT_T9_T10_S9_lSB_S9_lSA_T11_S9_li
; %bb.0:
	s_clause 0x1
	s_load_dwordx4 s[12:15], s[4:5], 0x38
	s_load_dwordx4 s[0:3], s[4:5], 0x8
	s_waitcnt lgkmcnt(0)
	s_load_dwordx2 s[10:11], s[14:15], 0x0
	s_load_dwordx2 s[20:21], s[4:5], 0x0
	s_load_dwordx2 s[14:15], s[0:1], 0x0
	s_waitcnt lgkmcnt(0)
	s_and_b32 s0, s11, 0x7fffffff
	v_cmp_eq_f32_e64 s1, s10, 1.0
	s_cmp_eq_u32 s0, 0
	s_mov_b32 s0, 0
	s_cselect_b32 s28, -1, 0
	s_and_b32 s1, s1, s28
	s_andn2_b32 vcc_lo, exec_lo, s1
	s_mov_b32 s1, -1
	s_cbranch_vccnz .LBB370_4
; %bb.1:
	s_cmp_lg_u32 s21, 0
	s_cbranch_scc0 .LBB370_3
; %bb.2:
	v_cmp_neq_f32_e64 s0, s14, 0
	v_cmp_neq_f32_e64 s1, s15, 0
	s_or_b32 s0, s0, s1
.LBB370_3:
	s_mov_b32 s1, s0
.LBB370_4:
	s_and_b32 vcc_lo, exec_lo, s1
	s_cbranch_vccz .LBB370_32
; %bb.5:
	s_load_dwordx2 s[0:1], s[4:5], 0x48
	s_mov_b32 s9, 0
	v_cmp_eq_f32_e64 s16, s14, 0
	s_lshl_b64 s[26:27], s[8:9], 3
	v_cmp_eq_f32_e64 s17, s15, 0
	v_mov_b32_e32 v20, 0
	v_mov_b32_e32 v21, 0
	;; [unrolled: 1-line block ×8, first 2 shown]
	s_waitcnt lgkmcnt(0)
	s_add_u32 s0, s0, s26
	s_addc_u32 s1, s1, s27
	s_lshl_b32 s8, s6, 5
	s_load_dwordx2 s[22:23], s[0:1], 0x0
	s_lshl_b32 s29, s7, 5
	s_and_b32 s0, s16, s17
	s_cmp_lt_i32 s21, 1
	s_cselect_b32 s1, -1, 0
	s_or_b32 s0, s0, s1
	s_and_b32 vcc_lo, exec_lo, s0
	s_cbranch_vccnz .LBB370_16
; %bb.6:
	s_clause 0x2
	s_load_dword s24, s[4:5], 0x18
	s_load_dword s6, s[4:5], 0x30
	s_load_dwordx4 s[16:19], s[4:5], 0x20
	v_lshl_add_u32 v2, v1, 4, v0
	v_and_b32_e32 v8, 7, v0
	v_lshlrev_b32_e32 v12, 3, v0
	v_lshl_add_u32 v13, v1, 6, 0x800
	v_mov_b32_e32 v19, 0
	v_and_b32_e32 v3, 31, v2
	v_lshrrev_b32_e32 v4, 3, v2
	v_lshlrev_b32_e32 v5, 3, v8
	v_lshrrev_b32_e32 v9, 5, v2
	v_mov_b32_e32 v18, 0
	v_or_b32_e32 v6, s8, v3
	v_lshlrev_b32_e32 v7, 3, v3
	v_lshl_or_b32 v11, v4, 6, v5
	v_add_nc_u32_e32 v2, s29, v4
	v_add_nc_u32_e32 v4, s8, v3
	v_cmp_gt_i32_e32 vcc_lo, s20, v6
	v_lshl_or_b32 v10, v9, 8, v7
	s_waitcnt lgkmcnt(0)
	s_ashr_i32 s25, s24, 31
	s_ashr_i32 s7, s6, 31
	v_mad_i64_i32 v[5:6], null, v9, s24, 0
	s_add_u32 s18, s18, s26
	s_addc_u32 s19, s19, s27
	s_add_u32 s2, s2, s26
	s_addc_u32 s3, s3, s27
	s_load_dwordx2 s[18:19], s[18:19], 0x0
	s_load_dwordx2 s[2:3], s[2:3], 0x0
	v_mad_i64_i32 v[14:15], null, s6, v8, 0
	v_lshlrev_b64 v[6:7], 3, v[5:6]
	v_ashrrev_i32_e32 v5, 31, v4
	s_lshl_b64 s[16:17], s[16:17], 3
	v_ashrrev_i32_e32 v3, 31, v2
	s_lshl_b64 s[12:13], s[12:13], 3
	v_cmp_gt_i32_e64 s0, s20, v2
	v_lshlrev_b64 v[4:5], 3, v[4:5]
	v_add_co_u32 v16, s1, v6, s16
	v_add_co_ci_u32_e64 v17, null, s17, v7, s1
	v_lshlrev_b64 v[6:7], 3, v[14:15]
	v_add_co_u32 v14, s1, v16, v4
	v_add_co_ci_u32_e64 v15, null, v17, v5, s1
	;; [unrolled: 3-line block ×3, first 2 shown]
	s_waitcnt lgkmcnt(0)
	v_add_co_u32 v2, s1, s2, v14
	v_add_co_ci_u32_e64 v3, null, s3, v15, s1
	v_add_co_u32 v4, s1, v6, v4
	v_add_co_ci_u32_e64 v5, null, v7, v5, s1
	v_add_nc_u32_e32 v11, 0x800, v11
	v_add_co_u32 v4, s1, s18, v4
	v_add_co_ci_u32_e64 v5, null, s19, v5, s1
	v_mov_b32_e32 v6, 0
	v_mov_b32_e32 v15, 0
	;; [unrolled: 1-line block ×7, first 2 shown]
	s_lshl_b64 s[2:3], s[24:25], 6
	s_lshl_b64 s[6:7], s[6:7], 6
	s_xor_b32 s1, vcc_lo, -1
	s_xor_b32 s0, s0, -1
	s_branch .LBB370_8
.LBB370_7:                              ;   in Loop: Header=BB370_8 Depth=1
	s_or_b32 exec_lo, exec_lo, s12
	s_waitcnt lgkmcnt(0)
	s_barrier
	buffer_gl0_inv
	ds_read_b128 v[22:25], v13
	ds_read2_b64 v[26:29], v12 offset1:16
	ds_read_b128 v[30:33], v13 offset:1024
	ds_read_b128 v[34:37], v13 offset:16
	;; [unrolled: 1-line block ×4, first 2 shown]
	ds_read2_b64 v[46:49], v12 offset0:32 offset1:48
	ds_read_b128 v[50:53], v13 offset:1040
	v_add_co_u32 v2, vcc_lo, v2, s2
	v_add_co_ci_u32_e64 v3, null, s3, v3, vcc_lo
	v_add_co_u32 v4, vcc_lo, v4, s6
	v_add_co_ci_u32_e64 v5, null, s7, v5, vcc_lo
	s_add_i32 s9, s9, 8
	s_cmp_lt_i32 s9, s21
	s_waitcnt lgkmcnt(6)
	v_mul_f32_e32 v7, v23, v27
	v_mul_f32_e32 v54, v22, v27
	;; [unrolled: 1-line block ×4, first 2 shown]
	s_waitcnt lgkmcnt(5)
	v_mul_f32_e32 v57, v31, v27
	v_mul_f32_e32 v27, v30, v27
	;; [unrolled: 1-line block ×3, first 2 shown]
	v_fma_f32 v7, v22, v26, -v7
	v_fmac_f32_e32 v54, v23, v26
	v_fma_f32 v22, v22, v28, -v55
	v_fmac_f32_e32 v56, v23, v28
	;; [unrolled: 2-line block ×3, first 2 shown]
	v_mul_f32_e32 v29, v30, v29
	v_fma_f32 v26, v30, v28, -v58
	v_add_f32_e32 v7, v20, v7
	v_add_f32_e32 v20, v21, v54
	v_add_f32_e32 v21, v18, v22
	v_add_f32_e32 v22, v19, v56
	v_add_f32_e32 v23, v16, v23
	v_add_f32_e32 v27, v17, v27
	s_waitcnt lgkmcnt(1)
	v_mul_f32_e32 v30, v25, v47
	ds_read2_b64 v[16:19], v12 offset0:64 offset1:80
	v_fmac_f32_e32 v29, v31, v28
	v_add_f32_e32 v14, v14, v26
	v_mul_f32_e32 v26, v24, v47
	v_fma_f32 v28, v24, v46, -v30
	v_mul_f32_e32 v30, v25, v49
	v_add_f32_e32 v15, v15, v29
	v_mul_f32_e32 v29, v24, v49
	v_fmac_f32_e32 v26, v25, v46
	v_add_f32_e32 v7, v7, v28
	v_fma_f32 v24, v24, v48, -v30
	v_mul_f32_e32 v28, v33, v47
	v_fmac_f32_e32 v29, v25, v48
	v_add_f32_e32 v26, v20, v26
	v_mul_f32_e32 v20, v32, v47
	v_add_f32_e32 v24, v21, v24
	v_fma_f32 v21, v32, v46, -v28
	v_mul_f32_e32 v25, v33, v49
	v_add_f32_e32 v28, v22, v29
	v_fmac_f32_e32 v20, v33, v46
	v_mul_f32_e32 v29, v32, v49
	v_add_f32_e32 v30, v23, v21
	v_fma_f32 v21, v32, v48, -v25
	s_waitcnt lgkmcnt(0)
	v_mul_f32_e32 v22, v35, v17
	v_add_f32_e32 v25, v27, v20
	v_fmac_f32_e32 v29, v33, v48
	v_mul_f32_e32 v27, v34, v17
	v_add_f32_e32 v14, v14, v21
	v_fma_f32 v31, v34, v16, -v22
	v_mul_f32_e32 v32, v35, v19
	ds_read2_b64 v[20:23], v12 offset0:96 offset1:112
	v_fmac_f32_e32 v27, v35, v16
	v_add_f32_e32 v29, v15, v29
	v_add_f32_e32 v7, v7, v31
	v_mul_f32_e32 v15, v34, v19
	v_fma_f32 v31, v34, v18, -v32
	v_add_f32_e32 v26, v26, v27
	v_mul_f32_e32 v27, v51, v17
	v_mul_f32_e32 v17, v50, v17
	v_fmac_f32_e32 v15, v35, v18
	v_add_f32_e32 v24, v24, v31
	v_mul_f32_e32 v31, v51, v19
	v_mul_f32_e32 v19, v50, v19
	v_fmac_f32_e32 v17, v51, v16
	v_add_f32_e32 v28, v28, v15
	v_fma_f32 v27, v50, v16, -v27
	v_fma_f32 v15, v50, v18, -v31
	v_fmac_f32_e32 v19, v51, v18
	v_add_f32_e32 v31, v25, v17
	s_waitcnt lgkmcnt(0)
	v_mul_f32_e32 v18, v37, v21
	v_add_f32_e32 v32, v14, v15
	ds_read2_b64 v[14:17], v12 offset0:128 offset1:144
	v_add_f32_e32 v30, v30, v27
	v_mul_f32_e32 v25, v36, v21
	v_fma_f32 v18, v36, v20, -v18
	v_mul_f32_e32 v27, v37, v23
	v_add_f32_e32 v29, v29, v19
	v_mul_f32_e32 v19, v36, v23
	v_fmac_f32_e32 v25, v37, v20
	v_add_f32_e32 v7, v7, v18
	v_mul_f32_e32 v18, v53, v21
	v_fma_f32 v27, v36, v22, -v27
	v_fmac_f32_e32 v19, v37, v22
	v_mul_f32_e32 v21, v52, v21
	v_mul_f32_e32 v35, v53, v23
	v_fma_f32 v18, v52, v20, -v18
	v_add_f32_e32 v33, v26, v25
	v_add_f32_e32 v34, v24, v27
	ds_read_b128 v[24:27], v13 offset:1056
	v_add_f32_e32 v36, v28, v19
	v_fmac_f32_e32 v21, v53, v20
	v_mul_f32_e32 v23, v52, v23
	v_fma_f32 v19, v52, v22, -v35
	v_add_f32_e32 v35, v30, v18
	s_waitcnt lgkmcnt(1)
	v_mul_f32_e32 v18, v39, v15
	v_add_f32_e32 v37, v31, v21
	v_fmac_f32_e32 v23, v53, v22
	v_add_f32_e32 v22, v32, v19
	v_mul_f32_e32 v32, v38, v15
	v_fma_f32 v28, v38, v14, -v18
	ds_read2_b64 v[18:21], v12 offset0:160 offset1:176
	v_mul_f32_e32 v30, v39, v17
	v_mul_f32_e32 v46, v38, v17
	v_fmac_f32_e32 v32, v39, v14
	v_add_f32_e32 v23, v29, v23
	v_add_f32_e32 v7, v7, v28
	v_fma_f32 v38, v38, v16, -v30
	ds_read_b128 v[28:31], v13 offset:1072
	s_waitcnt lgkmcnt(2)
	v_mul_f32_e32 v47, v25, v15
	v_add_f32_e32 v32, v33, v32
	v_mul_f32_e32 v15, v24, v15
	v_add_f32_e32 v33, v34, v38
	v_mul_f32_e32 v38, v25, v17
	v_fmac_f32_e32 v46, v39, v16
	v_fma_f32 v34, v24, v14, -v47
	v_fmac_f32_e32 v15, v25, v14
	v_mul_f32_e32 v39, v24, v17
	v_fma_f32 v14, v24, v16, -v38
	v_add_f32_e32 v36, v36, v46
	v_add_f32_e32 v34, v35, v34
	s_waitcnt lgkmcnt(1)
	v_mul_f32_e32 v17, v41, v19
	v_add_f32_e32 v24, v37, v15
	v_fmac_f32_e32 v39, v25, v16
	v_mul_f32_e32 v25, v40, v19
	v_add_f32_e32 v22, v22, v14
	v_fma_f32 v35, v40, v18, -v17
	ds_read2_b64 v[14:17], v12 offset0:192 offset1:208
	v_mul_f32_e32 v37, v41, v21
	v_fmac_f32_e32 v25, v41, v18
	v_add_f32_e32 v38, v23, v39
	v_add_f32_e32 v7, v7, v35
	v_mul_f32_e32 v23, v40, v21
	v_fma_f32 v35, v40, v20, -v37
	v_add_f32_e32 v32, v32, v25
	v_mul_f32_e32 v25, v27, v19
	v_mul_f32_e32 v19, v26, v19
	v_fmac_f32_e32 v23, v41, v20
	v_add_f32_e32 v33, v33, v35
	v_mul_f32_e32 v35, v27, v21
	v_fma_f32 v25, v26, v18, -v25
	v_fmac_f32_e32 v19, v27, v18
	v_add_f32_e32 v18, v36, v23
	v_mul_f32_e32 v21, v26, v21
	v_fma_f32 v23, v26, v20, -v35
	v_add_f32_e32 v26, v34, v25
	v_add_f32_e32 v19, v24, v19
	s_waitcnt lgkmcnt(0)
	v_mul_f32_e32 v34, v43, v15
	v_fmac_f32_e32 v21, v27, v20
	v_add_f32_e32 v20, v22, v23
	ds_read2_b64 v[22:25], v12 offset0:224 offset1:240
	v_mul_f32_e32 v27, v42, v15
	v_fma_f32 v34, v42, v14, -v34
	v_mul_f32_e32 v35, v43, v17
	v_mul_f32_e32 v36, v42, v17
	v_add_f32_e32 v21, v38, v21
	v_fmac_f32_e32 v27, v43, v14
	v_add_f32_e32 v7, v7, v34
	v_mul_f32_e32 v34, v29, v15
	v_fma_f32 v35, v42, v16, -v35
	v_fmac_f32_e32 v36, v43, v16
	v_add_f32_e32 v27, v32, v27
	v_mul_f32_e32 v15, v28, v15
	v_fma_f32 v32, v28, v14, -v34
	v_mul_f32_e32 v34, v29, v17
	v_add_f32_e32 v33, v33, v35
	v_add_f32_e32 v35, v18, v36
	v_fmac_f32_e32 v15, v29, v14
	v_add_f32_e32 v14, v26, v32
	v_mul_f32_e32 v17, v28, v17
	v_fma_f32 v18, v28, v16, -v34
	s_waitcnt lgkmcnt(0)
	v_mul_f32_e32 v26, v45, v23
	v_mul_f32_e32 v28, v44, v23
	v_add_f32_e32 v15, v19, v15
	v_fmac_f32_e32 v17, v29, v16
	v_add_f32_e32 v29, v20, v18
	v_fma_f32 v16, v44, v22, -v26
	v_mul_f32_e32 v18, v45, v25
	v_mul_f32_e32 v19, v44, v25
	v_add_f32_e32 v26, v21, v17
	v_mul_f32_e32 v17, v30, v23
	v_add_f32_e32 v20, v7, v16
	v_fma_f32 v7, v44, v24, -v18
	v_mul_f32_e32 v16, v31, v23
	v_mul_f32_e32 v23, v31, v25
	;; [unrolled: 1-line block ×3, first 2 shown]
	v_fmac_f32_e32 v28, v45, v22
	v_fmac_f32_e32 v19, v45, v24
	v_add_f32_e32 v18, v33, v7
	v_fma_f32 v7, v30, v22, -v16
	v_fmac_f32_e32 v17, v31, v22
	v_fma_f32 v22, v30, v24, -v23
	v_fmac_f32_e32 v25, v31, v24
	v_add_f32_e32 v21, v27, v28
	v_add_f32_e32 v19, v35, v19
	;; [unrolled: 1-line block ×6, first 2 shown]
	s_barrier
	buffer_gl0_inv
	s_cbranch_scc0 .LBB370_16
.LBB370_8:                              ; =>This Inner Loop Header: Depth=1
	v_add_nc_u32_e32 v7, s9, v9
	v_cmp_le_i32_e32 vcc_lo, s21, v7
	s_or_b32 s12, s1, vcc_lo
	s_and_saveexec_b32 s13, s12
	s_xor_b32 s12, exec_lo, s13
; %bb.9:                                ;   in Loop: Header=BB370_8 Depth=1
	v_mov_b32_e32 v7, v6
	ds_write_b64 v10, v[6:7]
; %bb.10:                               ;   in Loop: Header=BB370_8 Depth=1
	s_andn2_saveexec_b32 s12, s12
	s_cbranch_execz .LBB370_12
; %bb.11:                               ;   in Loop: Header=BB370_8 Depth=1
	flat_load_dwordx2 v[22:23], v[2:3]
	s_waitcnt vmcnt(0) lgkmcnt(0)
	ds_write_b64 v10, v[22:23]
.LBB370_12:                             ;   in Loop: Header=BB370_8 Depth=1
	s_or_b32 exec_lo, exec_lo, s12
	v_add_nc_u32_e32 v7, s9, v8
	v_cmp_le_i32_e32 vcc_lo, s21, v7
	s_or_b32 s12, vcc_lo, s0
	s_and_saveexec_b32 s13, s12
	s_xor_b32 s12, exec_lo, s13
; %bb.13:                               ;   in Loop: Header=BB370_8 Depth=1
	v_mov_b32_e32 v7, v6
	ds_write_b64 v11, v[6:7]
; %bb.14:                               ;   in Loop: Header=BB370_8 Depth=1
	s_andn2_saveexec_b32 s12, s12
	s_cbranch_execz .LBB370_7
; %bb.15:                               ;   in Loop: Header=BB370_8 Depth=1
	flat_load_dwordx2 v[22:23], v[4:5]
	s_waitcnt vmcnt(0) lgkmcnt(0)
	ds_write_b64 v11, v[22:23]
	s_branch .LBB370_7
.LBB370_16:
	s_clause 0x1
	s_load_dword s3, s[4:5], 0x50
	s_load_dwordx2 s[4:5], s[4:5], 0x58
	v_add_nc_u32_e32 v9, s29, v1
	v_add_nc_u32_e32 v0, s8, v0
	v_cmp_neq_f32_e64 s2, s10, 0
	v_cmp_le_i32_e32 vcc_lo, v9, v0
	v_cmp_gt_i32_e64 s0, s20, v0
	s_waitcnt lgkmcnt(0)
	v_mad_i64_i32 v[1:2], null, v9, s3, 0
	s_lshl_b64 s[4:5], s[4:5], 3
	s_add_u32 s4, s22, s4
	s_addc_u32 s5, s23, s5
	s_xor_b32 s6, s28, -1
	s_or_b32 s2, s2, s6
	v_lshlrev_b64 v[2:3], 3, v[1:2]
	v_ashrrev_i32_e32 v1, 31, v0
	v_cndmask_b32_e64 v8, 0, 1, s2
	s_and_b32 s6, vcc_lo, s0
	v_add_co_u32 v6, s1, s4, v2
	v_add_co_ci_u32_e64 v7, null, s5, v3, s1
	s_and_saveexec_b32 s1, s6
	s_cbranch_execz .LBB370_20
; %bb.17:
	v_lshlrev_b64 v[4:5], 3, v[0:1]
	v_mul_f32_e32 v2, s15, v21
	v_mul_f32_e32 v3, s14, v21
	v_fma_f32 v2, v20, s14, -v2
	v_add_co_u32 v4, vcc_lo, v6, v4
	v_fmac_f32_e32 v3, s15, v20
	v_add_co_ci_u32_e64 v5, null, v7, v5, vcc_lo
	s_andn2_b32 vcc_lo, exec_lo, s2
	s_cbranch_vccnz .LBB370_19
; %bb.18:
	flat_load_dwordx2 v[10:11], v[4:5]
	s_waitcnt vmcnt(0) lgkmcnt(0)
	v_mul_f32_e32 v12, s11, v11
	v_mul_f32_e32 v11, s10, v11
	v_fma_f32 v12, v10, s10, -v12
	v_fmac_f32_e32 v11, s11, v10
	v_add_f32_e32 v2, v2, v12
	v_add_f32_e32 v3, v3, v11
.LBB370_19:
	flat_store_dwordx2 v[4:5], v[2:3]
.LBB370_20:
	s_or_b32 exec_lo, exec_lo, s1
	v_add_nc_u32_e32 v2, 16, v0
	v_cmp_le_i32_e32 vcc_lo, v9, v2
	v_cmp_gt_i32_e64 s1, s20, v2
	v_ashrrev_i32_e32 v3, 31, v2
	s_and_b32 s2, vcc_lo, s1
	s_and_saveexec_b32 s6, s2
	s_cbranch_execz .LBB370_24
; %bb.21:
	v_lshlrev_b64 v[10:11], 3, v[2:3]
	v_mul_f32_e32 v4, s15, v19
	v_mul_f32_e32 v5, s14, v19
	v_cmp_ne_u32_e32 vcc_lo, 1, v8
	v_fma_f32 v4, v18, s14, -v4
	v_add_co_u32 v6, s2, v6, v10
	v_fmac_f32_e32 v5, s15, v18
	v_add_co_ci_u32_e64 v7, null, v7, v11, s2
	s_cbranch_vccnz .LBB370_23
; %bb.22:
	flat_load_dwordx2 v[10:11], v[6:7]
	s_waitcnt vmcnt(0) lgkmcnt(0)
	v_mul_f32_e32 v12, s11, v11
	v_mul_f32_e32 v11, s10, v11
	v_fma_f32 v12, v10, s10, -v12
	v_fmac_f32_e32 v11, s11, v10
	v_add_f32_e32 v4, v4, v12
	v_add_f32_e32 v5, v5, v11
.LBB370_23:
	flat_store_dwordx2 v[6:7], v[4:5]
.LBB370_24:
	s_or_b32 exec_lo, exec_lo, s6
	v_add_nc_u32_e32 v9, 16, v9
	v_mad_i64_i32 v[4:5], null, v9, s3, 0
	v_cmp_le_i32_e32 vcc_lo, v9, v0
	s_and_b32 s0, vcc_lo, s0
	v_lshlrev_b64 v[4:5], 3, v[4:5]
	v_add_co_u32 v6, s2, s4, v4
	v_add_co_ci_u32_e64 v7, null, s5, v5, s2
	s_and_saveexec_b32 s2, s0
	s_cbranch_execz .LBB370_28
; %bb.25:
	v_lshlrev_b64 v[0:1], 3, v[0:1]
	v_mul_f32_e32 v4, s15, v17
	v_mul_f32_e32 v5, s14, v17
	v_cmp_ne_u32_e32 vcc_lo, 1, v8
	v_fma_f32 v4, v16, s14, -v4
	v_add_co_u32 v0, s0, v6, v0
	v_fmac_f32_e32 v5, s15, v16
	v_add_co_ci_u32_e64 v1, null, v7, v1, s0
	s_cbranch_vccnz .LBB370_27
; %bb.26:
	flat_load_dwordx2 v[10:11], v[0:1]
	s_waitcnt vmcnt(0) lgkmcnt(0)
	v_mul_f32_e32 v12, s11, v11
	v_mul_f32_e32 v11, s10, v11
	v_fma_f32 v12, v10, s10, -v12
	v_fmac_f32_e32 v11, s11, v10
	v_add_f32_e32 v4, v4, v12
	v_add_f32_e32 v5, v5, v11
.LBB370_27:
	flat_store_dwordx2 v[0:1], v[4:5]
.LBB370_28:
	s_or_b32 exec_lo, exec_lo, s2
	v_cmp_le_i32_e32 vcc_lo, v9, v2
	s_and_b32 s0, vcc_lo, s1
	s_and_saveexec_b32 s1, s0
	s_cbranch_execz .LBB370_32
; %bb.29:
	v_lshlrev_b64 v[2:3], 3, v[2:3]
	v_mul_f32_e32 v0, s15, v15
	v_mul_f32_e32 v1, s14, v15
	v_cmp_ne_u32_e32 vcc_lo, 1, v8
	v_fma_f32 v0, v14, s14, -v0
	v_add_co_u32 v2, s0, v6, v2
	v_fmac_f32_e32 v1, s15, v14
	v_add_co_ci_u32_e64 v3, null, v7, v3, s0
	s_cbranch_vccnz .LBB370_31
; %bb.30:
	flat_load_dwordx2 v[4:5], v[2:3]
	s_waitcnt vmcnt(0) lgkmcnt(0)
	v_mul_f32_e32 v6, s11, v5
	v_mul_f32_e32 v5, s10, v5
	v_fma_f32 v6, v4, s10, -v6
	v_fmac_f32_e32 v5, s11, v4
	v_add_f32_e32 v0, v0, v6
	v_add_f32_e32 v1, v1, v5
.LBB370_31:
	flat_store_dwordx2 v[2:3], v[0:1]
.LBB370_32:
	s_endpgm
	.section	.rodata,"a",@progbits
	.p2align	6, 0x0
	.amdhsa_kernel _ZL29rocblas_internal_gemmt_kernelIiLi16ELi32ELi8ELc78ELc84ELc76ELb0ELb0E19rocblas_complex_numIfEPKS1_PKS3_PKPS1_EviT_T9_T10_S9_lSB_S9_lSA_T11_S9_li
		.amdhsa_group_segment_fixed_size 4096
		.amdhsa_private_segment_fixed_size 0
		.amdhsa_kernarg_size 100
		.amdhsa_user_sgpr_count 6
		.amdhsa_user_sgpr_private_segment_buffer 1
		.amdhsa_user_sgpr_dispatch_ptr 0
		.amdhsa_user_sgpr_queue_ptr 0
		.amdhsa_user_sgpr_kernarg_segment_ptr 1
		.amdhsa_user_sgpr_dispatch_id 0
		.amdhsa_user_sgpr_flat_scratch_init 0
		.amdhsa_user_sgpr_private_segment_size 0
		.amdhsa_wavefront_size32 1
		.amdhsa_uses_dynamic_stack 0
		.amdhsa_system_sgpr_private_segment_wavefront_offset 0
		.amdhsa_system_sgpr_workgroup_id_x 1
		.amdhsa_system_sgpr_workgroup_id_y 1
		.amdhsa_system_sgpr_workgroup_id_z 1
		.amdhsa_system_sgpr_workgroup_info 0
		.amdhsa_system_vgpr_workitem_id 1
		.amdhsa_next_free_vgpr 59
		.amdhsa_next_free_sgpr 30
		.amdhsa_reserve_vcc 1
		.amdhsa_reserve_flat_scratch 0
		.amdhsa_float_round_mode_32 0
		.amdhsa_float_round_mode_16_64 0
		.amdhsa_float_denorm_mode_32 3
		.amdhsa_float_denorm_mode_16_64 3
		.amdhsa_dx10_clamp 1
		.amdhsa_ieee_mode 1
		.amdhsa_fp16_overflow 0
		.amdhsa_workgroup_processor_mode 1
		.amdhsa_memory_ordered 1
		.amdhsa_forward_progress 1
		.amdhsa_shared_vgpr_count 0
		.amdhsa_exception_fp_ieee_invalid_op 0
		.amdhsa_exception_fp_denorm_src 0
		.amdhsa_exception_fp_ieee_div_zero 0
		.amdhsa_exception_fp_ieee_overflow 0
		.amdhsa_exception_fp_ieee_underflow 0
		.amdhsa_exception_fp_ieee_inexact 0
		.amdhsa_exception_int_div_zero 0
	.end_amdhsa_kernel
	.section	.text._ZL29rocblas_internal_gemmt_kernelIiLi16ELi32ELi8ELc78ELc84ELc76ELb0ELb0E19rocblas_complex_numIfEPKS1_PKS3_PKPS1_EviT_T9_T10_S9_lSB_S9_lSA_T11_S9_li,"axG",@progbits,_ZL29rocblas_internal_gemmt_kernelIiLi16ELi32ELi8ELc78ELc84ELc76ELb0ELb0E19rocblas_complex_numIfEPKS1_PKS3_PKPS1_EviT_T9_T10_S9_lSB_S9_lSA_T11_S9_li,comdat
.Lfunc_end370:
	.size	_ZL29rocblas_internal_gemmt_kernelIiLi16ELi32ELi8ELc78ELc84ELc76ELb0ELb0E19rocblas_complex_numIfEPKS1_PKS3_PKPS1_EviT_T9_T10_S9_lSB_S9_lSA_T11_S9_li, .Lfunc_end370-_ZL29rocblas_internal_gemmt_kernelIiLi16ELi32ELi8ELc78ELc84ELc76ELb0ELb0E19rocblas_complex_numIfEPKS1_PKS3_PKPS1_EviT_T9_T10_S9_lSB_S9_lSA_T11_S9_li
                                        ; -- End function
	.set _ZL29rocblas_internal_gemmt_kernelIiLi16ELi32ELi8ELc78ELc84ELc76ELb0ELb0E19rocblas_complex_numIfEPKS1_PKS3_PKPS1_EviT_T9_T10_S9_lSB_S9_lSA_T11_S9_li.num_vgpr, 59
	.set _ZL29rocblas_internal_gemmt_kernelIiLi16ELi32ELi8ELc78ELc84ELc76ELb0ELb0E19rocblas_complex_numIfEPKS1_PKS3_PKPS1_EviT_T9_T10_S9_lSB_S9_lSA_T11_S9_li.num_agpr, 0
	.set _ZL29rocblas_internal_gemmt_kernelIiLi16ELi32ELi8ELc78ELc84ELc76ELb0ELb0E19rocblas_complex_numIfEPKS1_PKS3_PKPS1_EviT_T9_T10_S9_lSB_S9_lSA_T11_S9_li.numbered_sgpr, 30
	.set _ZL29rocblas_internal_gemmt_kernelIiLi16ELi32ELi8ELc78ELc84ELc76ELb0ELb0E19rocblas_complex_numIfEPKS1_PKS3_PKPS1_EviT_T9_T10_S9_lSB_S9_lSA_T11_S9_li.num_named_barrier, 0
	.set _ZL29rocblas_internal_gemmt_kernelIiLi16ELi32ELi8ELc78ELc84ELc76ELb0ELb0E19rocblas_complex_numIfEPKS1_PKS3_PKPS1_EviT_T9_T10_S9_lSB_S9_lSA_T11_S9_li.private_seg_size, 0
	.set _ZL29rocblas_internal_gemmt_kernelIiLi16ELi32ELi8ELc78ELc84ELc76ELb0ELb0E19rocblas_complex_numIfEPKS1_PKS3_PKPS1_EviT_T9_T10_S9_lSB_S9_lSA_T11_S9_li.uses_vcc, 1
	.set _ZL29rocblas_internal_gemmt_kernelIiLi16ELi32ELi8ELc78ELc84ELc76ELb0ELb0E19rocblas_complex_numIfEPKS1_PKS3_PKPS1_EviT_T9_T10_S9_lSB_S9_lSA_T11_S9_li.uses_flat_scratch, 0
	.set _ZL29rocblas_internal_gemmt_kernelIiLi16ELi32ELi8ELc78ELc84ELc76ELb0ELb0E19rocblas_complex_numIfEPKS1_PKS3_PKPS1_EviT_T9_T10_S9_lSB_S9_lSA_T11_S9_li.has_dyn_sized_stack, 0
	.set _ZL29rocblas_internal_gemmt_kernelIiLi16ELi32ELi8ELc78ELc84ELc76ELb0ELb0E19rocblas_complex_numIfEPKS1_PKS3_PKPS1_EviT_T9_T10_S9_lSB_S9_lSA_T11_S9_li.has_recursion, 0
	.set _ZL29rocblas_internal_gemmt_kernelIiLi16ELi32ELi8ELc78ELc84ELc76ELb0ELb0E19rocblas_complex_numIfEPKS1_PKS3_PKPS1_EviT_T9_T10_S9_lSB_S9_lSA_T11_S9_li.has_indirect_call, 0
	.section	.AMDGPU.csdata,"",@progbits
; Kernel info:
; codeLenInByte = 2552
; TotalNumSgprs: 32
; NumVgprs: 59
; ScratchSize: 0
; MemoryBound: 1
; FloatMode: 240
; IeeeMode: 1
; LDSByteSize: 4096 bytes/workgroup (compile time only)
; SGPRBlocks: 0
; VGPRBlocks: 7
; NumSGPRsForWavesPerEU: 32
; NumVGPRsForWavesPerEU: 59
; Occupancy: 16
; WaveLimiterHint : 1
; COMPUTE_PGM_RSRC2:SCRATCH_EN: 0
; COMPUTE_PGM_RSRC2:USER_SGPR: 6
; COMPUTE_PGM_RSRC2:TRAP_HANDLER: 0
; COMPUTE_PGM_RSRC2:TGID_X_EN: 1
; COMPUTE_PGM_RSRC2:TGID_Y_EN: 1
; COMPUTE_PGM_RSRC2:TGID_Z_EN: 1
; COMPUTE_PGM_RSRC2:TIDIG_COMP_CNT: 1
	.section	.text._ZL29rocblas_internal_gemmt_kernelIiLi16ELi32ELi8ELc78ELc67ELc76ELb0ELb1E19rocblas_complex_numIfEPKS1_PKS3_PKPS1_EviT_T9_T10_S9_lSB_S9_lSA_T11_S9_li,"axG",@progbits,_ZL29rocblas_internal_gemmt_kernelIiLi16ELi32ELi8ELc78ELc67ELc76ELb0ELb1E19rocblas_complex_numIfEPKS1_PKS3_PKPS1_EviT_T9_T10_S9_lSB_S9_lSA_T11_S9_li,comdat
	.globl	_ZL29rocblas_internal_gemmt_kernelIiLi16ELi32ELi8ELc78ELc67ELc76ELb0ELb1E19rocblas_complex_numIfEPKS1_PKS3_PKPS1_EviT_T9_T10_S9_lSB_S9_lSA_T11_S9_li ; -- Begin function _ZL29rocblas_internal_gemmt_kernelIiLi16ELi32ELi8ELc78ELc67ELc76ELb0ELb1E19rocblas_complex_numIfEPKS1_PKS3_PKPS1_EviT_T9_T10_S9_lSB_S9_lSA_T11_S9_li
	.p2align	8
	.type	_ZL29rocblas_internal_gemmt_kernelIiLi16ELi32ELi8ELc78ELc67ELc76ELb0ELb1E19rocblas_complex_numIfEPKS1_PKS3_PKPS1_EviT_T9_T10_S9_lSB_S9_lSA_T11_S9_li,@function
_ZL29rocblas_internal_gemmt_kernelIiLi16ELi32ELi8ELc78ELc67ELc76ELb0ELb1E19rocblas_complex_numIfEPKS1_PKS3_PKPS1_EviT_T9_T10_S9_lSB_S9_lSA_T11_S9_li: ; @_ZL29rocblas_internal_gemmt_kernelIiLi16ELi32ELi8ELc78ELc67ELc76ELb0ELb1E19rocblas_complex_numIfEPKS1_PKS3_PKPS1_EviT_T9_T10_S9_lSB_S9_lSA_T11_S9_li
; %bb.0:
	s_clause 0x1
	s_load_dwordx4 s[12:15], s[4:5], 0x38
	s_load_dwordx4 s[0:3], s[4:5], 0x8
	s_waitcnt lgkmcnt(0)
	s_load_dwordx2 s[10:11], s[14:15], 0x0
	s_load_dwordx2 s[20:21], s[4:5], 0x0
	;; [unrolled: 1-line block ×3, first 2 shown]
	s_waitcnt lgkmcnt(0)
	s_and_b32 s0, s11, 0x7fffffff
	v_cmp_eq_f32_e64 s1, s10, 1.0
	s_cmp_eq_u32 s0, 0
	s_mov_b32 s0, 0
	s_cselect_b32 s28, -1, 0
	s_and_b32 s1, s1, s28
	s_andn2_b32 vcc_lo, exec_lo, s1
	s_mov_b32 s1, -1
	s_cbranch_vccnz .LBB371_4
; %bb.1:
	s_cmp_lg_u32 s21, 0
	s_cbranch_scc0 .LBB371_3
; %bb.2:
	v_cmp_neq_f32_e64 s0, s14, 0
	v_cmp_neq_f32_e64 s1, s15, 0
	s_or_b32 s0, s0, s1
.LBB371_3:
	s_mov_b32 s1, s0
.LBB371_4:
	s_and_b32 vcc_lo, exec_lo, s1
	s_cbranch_vccz .LBB371_32
; %bb.5:
	s_load_dwordx2 s[0:1], s[4:5], 0x48
	s_mov_b32 s9, 0
	v_cmp_eq_f32_e64 s16, s14, 0
	s_lshl_b64 s[26:27], s[8:9], 3
	v_cmp_eq_f32_e64 s17, s15, 0
	v_mov_b32_e32 v20, 0
	v_mov_b32_e32 v21, 0
	;; [unrolled: 1-line block ×8, first 2 shown]
	s_waitcnt lgkmcnt(0)
	s_add_u32 s0, s0, s26
	s_addc_u32 s1, s1, s27
	s_lshl_b32 s8, s6, 5
	s_load_dwordx2 s[22:23], s[0:1], 0x0
	s_lshl_b32 s29, s7, 5
	s_and_b32 s0, s16, s17
	s_cmp_lt_i32 s21, 1
	s_cselect_b32 s1, -1, 0
	s_or_b32 s0, s0, s1
	s_and_b32 vcc_lo, exec_lo, s0
	s_cbranch_vccnz .LBB371_16
; %bb.6:
	s_clause 0x2
	s_load_dword s24, s[4:5], 0x18
	s_load_dword s6, s[4:5], 0x30
	s_load_dwordx4 s[16:19], s[4:5], 0x20
	v_lshl_add_u32 v2, v1, 4, v0
	v_and_b32_e32 v8, 7, v0
	v_lshlrev_b32_e32 v12, 3, v0
	v_lshl_add_u32 v13, v1, 6, 0x800
	v_mov_b32_e32 v19, 0
	v_and_b32_e32 v3, 31, v2
	v_lshrrev_b32_e32 v4, 3, v2
	v_lshlrev_b32_e32 v5, 3, v8
	v_lshrrev_b32_e32 v9, 5, v2
	v_mov_b32_e32 v18, 0
	v_or_b32_e32 v6, s8, v3
	v_lshlrev_b32_e32 v7, 3, v3
	v_lshl_or_b32 v11, v4, 6, v5
	v_add_nc_u32_e32 v2, s29, v4
	v_add_nc_u32_e32 v4, s8, v3
	v_cmp_gt_i32_e32 vcc_lo, s20, v6
	v_lshl_or_b32 v10, v9, 8, v7
	s_waitcnt lgkmcnt(0)
	s_ashr_i32 s25, s24, 31
	s_ashr_i32 s7, s6, 31
	v_mad_i64_i32 v[5:6], null, v9, s24, 0
	s_add_u32 s18, s18, s26
	s_addc_u32 s19, s19, s27
	s_add_u32 s2, s2, s26
	s_addc_u32 s3, s3, s27
	s_load_dwordx2 s[18:19], s[18:19], 0x0
	s_load_dwordx2 s[2:3], s[2:3], 0x0
	v_mad_i64_i32 v[14:15], null, s6, v8, 0
	v_lshlrev_b64 v[6:7], 3, v[5:6]
	v_ashrrev_i32_e32 v5, 31, v4
	s_lshl_b64 s[16:17], s[16:17], 3
	v_ashrrev_i32_e32 v3, 31, v2
	s_lshl_b64 s[12:13], s[12:13], 3
	v_cmp_gt_i32_e64 s0, s20, v2
	v_lshlrev_b64 v[4:5], 3, v[4:5]
	v_add_co_u32 v16, s1, v6, s16
	v_add_co_ci_u32_e64 v17, null, s17, v7, s1
	v_lshlrev_b64 v[6:7], 3, v[14:15]
	v_add_co_u32 v14, s1, v16, v4
	v_add_co_ci_u32_e64 v15, null, v17, v5, s1
	v_lshlrev_b64 v[4:5], 3, v[2:3]
	v_add_co_u32 v6, s1, v6, s12
	v_add_co_ci_u32_e64 v7, null, s13, v7, s1
	s_waitcnt lgkmcnt(0)
	v_add_co_u32 v2, s1, s2, v14
	v_add_co_ci_u32_e64 v3, null, s3, v15, s1
	v_add_co_u32 v4, s1, v6, v4
	v_add_co_ci_u32_e64 v5, null, v7, v5, s1
	v_add_nc_u32_e32 v11, 0x800, v11
	v_add_co_u32 v4, s1, s18, v4
	v_add_co_ci_u32_e64 v5, null, s19, v5, s1
	v_mov_b32_e32 v6, 0
	v_mov_b32_e32 v15, 0
	;; [unrolled: 1-line block ×7, first 2 shown]
	s_lshl_b64 s[2:3], s[24:25], 6
	s_lshl_b64 s[6:7], s[6:7], 6
	s_xor_b32 s1, vcc_lo, -1
	s_xor_b32 s0, s0, -1
	s_branch .LBB371_8
.LBB371_7:                              ;   in Loop: Header=BB371_8 Depth=1
	s_or_b32 exec_lo, exec_lo, s12
	ds_write_b32 v11, v7 offset:4
	s_waitcnt lgkmcnt(0)
	s_barrier
	buffer_gl0_inv
	ds_read_b128 v[22:25], v13
	ds_read2_b64 v[26:29], v12 offset1:16
	ds_read_b128 v[30:33], v13 offset:1024
	ds_read_b128 v[34:37], v13 offset:16
	;; [unrolled: 1-line block ×4, first 2 shown]
	ds_read2_b64 v[46:49], v12 offset0:32 offset1:48
	ds_read_b128 v[50:53], v13 offset:1040
	v_add_co_u32 v2, vcc_lo, v2, s2
	v_add_co_ci_u32_e64 v3, null, s3, v3, vcc_lo
	v_add_co_u32 v4, vcc_lo, v4, s6
	v_add_co_ci_u32_e64 v5, null, s7, v5, vcc_lo
	s_add_i32 s9, s9, 8
	s_cmp_lt_i32 s9, s21
	s_waitcnt lgkmcnt(6)
	v_mul_f32_e32 v7, v23, v27
	v_mul_f32_e32 v54, v22, v27
	;; [unrolled: 1-line block ×4, first 2 shown]
	s_waitcnt lgkmcnt(5)
	v_mul_f32_e32 v57, v31, v27
	v_mul_f32_e32 v27, v30, v27
	;; [unrolled: 1-line block ×3, first 2 shown]
	v_fma_f32 v7, v22, v26, -v7
	v_fmac_f32_e32 v54, v23, v26
	v_fma_f32 v22, v22, v28, -v55
	v_fmac_f32_e32 v56, v23, v28
	;; [unrolled: 2-line block ×3, first 2 shown]
	v_mul_f32_e32 v29, v30, v29
	v_fma_f32 v26, v30, v28, -v58
	v_add_f32_e32 v7, v20, v7
	v_add_f32_e32 v20, v21, v54
	;; [unrolled: 1-line block ×6, first 2 shown]
	s_waitcnt lgkmcnt(1)
	v_mul_f32_e32 v30, v25, v47
	ds_read2_b64 v[16:19], v12 offset0:64 offset1:80
	v_fmac_f32_e32 v29, v31, v28
	v_add_f32_e32 v14, v14, v26
	v_mul_f32_e32 v26, v24, v47
	v_fma_f32 v28, v24, v46, -v30
	v_mul_f32_e32 v30, v25, v49
	v_add_f32_e32 v15, v15, v29
	v_mul_f32_e32 v29, v24, v49
	v_fmac_f32_e32 v26, v25, v46
	v_add_f32_e32 v7, v7, v28
	v_fma_f32 v24, v24, v48, -v30
	v_mul_f32_e32 v28, v33, v47
	v_fmac_f32_e32 v29, v25, v48
	v_add_f32_e32 v26, v20, v26
	v_mul_f32_e32 v20, v32, v47
	v_add_f32_e32 v24, v21, v24
	v_fma_f32 v21, v32, v46, -v28
	v_mul_f32_e32 v25, v33, v49
	v_add_f32_e32 v28, v22, v29
	v_fmac_f32_e32 v20, v33, v46
	v_mul_f32_e32 v29, v32, v49
	v_add_f32_e32 v30, v23, v21
	v_fma_f32 v21, v32, v48, -v25
	s_waitcnt lgkmcnt(0)
	v_mul_f32_e32 v22, v35, v17
	v_add_f32_e32 v25, v27, v20
	v_fmac_f32_e32 v29, v33, v48
	v_mul_f32_e32 v27, v34, v17
	v_add_f32_e32 v14, v14, v21
	v_fma_f32 v31, v34, v16, -v22
	v_mul_f32_e32 v32, v35, v19
	ds_read2_b64 v[20:23], v12 offset0:96 offset1:112
	v_fmac_f32_e32 v27, v35, v16
	v_add_f32_e32 v29, v15, v29
	v_add_f32_e32 v7, v7, v31
	v_mul_f32_e32 v15, v34, v19
	v_fma_f32 v31, v34, v18, -v32
	v_add_f32_e32 v26, v26, v27
	v_mul_f32_e32 v27, v51, v17
	v_mul_f32_e32 v17, v50, v17
	v_fmac_f32_e32 v15, v35, v18
	v_add_f32_e32 v24, v24, v31
	v_mul_f32_e32 v31, v51, v19
	v_mul_f32_e32 v19, v50, v19
	v_fmac_f32_e32 v17, v51, v16
	v_add_f32_e32 v28, v28, v15
	v_fma_f32 v27, v50, v16, -v27
	v_fma_f32 v15, v50, v18, -v31
	v_fmac_f32_e32 v19, v51, v18
	v_add_f32_e32 v31, v25, v17
	s_waitcnt lgkmcnt(0)
	v_mul_f32_e32 v18, v37, v21
	v_add_f32_e32 v32, v14, v15
	ds_read2_b64 v[14:17], v12 offset0:128 offset1:144
	v_add_f32_e32 v30, v30, v27
	v_mul_f32_e32 v25, v36, v21
	v_fma_f32 v18, v36, v20, -v18
	v_mul_f32_e32 v27, v37, v23
	v_add_f32_e32 v29, v29, v19
	v_mul_f32_e32 v19, v36, v23
	v_fmac_f32_e32 v25, v37, v20
	v_add_f32_e32 v7, v7, v18
	v_mul_f32_e32 v18, v53, v21
	v_fma_f32 v27, v36, v22, -v27
	v_fmac_f32_e32 v19, v37, v22
	v_mul_f32_e32 v21, v52, v21
	v_mul_f32_e32 v35, v53, v23
	v_fma_f32 v18, v52, v20, -v18
	v_add_f32_e32 v33, v26, v25
	v_add_f32_e32 v34, v24, v27
	ds_read_b128 v[24:27], v13 offset:1056
	v_add_f32_e32 v36, v28, v19
	v_fmac_f32_e32 v21, v53, v20
	v_mul_f32_e32 v23, v52, v23
	v_fma_f32 v19, v52, v22, -v35
	v_add_f32_e32 v35, v30, v18
	s_waitcnt lgkmcnt(1)
	v_mul_f32_e32 v18, v39, v15
	v_add_f32_e32 v37, v31, v21
	v_fmac_f32_e32 v23, v53, v22
	v_add_f32_e32 v22, v32, v19
	v_mul_f32_e32 v32, v38, v15
	v_fma_f32 v28, v38, v14, -v18
	ds_read2_b64 v[18:21], v12 offset0:160 offset1:176
	v_mul_f32_e32 v30, v39, v17
	v_mul_f32_e32 v46, v38, v17
	v_fmac_f32_e32 v32, v39, v14
	v_add_f32_e32 v23, v29, v23
	v_add_f32_e32 v7, v7, v28
	v_fma_f32 v38, v38, v16, -v30
	ds_read_b128 v[28:31], v13 offset:1072
	s_waitcnt lgkmcnt(2)
	v_mul_f32_e32 v47, v25, v15
	v_add_f32_e32 v32, v33, v32
	v_mul_f32_e32 v15, v24, v15
	v_add_f32_e32 v33, v34, v38
	v_mul_f32_e32 v38, v25, v17
	v_fmac_f32_e32 v46, v39, v16
	v_fma_f32 v34, v24, v14, -v47
	v_fmac_f32_e32 v15, v25, v14
	v_mul_f32_e32 v39, v24, v17
	v_fma_f32 v14, v24, v16, -v38
	v_add_f32_e32 v36, v36, v46
	v_add_f32_e32 v34, v35, v34
	s_waitcnt lgkmcnt(1)
	v_mul_f32_e32 v17, v41, v19
	v_add_f32_e32 v24, v37, v15
	v_fmac_f32_e32 v39, v25, v16
	v_mul_f32_e32 v25, v40, v19
	v_add_f32_e32 v22, v22, v14
	v_fma_f32 v35, v40, v18, -v17
	ds_read2_b64 v[14:17], v12 offset0:192 offset1:208
	v_mul_f32_e32 v37, v41, v21
	v_fmac_f32_e32 v25, v41, v18
	v_add_f32_e32 v38, v23, v39
	v_add_f32_e32 v7, v7, v35
	v_mul_f32_e32 v23, v40, v21
	v_fma_f32 v35, v40, v20, -v37
	v_add_f32_e32 v32, v32, v25
	v_mul_f32_e32 v25, v27, v19
	v_mul_f32_e32 v19, v26, v19
	v_fmac_f32_e32 v23, v41, v20
	v_add_f32_e32 v33, v33, v35
	v_mul_f32_e32 v35, v27, v21
	v_fma_f32 v25, v26, v18, -v25
	v_fmac_f32_e32 v19, v27, v18
	v_add_f32_e32 v18, v36, v23
	v_mul_f32_e32 v21, v26, v21
	v_fma_f32 v23, v26, v20, -v35
	v_add_f32_e32 v26, v34, v25
	v_add_f32_e32 v19, v24, v19
	s_waitcnt lgkmcnt(0)
	v_mul_f32_e32 v34, v43, v15
	v_fmac_f32_e32 v21, v27, v20
	v_add_f32_e32 v20, v22, v23
	ds_read2_b64 v[22:25], v12 offset0:224 offset1:240
	v_mul_f32_e32 v27, v42, v15
	v_fma_f32 v34, v42, v14, -v34
	v_mul_f32_e32 v35, v43, v17
	v_mul_f32_e32 v36, v42, v17
	v_add_f32_e32 v21, v38, v21
	v_fmac_f32_e32 v27, v43, v14
	v_add_f32_e32 v7, v7, v34
	v_mul_f32_e32 v34, v29, v15
	v_fma_f32 v35, v42, v16, -v35
	v_fmac_f32_e32 v36, v43, v16
	v_add_f32_e32 v27, v32, v27
	v_mul_f32_e32 v15, v28, v15
	v_fma_f32 v32, v28, v14, -v34
	v_mul_f32_e32 v34, v29, v17
	v_add_f32_e32 v33, v33, v35
	v_add_f32_e32 v35, v18, v36
	v_fmac_f32_e32 v15, v29, v14
	v_add_f32_e32 v14, v26, v32
	v_mul_f32_e32 v17, v28, v17
	v_fma_f32 v18, v28, v16, -v34
	s_waitcnt lgkmcnt(0)
	v_mul_f32_e32 v26, v45, v23
	v_mul_f32_e32 v28, v44, v23
	v_add_f32_e32 v15, v19, v15
	v_fmac_f32_e32 v17, v29, v16
	v_add_f32_e32 v29, v20, v18
	v_fma_f32 v16, v44, v22, -v26
	v_mul_f32_e32 v18, v45, v25
	v_mul_f32_e32 v19, v44, v25
	v_add_f32_e32 v26, v21, v17
	v_mul_f32_e32 v17, v30, v23
	v_add_f32_e32 v20, v7, v16
	v_fma_f32 v7, v44, v24, -v18
	v_mul_f32_e32 v16, v31, v23
	v_mul_f32_e32 v23, v31, v25
	;; [unrolled: 1-line block ×3, first 2 shown]
	v_fmac_f32_e32 v28, v45, v22
	v_fmac_f32_e32 v19, v45, v24
	v_add_f32_e32 v18, v33, v7
	v_fma_f32 v7, v30, v22, -v16
	v_fmac_f32_e32 v17, v31, v22
	v_fma_f32 v22, v30, v24, -v23
	v_fmac_f32_e32 v25, v31, v24
	v_add_f32_e32 v21, v27, v28
	v_add_f32_e32 v19, v35, v19
	;; [unrolled: 1-line block ×6, first 2 shown]
	s_barrier
	buffer_gl0_inv
	s_cbranch_scc0 .LBB371_16
.LBB371_8:                              ; =>This Inner Loop Header: Depth=1
	v_add_nc_u32_e32 v7, s9, v9
	v_cmp_le_i32_e32 vcc_lo, s21, v7
	s_or_b32 s12, s1, vcc_lo
	s_and_saveexec_b32 s13, s12
	s_xor_b32 s12, exec_lo, s13
; %bb.9:                                ;   in Loop: Header=BB371_8 Depth=1
	v_mov_b32_e32 v7, v6
	ds_write_b64 v10, v[6:7]
; %bb.10:                               ;   in Loop: Header=BB371_8 Depth=1
	s_andn2_saveexec_b32 s12, s12
	s_cbranch_execz .LBB371_12
; %bb.11:                               ;   in Loop: Header=BB371_8 Depth=1
	flat_load_dwordx2 v[22:23], v[2:3]
	s_waitcnt vmcnt(0) lgkmcnt(0)
	ds_write_b64 v10, v[22:23]
.LBB371_12:                             ;   in Loop: Header=BB371_8 Depth=1
	s_or_b32 exec_lo, exec_lo, s12
	v_add_nc_u32_e32 v7, s9, v8
	v_cmp_le_i32_e32 vcc_lo, s21, v7
	s_or_b32 s12, vcc_lo, s0
	s_and_saveexec_b32 s13, s12
	s_xor_b32 s12, exec_lo, s13
; %bb.13:                               ;   in Loop: Header=BB371_8 Depth=1
	ds_write_b32 v11, v6
; %bb.14:                               ;   in Loop: Header=BB371_8 Depth=1
	s_or_saveexec_b32 s12, s12
	v_mov_b32_e32 v7, 0
	s_xor_b32 exec_lo, exec_lo, s12
	s_cbranch_execz .LBB371_7
; %bb.15:                               ;   in Loop: Header=BB371_8 Depth=1
	flat_load_dwordx2 v[22:23], v[4:5]
	s_waitcnt vmcnt(0) lgkmcnt(0)
	v_xor_b32_e32 v7, 0x80000000, v23
	ds_write_b32 v11, v22
	s_branch .LBB371_7
.LBB371_16:
	s_clause 0x1
	s_load_dword s3, s[4:5], 0x50
	s_load_dwordx2 s[4:5], s[4:5], 0x58
	v_add_nc_u32_e32 v9, s29, v1
	v_add_nc_u32_e32 v0, s8, v0
	v_cmp_neq_f32_e64 s2, s10, 0
	v_cmp_le_i32_e32 vcc_lo, v9, v0
	v_cmp_gt_i32_e64 s0, s20, v0
	s_waitcnt lgkmcnt(0)
	v_mad_i64_i32 v[1:2], null, v9, s3, 0
	s_lshl_b64 s[4:5], s[4:5], 3
	s_add_u32 s4, s22, s4
	s_addc_u32 s5, s23, s5
	s_xor_b32 s6, s28, -1
	s_or_b32 s2, s2, s6
	v_lshlrev_b64 v[2:3], 3, v[1:2]
	v_ashrrev_i32_e32 v1, 31, v0
	v_cndmask_b32_e64 v8, 0, 1, s2
	s_and_b32 s6, vcc_lo, s0
	v_add_co_u32 v6, s1, s4, v2
	v_add_co_ci_u32_e64 v7, null, s5, v3, s1
	s_and_saveexec_b32 s1, s6
	s_cbranch_execz .LBB371_20
; %bb.17:
	v_lshlrev_b64 v[4:5], 3, v[0:1]
	v_mul_f32_e32 v2, s15, v21
	v_mul_f32_e32 v3, s14, v21
	v_fma_f32 v2, v20, s14, -v2
	v_add_co_u32 v4, vcc_lo, v6, v4
	v_fmac_f32_e32 v3, s15, v20
	v_add_co_ci_u32_e64 v5, null, v7, v5, vcc_lo
	s_andn2_b32 vcc_lo, exec_lo, s2
	s_cbranch_vccnz .LBB371_19
; %bb.18:
	flat_load_dwordx2 v[10:11], v[4:5]
	s_waitcnt vmcnt(0) lgkmcnt(0)
	v_mul_f32_e32 v12, s11, v11
	v_mul_f32_e32 v11, s10, v11
	v_fma_f32 v12, v10, s10, -v12
	v_fmac_f32_e32 v11, s11, v10
	v_add_f32_e32 v2, v2, v12
	v_add_f32_e32 v3, v3, v11
.LBB371_19:
	flat_store_dwordx2 v[4:5], v[2:3]
.LBB371_20:
	s_or_b32 exec_lo, exec_lo, s1
	v_add_nc_u32_e32 v2, 16, v0
	v_cmp_le_i32_e32 vcc_lo, v9, v2
	v_cmp_gt_i32_e64 s1, s20, v2
	v_ashrrev_i32_e32 v3, 31, v2
	s_and_b32 s2, vcc_lo, s1
	s_and_saveexec_b32 s6, s2
	s_cbranch_execz .LBB371_24
; %bb.21:
	v_lshlrev_b64 v[10:11], 3, v[2:3]
	v_mul_f32_e32 v4, s15, v19
	v_mul_f32_e32 v5, s14, v19
	v_cmp_ne_u32_e32 vcc_lo, 1, v8
	v_fma_f32 v4, v18, s14, -v4
	v_add_co_u32 v6, s2, v6, v10
	v_fmac_f32_e32 v5, s15, v18
	v_add_co_ci_u32_e64 v7, null, v7, v11, s2
	s_cbranch_vccnz .LBB371_23
; %bb.22:
	flat_load_dwordx2 v[10:11], v[6:7]
	s_waitcnt vmcnt(0) lgkmcnt(0)
	v_mul_f32_e32 v12, s11, v11
	v_mul_f32_e32 v11, s10, v11
	v_fma_f32 v12, v10, s10, -v12
	v_fmac_f32_e32 v11, s11, v10
	v_add_f32_e32 v4, v4, v12
	v_add_f32_e32 v5, v5, v11
.LBB371_23:
	flat_store_dwordx2 v[6:7], v[4:5]
.LBB371_24:
	s_or_b32 exec_lo, exec_lo, s6
	v_add_nc_u32_e32 v9, 16, v9
	v_mad_i64_i32 v[4:5], null, v9, s3, 0
	v_cmp_le_i32_e32 vcc_lo, v9, v0
	s_and_b32 s0, vcc_lo, s0
	v_lshlrev_b64 v[4:5], 3, v[4:5]
	v_add_co_u32 v6, s2, s4, v4
	v_add_co_ci_u32_e64 v7, null, s5, v5, s2
	s_and_saveexec_b32 s2, s0
	s_cbranch_execz .LBB371_28
; %bb.25:
	v_lshlrev_b64 v[0:1], 3, v[0:1]
	v_mul_f32_e32 v4, s15, v17
	v_mul_f32_e32 v5, s14, v17
	v_cmp_ne_u32_e32 vcc_lo, 1, v8
	v_fma_f32 v4, v16, s14, -v4
	v_add_co_u32 v0, s0, v6, v0
	v_fmac_f32_e32 v5, s15, v16
	v_add_co_ci_u32_e64 v1, null, v7, v1, s0
	s_cbranch_vccnz .LBB371_27
; %bb.26:
	flat_load_dwordx2 v[10:11], v[0:1]
	s_waitcnt vmcnt(0) lgkmcnt(0)
	v_mul_f32_e32 v12, s11, v11
	v_mul_f32_e32 v11, s10, v11
	v_fma_f32 v12, v10, s10, -v12
	v_fmac_f32_e32 v11, s11, v10
	v_add_f32_e32 v4, v4, v12
	v_add_f32_e32 v5, v5, v11
.LBB371_27:
	flat_store_dwordx2 v[0:1], v[4:5]
.LBB371_28:
	s_or_b32 exec_lo, exec_lo, s2
	v_cmp_le_i32_e32 vcc_lo, v9, v2
	s_and_b32 s0, vcc_lo, s1
	s_and_saveexec_b32 s1, s0
	s_cbranch_execz .LBB371_32
; %bb.29:
	v_lshlrev_b64 v[2:3], 3, v[2:3]
	v_mul_f32_e32 v0, s15, v15
	v_mul_f32_e32 v1, s14, v15
	v_cmp_ne_u32_e32 vcc_lo, 1, v8
	v_fma_f32 v0, v14, s14, -v0
	v_add_co_u32 v2, s0, v6, v2
	v_fmac_f32_e32 v1, s15, v14
	v_add_co_ci_u32_e64 v3, null, v7, v3, s0
	s_cbranch_vccnz .LBB371_31
; %bb.30:
	flat_load_dwordx2 v[4:5], v[2:3]
	s_waitcnt vmcnt(0) lgkmcnt(0)
	v_mul_f32_e32 v6, s11, v5
	v_mul_f32_e32 v5, s10, v5
	v_fma_f32 v6, v4, s10, -v6
	v_fmac_f32_e32 v5, s11, v4
	v_add_f32_e32 v0, v0, v6
	v_add_f32_e32 v1, v1, v5
.LBB371_31:
	flat_store_dwordx2 v[2:3], v[0:1]
.LBB371_32:
	s_endpgm
	.section	.rodata,"a",@progbits
	.p2align	6, 0x0
	.amdhsa_kernel _ZL29rocblas_internal_gemmt_kernelIiLi16ELi32ELi8ELc78ELc67ELc76ELb0ELb1E19rocblas_complex_numIfEPKS1_PKS3_PKPS1_EviT_T9_T10_S9_lSB_S9_lSA_T11_S9_li
		.amdhsa_group_segment_fixed_size 4096
		.amdhsa_private_segment_fixed_size 0
		.amdhsa_kernarg_size 100
		.amdhsa_user_sgpr_count 6
		.amdhsa_user_sgpr_private_segment_buffer 1
		.amdhsa_user_sgpr_dispatch_ptr 0
		.amdhsa_user_sgpr_queue_ptr 0
		.amdhsa_user_sgpr_kernarg_segment_ptr 1
		.amdhsa_user_sgpr_dispatch_id 0
		.amdhsa_user_sgpr_flat_scratch_init 0
		.amdhsa_user_sgpr_private_segment_size 0
		.amdhsa_wavefront_size32 1
		.amdhsa_uses_dynamic_stack 0
		.amdhsa_system_sgpr_private_segment_wavefront_offset 0
		.amdhsa_system_sgpr_workgroup_id_x 1
		.amdhsa_system_sgpr_workgroup_id_y 1
		.amdhsa_system_sgpr_workgroup_id_z 1
		.amdhsa_system_sgpr_workgroup_info 0
		.amdhsa_system_vgpr_workitem_id 1
		.amdhsa_next_free_vgpr 59
		.amdhsa_next_free_sgpr 30
		.amdhsa_reserve_vcc 1
		.amdhsa_reserve_flat_scratch 0
		.amdhsa_float_round_mode_32 0
		.amdhsa_float_round_mode_16_64 0
		.amdhsa_float_denorm_mode_32 3
		.amdhsa_float_denorm_mode_16_64 3
		.amdhsa_dx10_clamp 1
		.amdhsa_ieee_mode 1
		.amdhsa_fp16_overflow 0
		.amdhsa_workgroup_processor_mode 1
		.amdhsa_memory_ordered 1
		.amdhsa_forward_progress 1
		.amdhsa_shared_vgpr_count 0
		.amdhsa_exception_fp_ieee_invalid_op 0
		.amdhsa_exception_fp_denorm_src 0
		.amdhsa_exception_fp_ieee_div_zero 0
		.amdhsa_exception_fp_ieee_overflow 0
		.amdhsa_exception_fp_ieee_underflow 0
		.amdhsa_exception_fp_ieee_inexact 0
		.amdhsa_exception_int_div_zero 0
	.end_amdhsa_kernel
	.section	.text._ZL29rocblas_internal_gemmt_kernelIiLi16ELi32ELi8ELc78ELc67ELc76ELb0ELb1E19rocblas_complex_numIfEPKS1_PKS3_PKPS1_EviT_T9_T10_S9_lSB_S9_lSA_T11_S9_li,"axG",@progbits,_ZL29rocblas_internal_gemmt_kernelIiLi16ELi32ELi8ELc78ELc67ELc76ELb0ELb1E19rocblas_complex_numIfEPKS1_PKS3_PKPS1_EviT_T9_T10_S9_lSB_S9_lSA_T11_S9_li,comdat
.Lfunc_end371:
	.size	_ZL29rocblas_internal_gemmt_kernelIiLi16ELi32ELi8ELc78ELc67ELc76ELb0ELb1E19rocblas_complex_numIfEPKS1_PKS3_PKPS1_EviT_T9_T10_S9_lSB_S9_lSA_T11_S9_li, .Lfunc_end371-_ZL29rocblas_internal_gemmt_kernelIiLi16ELi32ELi8ELc78ELc67ELc76ELb0ELb1E19rocblas_complex_numIfEPKS1_PKS3_PKPS1_EviT_T9_T10_S9_lSB_S9_lSA_T11_S9_li
                                        ; -- End function
	.set _ZL29rocblas_internal_gemmt_kernelIiLi16ELi32ELi8ELc78ELc67ELc76ELb0ELb1E19rocblas_complex_numIfEPKS1_PKS3_PKPS1_EviT_T9_T10_S9_lSB_S9_lSA_T11_S9_li.num_vgpr, 59
	.set _ZL29rocblas_internal_gemmt_kernelIiLi16ELi32ELi8ELc78ELc67ELc76ELb0ELb1E19rocblas_complex_numIfEPKS1_PKS3_PKPS1_EviT_T9_T10_S9_lSB_S9_lSA_T11_S9_li.num_agpr, 0
	.set _ZL29rocblas_internal_gemmt_kernelIiLi16ELi32ELi8ELc78ELc67ELc76ELb0ELb1E19rocblas_complex_numIfEPKS1_PKS3_PKPS1_EviT_T9_T10_S9_lSB_S9_lSA_T11_S9_li.numbered_sgpr, 30
	.set _ZL29rocblas_internal_gemmt_kernelIiLi16ELi32ELi8ELc78ELc67ELc76ELb0ELb1E19rocblas_complex_numIfEPKS1_PKS3_PKPS1_EviT_T9_T10_S9_lSB_S9_lSA_T11_S9_li.num_named_barrier, 0
	.set _ZL29rocblas_internal_gemmt_kernelIiLi16ELi32ELi8ELc78ELc67ELc76ELb0ELb1E19rocblas_complex_numIfEPKS1_PKS3_PKPS1_EviT_T9_T10_S9_lSB_S9_lSA_T11_S9_li.private_seg_size, 0
	.set _ZL29rocblas_internal_gemmt_kernelIiLi16ELi32ELi8ELc78ELc67ELc76ELb0ELb1E19rocblas_complex_numIfEPKS1_PKS3_PKPS1_EviT_T9_T10_S9_lSB_S9_lSA_T11_S9_li.uses_vcc, 1
	.set _ZL29rocblas_internal_gemmt_kernelIiLi16ELi32ELi8ELc78ELc67ELc76ELb0ELb1E19rocblas_complex_numIfEPKS1_PKS3_PKPS1_EviT_T9_T10_S9_lSB_S9_lSA_T11_S9_li.uses_flat_scratch, 0
	.set _ZL29rocblas_internal_gemmt_kernelIiLi16ELi32ELi8ELc78ELc67ELc76ELb0ELb1E19rocblas_complex_numIfEPKS1_PKS3_PKPS1_EviT_T9_T10_S9_lSB_S9_lSA_T11_S9_li.has_dyn_sized_stack, 0
	.set _ZL29rocblas_internal_gemmt_kernelIiLi16ELi32ELi8ELc78ELc67ELc76ELb0ELb1E19rocblas_complex_numIfEPKS1_PKS3_PKPS1_EviT_T9_T10_S9_lSB_S9_lSA_T11_S9_li.has_recursion, 0
	.set _ZL29rocblas_internal_gemmt_kernelIiLi16ELi32ELi8ELc78ELc67ELc76ELb0ELb1E19rocblas_complex_numIfEPKS1_PKS3_PKPS1_EviT_T9_T10_S9_lSB_S9_lSA_T11_S9_li.has_indirect_call, 0
	.section	.AMDGPU.csdata,"",@progbits
; Kernel info:
; codeLenInByte = 2572
; TotalNumSgprs: 32
; NumVgprs: 59
; ScratchSize: 0
; MemoryBound: 1
; FloatMode: 240
; IeeeMode: 1
; LDSByteSize: 4096 bytes/workgroup (compile time only)
; SGPRBlocks: 0
; VGPRBlocks: 7
; NumSGPRsForWavesPerEU: 32
; NumVGPRsForWavesPerEU: 59
; Occupancy: 16
; WaveLimiterHint : 1
; COMPUTE_PGM_RSRC2:SCRATCH_EN: 0
; COMPUTE_PGM_RSRC2:USER_SGPR: 6
; COMPUTE_PGM_RSRC2:TRAP_HANDLER: 0
; COMPUTE_PGM_RSRC2:TGID_X_EN: 1
; COMPUTE_PGM_RSRC2:TGID_Y_EN: 1
; COMPUTE_PGM_RSRC2:TGID_Z_EN: 1
; COMPUTE_PGM_RSRC2:TIDIG_COMP_CNT: 1
	.section	.text._ZL29rocblas_internal_gemmt_kernelIiLi16ELi32ELi8ELc84ELc78ELc76ELb0ELb0E19rocblas_complex_numIfEPKS1_PKS3_PKPS1_EviT_T9_T10_S9_lSB_S9_lSA_T11_S9_li,"axG",@progbits,_ZL29rocblas_internal_gemmt_kernelIiLi16ELi32ELi8ELc84ELc78ELc76ELb0ELb0E19rocblas_complex_numIfEPKS1_PKS3_PKPS1_EviT_T9_T10_S9_lSB_S9_lSA_T11_S9_li,comdat
	.globl	_ZL29rocblas_internal_gemmt_kernelIiLi16ELi32ELi8ELc84ELc78ELc76ELb0ELb0E19rocblas_complex_numIfEPKS1_PKS3_PKPS1_EviT_T9_T10_S9_lSB_S9_lSA_T11_S9_li ; -- Begin function _ZL29rocblas_internal_gemmt_kernelIiLi16ELi32ELi8ELc84ELc78ELc76ELb0ELb0E19rocblas_complex_numIfEPKS1_PKS3_PKPS1_EviT_T9_T10_S9_lSB_S9_lSA_T11_S9_li
	.p2align	8
	.type	_ZL29rocblas_internal_gemmt_kernelIiLi16ELi32ELi8ELc84ELc78ELc76ELb0ELb0E19rocblas_complex_numIfEPKS1_PKS3_PKPS1_EviT_T9_T10_S9_lSB_S9_lSA_T11_S9_li,@function
_ZL29rocblas_internal_gemmt_kernelIiLi16ELi32ELi8ELc84ELc78ELc76ELb0ELb0E19rocblas_complex_numIfEPKS1_PKS3_PKPS1_EviT_T9_T10_S9_lSB_S9_lSA_T11_S9_li: ; @_ZL29rocblas_internal_gemmt_kernelIiLi16ELi32ELi8ELc84ELc78ELc76ELb0ELb0E19rocblas_complex_numIfEPKS1_PKS3_PKPS1_EviT_T9_T10_S9_lSB_S9_lSA_T11_S9_li
; %bb.0:
	s_clause 0x1
	s_load_dwordx4 s[12:15], s[4:5], 0x38
	s_load_dwordx4 s[0:3], s[4:5], 0x8
	s_waitcnt lgkmcnt(0)
	s_load_dwordx2 s[10:11], s[14:15], 0x0
	s_load_dwordx2 s[20:21], s[4:5], 0x0
	;; [unrolled: 1-line block ×3, first 2 shown]
	s_waitcnt lgkmcnt(0)
	s_and_b32 s0, s11, 0x7fffffff
	v_cmp_eq_f32_e64 s1, s10, 1.0
	s_cmp_eq_u32 s0, 0
	s_mov_b32 s0, 0
	s_cselect_b32 s26, -1, 0
	s_and_b32 s1, s1, s26
	s_andn2_b32 vcc_lo, exec_lo, s1
	s_mov_b32 s1, -1
	s_cbranch_vccnz .LBB372_4
; %bb.1:
	s_cmp_lg_u32 s21, 0
	s_cbranch_scc0 .LBB372_3
; %bb.2:
	v_cmp_neq_f32_e64 s0, s14, 0
	v_cmp_neq_f32_e64 s1, s15, 0
	s_or_b32 s0, s0, s1
.LBB372_3:
	s_mov_b32 s1, s0
.LBB372_4:
	s_and_b32 vcc_lo, exec_lo, s1
	s_cbranch_vccz .LBB372_32
; %bb.5:
	s_load_dwordx2 s[0:1], s[4:5], 0x48
	s_mov_b32 s9, 0
	v_cmp_eq_f32_e64 s16, s14, 0
	s_lshl_b64 s[24:25], s[8:9], 3
	v_cmp_eq_f32_e64 s8, s15, 0
	v_mov_b32_e32 v20, 0
	v_mov_b32_e32 v21, 0
	;; [unrolled: 1-line block ×8, first 2 shown]
	s_waitcnt lgkmcnt(0)
	s_add_u32 s0, s0, s24
	s_addc_u32 s1, s1, s25
	s_lshl_b32 s6, s6, 5
	s_load_dwordx2 s[22:23], s[0:1], 0x0
	s_lshl_b32 s7, s7, 5
	s_and_b32 s0, s16, s8
	s_cmp_lt_i32 s21, 1
	s_cselect_b32 s1, -1, 0
	s_or_b32 s0, s0, s1
	s_and_b32 vcc_lo, exec_lo, s0
	s_cbranch_vccnz .LBB372_16
; %bb.6:
	s_clause 0x2
	s_load_dword s1, s[4:5], 0x18
	s_load_dwordx4 s[16:19], s[4:5], 0x20
	s_load_dword s8, s[4:5], 0x30
	v_lshl_add_u32 v2, v1, 4, v0
	v_and_b32_e32 v8, 7, v0
	v_lshlrev_b32_e32 v9, 3, v0
	v_lshl_add_u32 v10, v1, 6, 0x800
	v_mov_b32_e32 v15, 0
	v_and_b32_e32 v3, 31, v2
	v_lshrrev_b32_e32 v4, 3, v2
	v_lshlrev_b32_e32 v6, 3, v8
	v_lshrrev_b32_e32 v11, 5, v2
	v_mov_b32_e32 v17, 0
	v_or_b32_e32 v2, s6, v3
	v_lshlrev_b32_e32 v5, 3, v3
	v_add_nc_u32_e32 v3, s6, v3
	v_add_nc_u32_e32 v7, s7, v4
	v_lshl_or_b32 v4, v4, 6, v6
	v_cmp_gt_i32_e32 vcc_lo, s20, v2
	v_lshl_or_b32 v12, v11, 8, v5
	s_waitcnt lgkmcnt(0)
	v_mad_i64_i32 v[2:3], null, s1, v3, 0
	s_add_u32 s18, s18, s24
	s_addc_u32 s19, s19, s25
	s_add_u32 s2, s2, s24
	v_add_nc_u32_e32 v13, 0x800, v4
	v_mad_i64_i32 v[4:5], null, s8, v7, 0
	s_addc_u32 s3, s3, s25
	s_load_dwordx2 s[18:19], s[18:19], 0x0
	s_load_dwordx2 s[2:3], s[2:3], 0x0
	v_lshlrev_b64 v[2:3], 3, v[2:3]
	s_lshl_b64 s[16:17], s[16:17], 3
	v_cmp_gt_i32_e64 s0, s20, v7
	v_lshlrev_b64 v[4:5], 3, v[4:5]
	v_lshlrev_b32_e32 v14, 3, v11
	s_lshl_b64 s[12:13], s[12:13], 3
	v_add_co_u32 v7, s1, v2, s16
	v_add_co_ci_u32_e64 v3, null, s17, v3, s1
	v_add_co_u32 v4, s1, v4, s12
	v_add_co_ci_u32_e64 v5, null, s13, v5, s1
	v_add_co_u32 v7, s1, v7, v14
	v_add_co_ci_u32_e64 v3, null, 0, v3, s1
	v_add_co_u32 v6, s1, v4, v6
	v_add_co_ci_u32_e64 v14, null, 0, v5, s1
	s_waitcnt lgkmcnt(0)
	v_add_co_u32 v4, s1, s2, v7
	v_add_co_ci_u32_e64 v5, null, s3, v3, s1
	v_add_co_u32 v6, s1, s18, v6
	v_mov_b32_e32 v2, 0
	v_add_co_ci_u32_e64 v7, null, s19, v14, s1
	v_mov_b32_e32 v14, 0
	v_mov_b32_e32 v16, 0
	;; [unrolled: 1-line block ×6, first 2 shown]
	s_xor_b32 s1, vcc_lo, -1
	s_xor_b32 s0, s0, -1
	s_branch .LBB372_8
.LBB372_7:                              ;   in Loop: Header=BB372_8 Depth=1
	s_or_b32 exec_lo, exec_lo, s2
	s_waitcnt lgkmcnt(0)
	s_barrier
	buffer_gl0_inv
	ds_read_b128 v[22:25], v10
	ds_read2_b64 v[26:29], v9 offset1:16
	ds_read_b128 v[30:33], v10 offset:1024
	ds_read_b128 v[34:37], v10 offset:16
	;; [unrolled: 1-line block ×4, first 2 shown]
	ds_read2_b64 v[46:49], v9 offset0:32 offset1:48
	ds_read_b128 v[50:53], v10 offset:1040
	v_add_co_u32 v4, vcc_lo, v4, 64
	v_add_co_ci_u32_e64 v5, null, 0, v5, vcc_lo
	v_add_co_u32 v6, vcc_lo, v6, 64
	v_add_co_ci_u32_e64 v7, null, 0, v7, vcc_lo
	s_add_i32 s9, s9, 8
	s_cmp_lt_i32 s9, s21
	s_waitcnt lgkmcnt(6)
	v_mul_f32_e32 v3, v23, v27
	v_mul_f32_e32 v54, v22, v27
	;; [unrolled: 1-line block ×4, first 2 shown]
	s_waitcnt lgkmcnt(5)
	v_mul_f32_e32 v57, v31, v27
	v_mul_f32_e32 v27, v30, v27
	;; [unrolled: 1-line block ×3, first 2 shown]
	v_fma_f32 v3, v22, v26, -v3
	v_fmac_f32_e32 v54, v23, v26
	v_fma_f32 v22, v22, v28, -v55
	v_fmac_f32_e32 v56, v23, v28
	;; [unrolled: 2-line block ×3, first 2 shown]
	v_mul_f32_e32 v29, v30, v29
	v_fma_f32 v26, v30, v28, -v58
	v_add_f32_e32 v3, v20, v3
	v_add_f32_e32 v20, v21, v54
	;; [unrolled: 1-line block ×6, first 2 shown]
	s_waitcnt lgkmcnt(1)
	v_mul_f32_e32 v30, v25, v47
	ds_read2_b64 v[16:19], v9 offset0:64 offset1:80
	v_fmac_f32_e32 v29, v31, v28
	v_add_f32_e32 v14, v14, v26
	v_mul_f32_e32 v26, v24, v47
	v_fma_f32 v28, v24, v46, -v30
	v_mul_f32_e32 v30, v25, v49
	v_add_f32_e32 v15, v15, v29
	v_mul_f32_e32 v29, v24, v49
	v_fmac_f32_e32 v26, v25, v46
	v_add_f32_e32 v3, v3, v28
	v_fma_f32 v24, v24, v48, -v30
	v_mul_f32_e32 v28, v33, v47
	v_fmac_f32_e32 v29, v25, v48
	v_add_f32_e32 v26, v20, v26
	v_mul_f32_e32 v20, v32, v47
	v_add_f32_e32 v24, v21, v24
	v_fma_f32 v21, v32, v46, -v28
	v_mul_f32_e32 v25, v33, v49
	v_add_f32_e32 v28, v22, v29
	v_fmac_f32_e32 v20, v33, v46
	v_mul_f32_e32 v29, v32, v49
	v_add_f32_e32 v30, v23, v21
	v_fma_f32 v21, v32, v48, -v25
	s_waitcnt lgkmcnt(0)
	v_mul_f32_e32 v22, v35, v17
	v_add_f32_e32 v25, v27, v20
	v_fmac_f32_e32 v29, v33, v48
	v_mul_f32_e32 v27, v34, v17
	v_add_f32_e32 v14, v14, v21
	v_fma_f32 v31, v34, v16, -v22
	v_mul_f32_e32 v32, v35, v19
	ds_read2_b64 v[20:23], v9 offset0:96 offset1:112
	v_fmac_f32_e32 v27, v35, v16
	v_add_f32_e32 v29, v15, v29
	v_add_f32_e32 v3, v3, v31
	v_mul_f32_e32 v15, v34, v19
	v_fma_f32 v31, v34, v18, -v32
	v_add_f32_e32 v26, v26, v27
	v_mul_f32_e32 v27, v51, v17
	v_mul_f32_e32 v17, v50, v17
	v_fmac_f32_e32 v15, v35, v18
	v_add_f32_e32 v24, v24, v31
	v_mul_f32_e32 v31, v51, v19
	v_mul_f32_e32 v19, v50, v19
	v_fmac_f32_e32 v17, v51, v16
	v_add_f32_e32 v28, v28, v15
	v_fma_f32 v27, v50, v16, -v27
	v_fma_f32 v15, v50, v18, -v31
	v_fmac_f32_e32 v19, v51, v18
	v_add_f32_e32 v31, v25, v17
	s_waitcnt lgkmcnt(0)
	v_mul_f32_e32 v18, v37, v21
	v_add_f32_e32 v32, v14, v15
	ds_read2_b64 v[14:17], v9 offset0:128 offset1:144
	v_add_f32_e32 v30, v30, v27
	v_mul_f32_e32 v25, v36, v21
	v_fma_f32 v18, v36, v20, -v18
	v_mul_f32_e32 v27, v37, v23
	v_add_f32_e32 v29, v29, v19
	v_mul_f32_e32 v19, v36, v23
	v_fmac_f32_e32 v25, v37, v20
	v_add_f32_e32 v3, v3, v18
	v_mul_f32_e32 v18, v53, v21
	v_fma_f32 v27, v36, v22, -v27
	v_fmac_f32_e32 v19, v37, v22
	v_mul_f32_e32 v21, v52, v21
	v_mul_f32_e32 v35, v53, v23
	v_fma_f32 v18, v52, v20, -v18
	v_add_f32_e32 v33, v26, v25
	v_add_f32_e32 v34, v24, v27
	ds_read_b128 v[24:27], v10 offset:1056
	v_add_f32_e32 v36, v28, v19
	v_fmac_f32_e32 v21, v53, v20
	v_mul_f32_e32 v23, v52, v23
	v_fma_f32 v19, v52, v22, -v35
	v_add_f32_e32 v35, v30, v18
	s_waitcnt lgkmcnt(1)
	v_mul_f32_e32 v18, v39, v15
	v_add_f32_e32 v37, v31, v21
	v_fmac_f32_e32 v23, v53, v22
	v_add_f32_e32 v22, v32, v19
	v_mul_f32_e32 v32, v38, v15
	v_fma_f32 v28, v38, v14, -v18
	ds_read2_b64 v[18:21], v9 offset0:160 offset1:176
	v_mul_f32_e32 v30, v39, v17
	v_mul_f32_e32 v46, v38, v17
	v_fmac_f32_e32 v32, v39, v14
	v_add_f32_e32 v23, v29, v23
	v_add_f32_e32 v3, v3, v28
	v_fma_f32 v38, v38, v16, -v30
	ds_read_b128 v[28:31], v10 offset:1072
	s_waitcnt lgkmcnt(2)
	v_mul_f32_e32 v47, v25, v15
	v_add_f32_e32 v32, v33, v32
	v_mul_f32_e32 v15, v24, v15
	v_add_f32_e32 v33, v34, v38
	v_mul_f32_e32 v38, v25, v17
	v_fmac_f32_e32 v46, v39, v16
	v_fma_f32 v34, v24, v14, -v47
	v_fmac_f32_e32 v15, v25, v14
	v_mul_f32_e32 v39, v24, v17
	v_fma_f32 v14, v24, v16, -v38
	v_add_f32_e32 v36, v36, v46
	v_add_f32_e32 v34, v35, v34
	s_waitcnt lgkmcnt(1)
	v_mul_f32_e32 v17, v41, v19
	v_add_f32_e32 v24, v37, v15
	v_fmac_f32_e32 v39, v25, v16
	v_mul_f32_e32 v25, v40, v19
	v_add_f32_e32 v22, v22, v14
	v_fma_f32 v35, v40, v18, -v17
	ds_read2_b64 v[14:17], v9 offset0:192 offset1:208
	v_mul_f32_e32 v37, v41, v21
	v_fmac_f32_e32 v25, v41, v18
	v_add_f32_e32 v38, v23, v39
	v_add_f32_e32 v3, v3, v35
	v_mul_f32_e32 v23, v40, v21
	v_fma_f32 v35, v40, v20, -v37
	v_add_f32_e32 v32, v32, v25
	v_mul_f32_e32 v25, v27, v19
	v_mul_f32_e32 v19, v26, v19
	v_fmac_f32_e32 v23, v41, v20
	v_add_f32_e32 v33, v33, v35
	v_mul_f32_e32 v35, v27, v21
	v_fma_f32 v25, v26, v18, -v25
	v_fmac_f32_e32 v19, v27, v18
	v_add_f32_e32 v18, v36, v23
	v_mul_f32_e32 v21, v26, v21
	v_fma_f32 v23, v26, v20, -v35
	v_add_f32_e32 v26, v34, v25
	v_add_f32_e32 v19, v24, v19
	s_waitcnt lgkmcnt(0)
	v_mul_f32_e32 v34, v43, v15
	v_fmac_f32_e32 v21, v27, v20
	v_add_f32_e32 v20, v22, v23
	ds_read2_b64 v[22:25], v9 offset0:224 offset1:240
	v_mul_f32_e32 v27, v42, v15
	v_fma_f32 v34, v42, v14, -v34
	v_mul_f32_e32 v35, v43, v17
	v_mul_f32_e32 v36, v42, v17
	v_add_f32_e32 v21, v38, v21
	v_fmac_f32_e32 v27, v43, v14
	v_add_f32_e32 v3, v3, v34
	v_mul_f32_e32 v34, v29, v15
	v_fma_f32 v35, v42, v16, -v35
	v_fmac_f32_e32 v36, v43, v16
	v_add_f32_e32 v27, v32, v27
	v_mul_f32_e32 v15, v28, v15
	v_fma_f32 v32, v28, v14, -v34
	v_mul_f32_e32 v34, v29, v17
	v_add_f32_e32 v33, v33, v35
	v_add_f32_e32 v35, v18, v36
	v_fmac_f32_e32 v15, v29, v14
	v_add_f32_e32 v14, v26, v32
	v_mul_f32_e32 v17, v28, v17
	v_fma_f32 v18, v28, v16, -v34
	s_waitcnt lgkmcnt(0)
	v_mul_f32_e32 v26, v45, v23
	v_mul_f32_e32 v28, v44, v23
	v_add_f32_e32 v15, v19, v15
	v_fmac_f32_e32 v17, v29, v16
	v_add_f32_e32 v29, v20, v18
	v_fma_f32 v16, v44, v22, -v26
	v_mul_f32_e32 v18, v45, v25
	v_mul_f32_e32 v19, v44, v25
	v_add_f32_e32 v26, v21, v17
	v_mul_f32_e32 v17, v30, v23
	v_add_f32_e32 v20, v3, v16
	v_fma_f32 v3, v44, v24, -v18
	v_mul_f32_e32 v16, v31, v23
	v_mul_f32_e32 v23, v31, v25
	;; [unrolled: 1-line block ×3, first 2 shown]
	v_fmac_f32_e32 v28, v45, v22
	v_fmac_f32_e32 v19, v45, v24
	v_add_f32_e32 v18, v33, v3
	v_fma_f32 v3, v30, v22, -v16
	v_fmac_f32_e32 v17, v31, v22
	v_fma_f32 v22, v30, v24, -v23
	v_fmac_f32_e32 v25, v31, v24
	v_add_f32_e32 v21, v27, v28
	v_add_f32_e32 v19, v35, v19
	;; [unrolled: 1-line block ×6, first 2 shown]
	s_barrier
	buffer_gl0_inv
	s_cbranch_scc0 .LBB372_16
.LBB372_8:                              ; =>This Inner Loop Header: Depth=1
	v_add_nc_u32_e32 v3, s9, v11
	v_cmp_le_i32_e32 vcc_lo, s21, v3
	s_or_b32 s2, s1, vcc_lo
	s_and_saveexec_b32 s3, s2
	s_xor_b32 s2, exec_lo, s3
; %bb.9:                                ;   in Loop: Header=BB372_8 Depth=1
	v_mov_b32_e32 v3, v2
	ds_write_b64 v12, v[2:3]
; %bb.10:                               ;   in Loop: Header=BB372_8 Depth=1
	s_andn2_saveexec_b32 s2, s2
	s_cbranch_execz .LBB372_12
; %bb.11:                               ;   in Loop: Header=BB372_8 Depth=1
	flat_load_dwordx2 v[22:23], v[4:5]
	s_waitcnt vmcnt(0) lgkmcnt(0)
	ds_write_b64 v12, v[22:23]
.LBB372_12:                             ;   in Loop: Header=BB372_8 Depth=1
	s_or_b32 exec_lo, exec_lo, s2
	v_add_nc_u32_e32 v3, s9, v8
	v_cmp_le_i32_e32 vcc_lo, s21, v3
	s_or_b32 s2, vcc_lo, s0
	s_and_saveexec_b32 s3, s2
	s_xor_b32 s2, exec_lo, s3
; %bb.13:                               ;   in Loop: Header=BB372_8 Depth=1
	v_mov_b32_e32 v3, v2
	ds_write_b64 v13, v[2:3]
; %bb.14:                               ;   in Loop: Header=BB372_8 Depth=1
	s_andn2_saveexec_b32 s2, s2
	s_cbranch_execz .LBB372_7
; %bb.15:                               ;   in Loop: Header=BB372_8 Depth=1
	flat_load_dwordx2 v[22:23], v[6:7]
	s_waitcnt vmcnt(0) lgkmcnt(0)
	ds_write_b64 v13, v[22:23]
	s_branch .LBB372_7
.LBB372_16:
	s_clause 0x1
	s_load_dword s3, s[4:5], 0x50
	s_load_dwordx2 s[4:5], s[4:5], 0x58
	v_add_nc_u32_e32 v9, s7, v1
	v_add_nc_u32_e32 v0, s6, v0
	v_cmp_neq_f32_e64 s2, s10, 0
	v_cmp_le_i32_e32 vcc_lo, v9, v0
	v_cmp_gt_i32_e64 s0, s20, v0
	s_waitcnt lgkmcnt(0)
	v_mad_i64_i32 v[1:2], null, v9, s3, 0
	s_lshl_b64 s[4:5], s[4:5], 3
	s_add_u32 s4, s22, s4
	s_addc_u32 s5, s23, s5
	s_xor_b32 s6, s26, -1
	s_or_b32 s2, s2, s6
	v_lshlrev_b64 v[2:3], 3, v[1:2]
	v_ashrrev_i32_e32 v1, 31, v0
	v_cndmask_b32_e64 v8, 0, 1, s2
	s_and_b32 s6, vcc_lo, s0
	v_add_co_u32 v6, s1, s4, v2
	v_add_co_ci_u32_e64 v7, null, s5, v3, s1
	s_and_saveexec_b32 s1, s6
	s_cbranch_execz .LBB372_20
; %bb.17:
	v_lshlrev_b64 v[4:5], 3, v[0:1]
	v_mul_f32_e32 v2, s15, v21
	v_mul_f32_e32 v3, s14, v21
	v_fma_f32 v2, v20, s14, -v2
	v_add_co_u32 v4, vcc_lo, v6, v4
	v_fmac_f32_e32 v3, s15, v20
	v_add_co_ci_u32_e64 v5, null, v7, v5, vcc_lo
	s_andn2_b32 vcc_lo, exec_lo, s2
	s_cbranch_vccnz .LBB372_19
; %bb.18:
	flat_load_dwordx2 v[10:11], v[4:5]
	s_waitcnt vmcnt(0) lgkmcnt(0)
	v_mul_f32_e32 v12, s11, v11
	v_mul_f32_e32 v11, s10, v11
	v_fma_f32 v12, v10, s10, -v12
	v_fmac_f32_e32 v11, s11, v10
	v_add_f32_e32 v2, v2, v12
	v_add_f32_e32 v3, v3, v11
.LBB372_19:
	flat_store_dwordx2 v[4:5], v[2:3]
.LBB372_20:
	s_or_b32 exec_lo, exec_lo, s1
	v_add_nc_u32_e32 v2, 16, v0
	v_cmp_le_i32_e32 vcc_lo, v9, v2
	v_cmp_gt_i32_e64 s1, s20, v2
	v_ashrrev_i32_e32 v3, 31, v2
	s_and_b32 s2, vcc_lo, s1
	s_and_saveexec_b32 s6, s2
	s_cbranch_execz .LBB372_24
; %bb.21:
	v_lshlrev_b64 v[10:11], 3, v[2:3]
	v_mul_f32_e32 v4, s15, v19
	v_mul_f32_e32 v5, s14, v19
	v_cmp_ne_u32_e32 vcc_lo, 1, v8
	v_fma_f32 v4, v18, s14, -v4
	v_add_co_u32 v6, s2, v6, v10
	v_fmac_f32_e32 v5, s15, v18
	v_add_co_ci_u32_e64 v7, null, v7, v11, s2
	s_cbranch_vccnz .LBB372_23
; %bb.22:
	flat_load_dwordx2 v[10:11], v[6:7]
	s_waitcnt vmcnt(0) lgkmcnt(0)
	v_mul_f32_e32 v12, s11, v11
	v_mul_f32_e32 v11, s10, v11
	v_fma_f32 v12, v10, s10, -v12
	v_fmac_f32_e32 v11, s11, v10
	v_add_f32_e32 v4, v4, v12
	v_add_f32_e32 v5, v5, v11
.LBB372_23:
	flat_store_dwordx2 v[6:7], v[4:5]
.LBB372_24:
	s_or_b32 exec_lo, exec_lo, s6
	v_add_nc_u32_e32 v9, 16, v9
	v_mad_i64_i32 v[4:5], null, v9, s3, 0
	v_cmp_le_i32_e32 vcc_lo, v9, v0
	s_and_b32 s0, vcc_lo, s0
	v_lshlrev_b64 v[4:5], 3, v[4:5]
	v_add_co_u32 v6, s2, s4, v4
	v_add_co_ci_u32_e64 v7, null, s5, v5, s2
	s_and_saveexec_b32 s2, s0
	s_cbranch_execz .LBB372_28
; %bb.25:
	v_lshlrev_b64 v[0:1], 3, v[0:1]
	v_mul_f32_e32 v4, s15, v17
	v_mul_f32_e32 v5, s14, v17
	v_cmp_ne_u32_e32 vcc_lo, 1, v8
	v_fma_f32 v4, v16, s14, -v4
	v_add_co_u32 v0, s0, v6, v0
	v_fmac_f32_e32 v5, s15, v16
	v_add_co_ci_u32_e64 v1, null, v7, v1, s0
	s_cbranch_vccnz .LBB372_27
; %bb.26:
	flat_load_dwordx2 v[10:11], v[0:1]
	s_waitcnt vmcnt(0) lgkmcnt(0)
	v_mul_f32_e32 v12, s11, v11
	v_mul_f32_e32 v11, s10, v11
	v_fma_f32 v12, v10, s10, -v12
	v_fmac_f32_e32 v11, s11, v10
	v_add_f32_e32 v4, v4, v12
	v_add_f32_e32 v5, v5, v11
.LBB372_27:
	flat_store_dwordx2 v[0:1], v[4:5]
.LBB372_28:
	s_or_b32 exec_lo, exec_lo, s2
	v_cmp_le_i32_e32 vcc_lo, v9, v2
	s_and_b32 s0, vcc_lo, s1
	s_and_saveexec_b32 s1, s0
	s_cbranch_execz .LBB372_32
; %bb.29:
	v_lshlrev_b64 v[2:3], 3, v[2:3]
	v_mul_f32_e32 v0, s15, v15
	v_mul_f32_e32 v1, s14, v15
	v_cmp_ne_u32_e32 vcc_lo, 1, v8
	v_fma_f32 v0, v14, s14, -v0
	v_add_co_u32 v2, s0, v6, v2
	v_fmac_f32_e32 v1, s15, v14
	v_add_co_ci_u32_e64 v3, null, v7, v3, s0
	s_cbranch_vccnz .LBB372_31
; %bb.30:
	flat_load_dwordx2 v[4:5], v[2:3]
	s_waitcnt vmcnt(0) lgkmcnt(0)
	v_mul_f32_e32 v6, s11, v5
	v_mul_f32_e32 v5, s10, v5
	v_fma_f32 v6, v4, s10, -v6
	v_fmac_f32_e32 v5, s11, v4
	v_add_f32_e32 v0, v0, v6
	v_add_f32_e32 v1, v1, v5
.LBB372_31:
	flat_store_dwordx2 v[2:3], v[0:1]
.LBB372_32:
	s_endpgm
	.section	.rodata,"a",@progbits
	.p2align	6, 0x0
	.amdhsa_kernel _ZL29rocblas_internal_gemmt_kernelIiLi16ELi32ELi8ELc84ELc78ELc76ELb0ELb0E19rocblas_complex_numIfEPKS1_PKS3_PKPS1_EviT_T9_T10_S9_lSB_S9_lSA_T11_S9_li
		.amdhsa_group_segment_fixed_size 4096
		.amdhsa_private_segment_fixed_size 0
		.amdhsa_kernarg_size 100
		.amdhsa_user_sgpr_count 6
		.amdhsa_user_sgpr_private_segment_buffer 1
		.amdhsa_user_sgpr_dispatch_ptr 0
		.amdhsa_user_sgpr_queue_ptr 0
		.amdhsa_user_sgpr_kernarg_segment_ptr 1
		.amdhsa_user_sgpr_dispatch_id 0
		.amdhsa_user_sgpr_flat_scratch_init 0
		.amdhsa_user_sgpr_private_segment_size 0
		.amdhsa_wavefront_size32 1
		.amdhsa_uses_dynamic_stack 0
		.amdhsa_system_sgpr_private_segment_wavefront_offset 0
		.amdhsa_system_sgpr_workgroup_id_x 1
		.amdhsa_system_sgpr_workgroup_id_y 1
		.amdhsa_system_sgpr_workgroup_id_z 1
		.amdhsa_system_sgpr_workgroup_info 0
		.amdhsa_system_vgpr_workitem_id 1
		.amdhsa_next_free_vgpr 59
		.amdhsa_next_free_sgpr 27
		.amdhsa_reserve_vcc 1
		.amdhsa_reserve_flat_scratch 0
		.amdhsa_float_round_mode_32 0
		.amdhsa_float_round_mode_16_64 0
		.amdhsa_float_denorm_mode_32 3
		.amdhsa_float_denorm_mode_16_64 3
		.amdhsa_dx10_clamp 1
		.amdhsa_ieee_mode 1
		.amdhsa_fp16_overflow 0
		.amdhsa_workgroup_processor_mode 1
		.amdhsa_memory_ordered 1
		.amdhsa_forward_progress 1
		.amdhsa_shared_vgpr_count 0
		.amdhsa_exception_fp_ieee_invalid_op 0
		.amdhsa_exception_fp_denorm_src 0
		.amdhsa_exception_fp_ieee_div_zero 0
		.amdhsa_exception_fp_ieee_overflow 0
		.amdhsa_exception_fp_ieee_underflow 0
		.amdhsa_exception_fp_ieee_inexact 0
		.amdhsa_exception_int_div_zero 0
	.end_amdhsa_kernel
	.section	.text._ZL29rocblas_internal_gemmt_kernelIiLi16ELi32ELi8ELc84ELc78ELc76ELb0ELb0E19rocblas_complex_numIfEPKS1_PKS3_PKPS1_EviT_T9_T10_S9_lSB_S9_lSA_T11_S9_li,"axG",@progbits,_ZL29rocblas_internal_gemmt_kernelIiLi16ELi32ELi8ELc84ELc78ELc76ELb0ELb0E19rocblas_complex_numIfEPKS1_PKS3_PKPS1_EviT_T9_T10_S9_lSB_S9_lSA_T11_S9_li,comdat
.Lfunc_end372:
	.size	_ZL29rocblas_internal_gemmt_kernelIiLi16ELi32ELi8ELc84ELc78ELc76ELb0ELb0E19rocblas_complex_numIfEPKS1_PKS3_PKPS1_EviT_T9_T10_S9_lSB_S9_lSA_T11_S9_li, .Lfunc_end372-_ZL29rocblas_internal_gemmt_kernelIiLi16ELi32ELi8ELc84ELc78ELc76ELb0ELb0E19rocblas_complex_numIfEPKS1_PKS3_PKPS1_EviT_T9_T10_S9_lSB_S9_lSA_T11_S9_li
                                        ; -- End function
	.set _ZL29rocblas_internal_gemmt_kernelIiLi16ELi32ELi8ELc84ELc78ELc76ELb0ELb0E19rocblas_complex_numIfEPKS1_PKS3_PKPS1_EviT_T9_T10_S9_lSB_S9_lSA_T11_S9_li.num_vgpr, 59
	.set _ZL29rocblas_internal_gemmt_kernelIiLi16ELi32ELi8ELc84ELc78ELc76ELb0ELb0E19rocblas_complex_numIfEPKS1_PKS3_PKPS1_EviT_T9_T10_S9_lSB_S9_lSA_T11_S9_li.num_agpr, 0
	.set _ZL29rocblas_internal_gemmt_kernelIiLi16ELi32ELi8ELc84ELc78ELc76ELb0ELb0E19rocblas_complex_numIfEPKS1_PKS3_PKPS1_EviT_T9_T10_S9_lSB_S9_lSA_T11_S9_li.numbered_sgpr, 27
	.set _ZL29rocblas_internal_gemmt_kernelIiLi16ELi32ELi8ELc84ELc78ELc76ELb0ELb0E19rocblas_complex_numIfEPKS1_PKS3_PKPS1_EviT_T9_T10_S9_lSB_S9_lSA_T11_S9_li.num_named_barrier, 0
	.set _ZL29rocblas_internal_gemmt_kernelIiLi16ELi32ELi8ELc84ELc78ELc76ELb0ELb0E19rocblas_complex_numIfEPKS1_PKS3_PKPS1_EviT_T9_T10_S9_lSB_S9_lSA_T11_S9_li.private_seg_size, 0
	.set _ZL29rocblas_internal_gemmt_kernelIiLi16ELi32ELi8ELc84ELc78ELc76ELb0ELb0E19rocblas_complex_numIfEPKS1_PKS3_PKPS1_EviT_T9_T10_S9_lSB_S9_lSA_T11_S9_li.uses_vcc, 1
	.set _ZL29rocblas_internal_gemmt_kernelIiLi16ELi32ELi8ELc84ELc78ELc76ELb0ELb0E19rocblas_complex_numIfEPKS1_PKS3_PKPS1_EviT_T9_T10_S9_lSB_S9_lSA_T11_S9_li.uses_flat_scratch, 0
	.set _ZL29rocblas_internal_gemmt_kernelIiLi16ELi32ELi8ELc84ELc78ELc76ELb0ELb0E19rocblas_complex_numIfEPKS1_PKS3_PKPS1_EviT_T9_T10_S9_lSB_S9_lSA_T11_S9_li.has_dyn_sized_stack, 0
	.set _ZL29rocblas_internal_gemmt_kernelIiLi16ELi32ELi8ELc84ELc78ELc76ELb0ELb0E19rocblas_complex_numIfEPKS1_PKS3_PKPS1_EviT_T9_T10_S9_lSB_S9_lSA_T11_S9_li.has_recursion, 0
	.set _ZL29rocblas_internal_gemmt_kernelIiLi16ELi32ELi8ELc84ELc78ELc76ELb0ELb0E19rocblas_complex_numIfEPKS1_PKS3_PKPS1_EviT_T9_T10_S9_lSB_S9_lSA_T11_S9_li.has_indirect_call, 0
	.section	.AMDGPU.csdata,"",@progbits
; Kernel info:
; codeLenInByte = 2516
; TotalNumSgprs: 29
; NumVgprs: 59
; ScratchSize: 0
; MemoryBound: 1
; FloatMode: 240
; IeeeMode: 1
; LDSByteSize: 4096 bytes/workgroup (compile time only)
; SGPRBlocks: 0
; VGPRBlocks: 7
; NumSGPRsForWavesPerEU: 29
; NumVGPRsForWavesPerEU: 59
; Occupancy: 16
; WaveLimiterHint : 1
; COMPUTE_PGM_RSRC2:SCRATCH_EN: 0
; COMPUTE_PGM_RSRC2:USER_SGPR: 6
; COMPUTE_PGM_RSRC2:TRAP_HANDLER: 0
; COMPUTE_PGM_RSRC2:TGID_X_EN: 1
; COMPUTE_PGM_RSRC2:TGID_Y_EN: 1
; COMPUTE_PGM_RSRC2:TGID_Z_EN: 1
; COMPUTE_PGM_RSRC2:TIDIG_COMP_CNT: 1
	.section	.text._ZL29rocblas_internal_gemmt_kernelIiLi16ELi32ELi8ELc84ELc84ELc76ELb0ELb0E19rocblas_complex_numIfEPKS1_PKS3_PKPS1_EviT_T9_T10_S9_lSB_S9_lSA_T11_S9_li,"axG",@progbits,_ZL29rocblas_internal_gemmt_kernelIiLi16ELi32ELi8ELc84ELc84ELc76ELb0ELb0E19rocblas_complex_numIfEPKS1_PKS3_PKPS1_EviT_T9_T10_S9_lSB_S9_lSA_T11_S9_li,comdat
	.globl	_ZL29rocblas_internal_gemmt_kernelIiLi16ELi32ELi8ELc84ELc84ELc76ELb0ELb0E19rocblas_complex_numIfEPKS1_PKS3_PKPS1_EviT_T9_T10_S9_lSB_S9_lSA_T11_S9_li ; -- Begin function _ZL29rocblas_internal_gemmt_kernelIiLi16ELi32ELi8ELc84ELc84ELc76ELb0ELb0E19rocblas_complex_numIfEPKS1_PKS3_PKPS1_EviT_T9_T10_S9_lSB_S9_lSA_T11_S9_li
	.p2align	8
	.type	_ZL29rocblas_internal_gemmt_kernelIiLi16ELi32ELi8ELc84ELc84ELc76ELb0ELb0E19rocblas_complex_numIfEPKS1_PKS3_PKPS1_EviT_T9_T10_S9_lSB_S9_lSA_T11_S9_li,@function
_ZL29rocblas_internal_gemmt_kernelIiLi16ELi32ELi8ELc84ELc84ELc76ELb0ELb0E19rocblas_complex_numIfEPKS1_PKS3_PKPS1_EviT_T9_T10_S9_lSB_S9_lSA_T11_S9_li: ; @_ZL29rocblas_internal_gemmt_kernelIiLi16ELi32ELi8ELc84ELc84ELc76ELb0ELb0E19rocblas_complex_numIfEPKS1_PKS3_PKPS1_EviT_T9_T10_S9_lSB_S9_lSA_T11_S9_li
; %bb.0:
	s_clause 0x1
	s_load_dwordx4 s[12:15], s[4:5], 0x38
	s_load_dwordx4 s[0:3], s[4:5], 0x8
	s_waitcnt lgkmcnt(0)
	s_load_dwordx2 s[10:11], s[14:15], 0x0
	s_load_dwordx2 s[20:21], s[4:5], 0x0
	;; [unrolled: 1-line block ×3, first 2 shown]
	s_waitcnt lgkmcnt(0)
	s_and_b32 s0, s11, 0x7fffffff
	v_cmp_eq_f32_e64 s1, s10, 1.0
	s_cmp_eq_u32 s0, 0
	s_mov_b32 s0, 0
	s_cselect_b32 s24, -1, 0
	s_and_b32 s1, s1, s24
	s_andn2_b32 vcc_lo, exec_lo, s1
	s_mov_b32 s1, -1
	s_cbranch_vccnz .LBB373_4
; %bb.1:
	s_cmp_lg_u32 s21, 0
	s_cbranch_scc0 .LBB373_3
; %bb.2:
	v_cmp_neq_f32_e64 s0, s14, 0
	v_cmp_neq_f32_e64 s1, s15, 0
	s_or_b32 s0, s0, s1
.LBB373_3:
	s_mov_b32 s1, s0
.LBB373_4:
	s_and_b32 vcc_lo, exec_lo, s1
	s_cbranch_vccz .LBB373_32
; %bb.5:
	s_load_dwordx2 s[16:17], s[4:5], 0x48
	s_mov_b32 s9, 0
	v_cmp_eq_f32_e64 s18, s14, 0
	s_lshl_b64 s[0:1], s[8:9], 3
	v_cmp_eq_f32_e64 s19, s15, 0
	v_mov_b32_e32 v20, 0
	v_mov_b32_e32 v21, 0
	;; [unrolled: 1-line block ×8, first 2 shown]
	s_waitcnt lgkmcnt(0)
	s_add_u32 s16, s16, s0
	s_addc_u32 s17, s17, s1
	s_lshl_b32 s8, s6, 5
	s_load_dwordx2 s[22:23], s[16:17], 0x0
	s_lshl_b32 s25, s7, 5
	s_and_b32 s6, s18, s19
	s_cmp_lt_i32 s21, 1
	s_cselect_b32 s7, -1, 0
	s_or_b32 s6, s6, s7
	s_and_b32 vcc_lo, exec_lo, s6
	s_cbranch_vccnz .LBB373_16
; %bb.6:
	s_clause 0x2
	s_load_dword s6, s[4:5], 0x30
	s_load_dword s26, s[4:5], 0x18
	s_load_dwordx4 s[16:19], s[4:5], 0x20
	v_lshl_add_u32 v2, v1, 4, v0
	v_and_b32_e32 v8, 7, v0
	v_lshlrev_b32_e32 v12, 3, v0
	v_lshl_add_u32 v13, v1, 6, 0x800
	v_mov_b32_e32 v17, 0
	v_and_b32_e32 v4, 31, v2
	v_lshrrev_b32_e32 v5, 3, v2
	v_lshlrev_b32_e32 v6, 3, v8
	v_lshrrev_b32_e32 v9, 5, v2
	v_mov_b32_e32 v16, 0
	v_or_b32_e32 v2, s8, v4
	v_lshlrev_b32_e32 v7, 3, v4
	v_add_nc_u32_e32 v4, s8, v4
	v_add_nc_u32_e32 v3, s25, v5
	v_lshl_or_b32 v11, v5, 6, v6
	v_cmp_gt_i32_e32 vcc_lo, s20, v2
	v_lshl_or_b32 v10, v9, 8, v7
	s_waitcnt lgkmcnt(0)
	s_ashr_i32 s7, s6, 31
	v_mad_i64_i32 v[5:6], null, s26, v4, 0
	s_add_u32 s18, s18, s0
	s_addc_u32 s19, s19, s1
	v_mad_i64_i32 v[14:15], null, s6, v8, 0
	s_add_u32 s0, s2, s0
	s_addc_u32 s1, s3, s1
	s_load_dwordx2 s[2:3], s[18:19], 0x0
	s_load_dwordx2 s[18:19], s[0:1], 0x0
	v_lshlrev_b64 v[5:6], 3, v[5:6]
	v_ashrrev_i32_e32 v4, 31, v3
	s_lshl_b64 s[16:17], s[16:17], 3
	v_lshlrev_b64 v[14:15], 3, v[14:15]
	v_lshlrev_b32_e32 v7, 3, v9
	s_lshl_b64 s[12:13], s[12:13], 3
	v_add_co_u32 v5, s1, v5, s16
	v_cmp_gt_i32_e64 s0, s20, v3
	v_lshlrev_b64 v[3:4], 3, v[3:4]
	v_add_co_ci_u32_e64 v6, null, s17, v6, s1
	v_add_co_u32 v14, s1, v14, s12
	v_add_co_ci_u32_e64 v15, null, s13, v15, s1
	v_add_co_u32 v5, s1, v5, v7
	;; [unrolled: 2-line block ×3, first 2 shown]
	v_add_co_ci_u32_e64 v7, null, v15, v4, s1
	s_waitcnt lgkmcnt(0)
	v_add_co_u32 v4, s1, s18, v5
	v_add_co_ci_u32_e64 v5, null, s19, v6, s1
	v_add_co_u32 v6, s1, s2, v3
	v_add_nc_u32_e32 v11, 0x800, v11
	v_mov_b32_e32 v2, 0
	v_add_co_ci_u32_e64 v7, null, s3, v7, s1
	v_mov_b32_e32 v15, 0
	v_mov_b32_e32 v14, 0
	;; [unrolled: 1-line block ×6, first 2 shown]
	s_lshl_b64 s[2:3], s[6:7], 6
	s_xor_b32 s1, vcc_lo, -1
	s_xor_b32 s0, s0, -1
	s_branch .LBB373_8
.LBB373_7:                              ;   in Loop: Header=BB373_8 Depth=1
	s_or_b32 exec_lo, exec_lo, s6
	s_waitcnt lgkmcnt(0)
	s_barrier
	buffer_gl0_inv
	ds_read_b128 v[22:25], v13
	ds_read2_b64 v[26:29], v12 offset1:16
	ds_read_b128 v[30:33], v13 offset:1024
	ds_read_b128 v[34:37], v13 offset:16
	;; [unrolled: 1-line block ×4, first 2 shown]
	ds_read2_b64 v[46:49], v12 offset0:32 offset1:48
	ds_read_b128 v[50:53], v13 offset:1040
	v_add_co_u32 v4, vcc_lo, v4, 64
	v_add_co_ci_u32_e64 v5, null, 0, v5, vcc_lo
	v_add_co_u32 v6, vcc_lo, v6, s2
	v_add_co_ci_u32_e64 v7, null, s3, v7, vcc_lo
	s_add_i32 s9, s9, 8
	s_cmp_lt_i32 s9, s21
	s_waitcnt lgkmcnt(6)
	v_mul_f32_e32 v3, v23, v27
	v_mul_f32_e32 v54, v22, v27
	;; [unrolled: 1-line block ×4, first 2 shown]
	s_waitcnt lgkmcnt(5)
	v_mul_f32_e32 v57, v31, v27
	v_mul_f32_e32 v27, v30, v27
	;; [unrolled: 1-line block ×3, first 2 shown]
	v_fma_f32 v3, v22, v26, -v3
	v_fmac_f32_e32 v54, v23, v26
	v_fma_f32 v22, v22, v28, -v55
	v_fmac_f32_e32 v56, v23, v28
	;; [unrolled: 2-line block ×3, first 2 shown]
	v_mul_f32_e32 v29, v30, v29
	v_fma_f32 v26, v30, v28, -v58
	v_add_f32_e32 v3, v20, v3
	v_add_f32_e32 v20, v21, v54
	;; [unrolled: 1-line block ×6, first 2 shown]
	s_waitcnt lgkmcnt(1)
	v_mul_f32_e32 v30, v25, v47
	ds_read2_b64 v[16:19], v12 offset0:64 offset1:80
	v_fmac_f32_e32 v29, v31, v28
	v_add_f32_e32 v14, v14, v26
	v_mul_f32_e32 v26, v24, v47
	v_fma_f32 v28, v24, v46, -v30
	v_mul_f32_e32 v30, v25, v49
	v_add_f32_e32 v15, v15, v29
	v_mul_f32_e32 v29, v24, v49
	v_fmac_f32_e32 v26, v25, v46
	v_add_f32_e32 v3, v3, v28
	v_fma_f32 v24, v24, v48, -v30
	v_mul_f32_e32 v28, v33, v47
	v_fmac_f32_e32 v29, v25, v48
	v_add_f32_e32 v26, v20, v26
	v_mul_f32_e32 v20, v32, v47
	v_add_f32_e32 v24, v21, v24
	v_fma_f32 v21, v32, v46, -v28
	v_mul_f32_e32 v25, v33, v49
	v_add_f32_e32 v28, v22, v29
	v_fmac_f32_e32 v20, v33, v46
	v_mul_f32_e32 v29, v32, v49
	v_add_f32_e32 v30, v23, v21
	v_fma_f32 v21, v32, v48, -v25
	s_waitcnt lgkmcnt(0)
	v_mul_f32_e32 v22, v35, v17
	v_add_f32_e32 v25, v27, v20
	v_fmac_f32_e32 v29, v33, v48
	v_mul_f32_e32 v27, v34, v17
	v_add_f32_e32 v14, v14, v21
	v_fma_f32 v31, v34, v16, -v22
	v_mul_f32_e32 v32, v35, v19
	ds_read2_b64 v[20:23], v12 offset0:96 offset1:112
	v_fmac_f32_e32 v27, v35, v16
	v_add_f32_e32 v29, v15, v29
	v_add_f32_e32 v3, v3, v31
	v_mul_f32_e32 v15, v34, v19
	v_fma_f32 v31, v34, v18, -v32
	v_add_f32_e32 v26, v26, v27
	v_mul_f32_e32 v27, v51, v17
	v_mul_f32_e32 v17, v50, v17
	v_fmac_f32_e32 v15, v35, v18
	v_add_f32_e32 v24, v24, v31
	v_mul_f32_e32 v31, v51, v19
	v_mul_f32_e32 v19, v50, v19
	v_fmac_f32_e32 v17, v51, v16
	v_add_f32_e32 v28, v28, v15
	v_fma_f32 v27, v50, v16, -v27
	v_fma_f32 v15, v50, v18, -v31
	v_fmac_f32_e32 v19, v51, v18
	v_add_f32_e32 v31, v25, v17
	s_waitcnt lgkmcnt(0)
	v_mul_f32_e32 v18, v37, v21
	v_add_f32_e32 v32, v14, v15
	ds_read2_b64 v[14:17], v12 offset0:128 offset1:144
	v_add_f32_e32 v30, v30, v27
	v_mul_f32_e32 v25, v36, v21
	v_fma_f32 v18, v36, v20, -v18
	v_mul_f32_e32 v27, v37, v23
	v_add_f32_e32 v29, v29, v19
	v_mul_f32_e32 v19, v36, v23
	v_fmac_f32_e32 v25, v37, v20
	v_add_f32_e32 v3, v3, v18
	v_mul_f32_e32 v18, v53, v21
	v_fma_f32 v27, v36, v22, -v27
	v_fmac_f32_e32 v19, v37, v22
	v_mul_f32_e32 v21, v52, v21
	v_mul_f32_e32 v35, v53, v23
	v_fma_f32 v18, v52, v20, -v18
	v_add_f32_e32 v33, v26, v25
	v_add_f32_e32 v34, v24, v27
	ds_read_b128 v[24:27], v13 offset:1056
	v_add_f32_e32 v36, v28, v19
	v_fmac_f32_e32 v21, v53, v20
	v_mul_f32_e32 v23, v52, v23
	v_fma_f32 v19, v52, v22, -v35
	v_add_f32_e32 v35, v30, v18
	s_waitcnt lgkmcnt(1)
	v_mul_f32_e32 v18, v39, v15
	v_add_f32_e32 v37, v31, v21
	v_fmac_f32_e32 v23, v53, v22
	v_add_f32_e32 v22, v32, v19
	v_mul_f32_e32 v32, v38, v15
	v_fma_f32 v28, v38, v14, -v18
	ds_read2_b64 v[18:21], v12 offset0:160 offset1:176
	v_mul_f32_e32 v30, v39, v17
	v_mul_f32_e32 v46, v38, v17
	v_fmac_f32_e32 v32, v39, v14
	v_add_f32_e32 v23, v29, v23
	v_add_f32_e32 v3, v3, v28
	v_fma_f32 v38, v38, v16, -v30
	ds_read_b128 v[28:31], v13 offset:1072
	s_waitcnt lgkmcnt(2)
	v_mul_f32_e32 v47, v25, v15
	v_add_f32_e32 v32, v33, v32
	v_mul_f32_e32 v15, v24, v15
	v_add_f32_e32 v33, v34, v38
	v_mul_f32_e32 v38, v25, v17
	v_fmac_f32_e32 v46, v39, v16
	v_fma_f32 v34, v24, v14, -v47
	v_fmac_f32_e32 v15, v25, v14
	v_mul_f32_e32 v39, v24, v17
	v_fma_f32 v14, v24, v16, -v38
	v_add_f32_e32 v36, v36, v46
	v_add_f32_e32 v34, v35, v34
	s_waitcnt lgkmcnt(1)
	v_mul_f32_e32 v17, v41, v19
	v_add_f32_e32 v24, v37, v15
	v_fmac_f32_e32 v39, v25, v16
	v_mul_f32_e32 v25, v40, v19
	v_add_f32_e32 v22, v22, v14
	v_fma_f32 v35, v40, v18, -v17
	ds_read2_b64 v[14:17], v12 offset0:192 offset1:208
	v_mul_f32_e32 v37, v41, v21
	v_fmac_f32_e32 v25, v41, v18
	v_add_f32_e32 v38, v23, v39
	v_add_f32_e32 v3, v3, v35
	v_mul_f32_e32 v23, v40, v21
	v_fma_f32 v35, v40, v20, -v37
	v_add_f32_e32 v32, v32, v25
	v_mul_f32_e32 v25, v27, v19
	v_mul_f32_e32 v19, v26, v19
	v_fmac_f32_e32 v23, v41, v20
	v_add_f32_e32 v33, v33, v35
	v_mul_f32_e32 v35, v27, v21
	v_fma_f32 v25, v26, v18, -v25
	v_fmac_f32_e32 v19, v27, v18
	v_add_f32_e32 v18, v36, v23
	v_mul_f32_e32 v21, v26, v21
	v_fma_f32 v23, v26, v20, -v35
	v_add_f32_e32 v26, v34, v25
	v_add_f32_e32 v19, v24, v19
	s_waitcnt lgkmcnt(0)
	v_mul_f32_e32 v34, v43, v15
	v_fmac_f32_e32 v21, v27, v20
	v_add_f32_e32 v20, v22, v23
	ds_read2_b64 v[22:25], v12 offset0:224 offset1:240
	v_mul_f32_e32 v27, v42, v15
	v_fma_f32 v34, v42, v14, -v34
	v_mul_f32_e32 v35, v43, v17
	v_mul_f32_e32 v36, v42, v17
	v_add_f32_e32 v21, v38, v21
	v_fmac_f32_e32 v27, v43, v14
	v_add_f32_e32 v3, v3, v34
	v_mul_f32_e32 v34, v29, v15
	v_fma_f32 v35, v42, v16, -v35
	v_fmac_f32_e32 v36, v43, v16
	v_add_f32_e32 v27, v32, v27
	v_mul_f32_e32 v15, v28, v15
	v_fma_f32 v32, v28, v14, -v34
	v_mul_f32_e32 v34, v29, v17
	v_add_f32_e32 v33, v33, v35
	v_add_f32_e32 v35, v18, v36
	v_fmac_f32_e32 v15, v29, v14
	v_add_f32_e32 v14, v26, v32
	v_mul_f32_e32 v17, v28, v17
	v_fma_f32 v18, v28, v16, -v34
	s_waitcnt lgkmcnt(0)
	v_mul_f32_e32 v26, v45, v23
	v_mul_f32_e32 v28, v44, v23
	v_add_f32_e32 v15, v19, v15
	v_fmac_f32_e32 v17, v29, v16
	v_add_f32_e32 v29, v20, v18
	v_fma_f32 v16, v44, v22, -v26
	v_mul_f32_e32 v18, v45, v25
	v_mul_f32_e32 v19, v44, v25
	v_add_f32_e32 v26, v21, v17
	v_mul_f32_e32 v17, v30, v23
	v_add_f32_e32 v20, v3, v16
	v_fma_f32 v3, v44, v24, -v18
	v_mul_f32_e32 v16, v31, v23
	v_mul_f32_e32 v23, v31, v25
	;; [unrolled: 1-line block ×3, first 2 shown]
	v_fmac_f32_e32 v28, v45, v22
	v_fmac_f32_e32 v19, v45, v24
	v_add_f32_e32 v18, v33, v3
	v_fma_f32 v3, v30, v22, -v16
	v_fmac_f32_e32 v17, v31, v22
	v_fma_f32 v22, v30, v24, -v23
	v_fmac_f32_e32 v25, v31, v24
	v_add_f32_e32 v21, v27, v28
	v_add_f32_e32 v19, v35, v19
	v_add_f32_e32 v16, v14, v3
	v_add_f32_e32 v17, v15, v17
	v_add_f32_e32 v14, v29, v22
	v_add_f32_e32 v15, v26, v25
	s_barrier
	buffer_gl0_inv
	s_cbranch_scc0 .LBB373_16
.LBB373_8:                              ; =>This Inner Loop Header: Depth=1
	v_add_nc_u32_e32 v3, s9, v9
	v_cmp_le_i32_e32 vcc_lo, s21, v3
	s_or_b32 s6, s1, vcc_lo
	s_and_saveexec_b32 s7, s6
	s_xor_b32 s6, exec_lo, s7
; %bb.9:                                ;   in Loop: Header=BB373_8 Depth=1
	v_mov_b32_e32 v3, v2
	ds_write_b64 v10, v[2:3]
; %bb.10:                               ;   in Loop: Header=BB373_8 Depth=1
	s_andn2_saveexec_b32 s6, s6
	s_cbranch_execz .LBB373_12
; %bb.11:                               ;   in Loop: Header=BB373_8 Depth=1
	flat_load_dwordx2 v[22:23], v[4:5]
	s_waitcnt vmcnt(0) lgkmcnt(0)
	ds_write_b64 v10, v[22:23]
.LBB373_12:                             ;   in Loop: Header=BB373_8 Depth=1
	s_or_b32 exec_lo, exec_lo, s6
	v_add_nc_u32_e32 v3, s9, v8
	v_cmp_le_i32_e32 vcc_lo, s21, v3
	s_or_b32 s6, vcc_lo, s0
	s_and_saveexec_b32 s7, s6
	s_xor_b32 s6, exec_lo, s7
; %bb.13:                               ;   in Loop: Header=BB373_8 Depth=1
	v_mov_b32_e32 v3, v2
	ds_write_b64 v11, v[2:3]
; %bb.14:                               ;   in Loop: Header=BB373_8 Depth=1
	s_andn2_saveexec_b32 s6, s6
	s_cbranch_execz .LBB373_7
; %bb.15:                               ;   in Loop: Header=BB373_8 Depth=1
	flat_load_dwordx2 v[22:23], v[6:7]
	s_waitcnt vmcnt(0) lgkmcnt(0)
	ds_write_b64 v11, v[22:23]
	s_branch .LBB373_7
.LBB373_16:
	s_clause 0x1
	s_load_dword s3, s[4:5], 0x50
	s_load_dwordx2 s[4:5], s[4:5], 0x58
	v_add_nc_u32_e32 v9, s25, v1
	v_add_nc_u32_e32 v0, s8, v0
	v_cmp_neq_f32_e64 s2, s10, 0
	v_cmp_le_i32_e32 vcc_lo, v9, v0
	v_cmp_gt_i32_e64 s0, s20, v0
	s_waitcnt lgkmcnt(0)
	v_mad_i64_i32 v[1:2], null, v9, s3, 0
	s_lshl_b64 s[4:5], s[4:5], 3
	s_add_u32 s4, s22, s4
	s_addc_u32 s5, s23, s5
	s_xor_b32 s6, s24, -1
	s_or_b32 s2, s2, s6
	v_lshlrev_b64 v[2:3], 3, v[1:2]
	v_ashrrev_i32_e32 v1, 31, v0
	v_cndmask_b32_e64 v8, 0, 1, s2
	s_and_b32 s6, vcc_lo, s0
	v_add_co_u32 v6, s1, s4, v2
	v_add_co_ci_u32_e64 v7, null, s5, v3, s1
	s_and_saveexec_b32 s1, s6
	s_cbranch_execz .LBB373_20
; %bb.17:
	v_lshlrev_b64 v[4:5], 3, v[0:1]
	v_mul_f32_e32 v2, s15, v21
	v_mul_f32_e32 v3, s14, v21
	v_fma_f32 v2, v20, s14, -v2
	v_add_co_u32 v4, vcc_lo, v6, v4
	v_fmac_f32_e32 v3, s15, v20
	v_add_co_ci_u32_e64 v5, null, v7, v5, vcc_lo
	s_andn2_b32 vcc_lo, exec_lo, s2
	s_cbranch_vccnz .LBB373_19
; %bb.18:
	flat_load_dwordx2 v[10:11], v[4:5]
	s_waitcnt vmcnt(0) lgkmcnt(0)
	v_mul_f32_e32 v12, s11, v11
	v_mul_f32_e32 v11, s10, v11
	v_fma_f32 v12, v10, s10, -v12
	v_fmac_f32_e32 v11, s11, v10
	v_add_f32_e32 v2, v2, v12
	v_add_f32_e32 v3, v3, v11
.LBB373_19:
	flat_store_dwordx2 v[4:5], v[2:3]
.LBB373_20:
	s_or_b32 exec_lo, exec_lo, s1
	v_add_nc_u32_e32 v2, 16, v0
	v_cmp_le_i32_e32 vcc_lo, v9, v2
	v_cmp_gt_i32_e64 s1, s20, v2
	v_ashrrev_i32_e32 v3, 31, v2
	s_and_b32 s2, vcc_lo, s1
	s_and_saveexec_b32 s6, s2
	s_cbranch_execz .LBB373_24
; %bb.21:
	v_lshlrev_b64 v[10:11], 3, v[2:3]
	v_mul_f32_e32 v4, s15, v19
	v_mul_f32_e32 v5, s14, v19
	v_cmp_ne_u32_e32 vcc_lo, 1, v8
	v_fma_f32 v4, v18, s14, -v4
	v_add_co_u32 v6, s2, v6, v10
	v_fmac_f32_e32 v5, s15, v18
	v_add_co_ci_u32_e64 v7, null, v7, v11, s2
	s_cbranch_vccnz .LBB373_23
; %bb.22:
	flat_load_dwordx2 v[10:11], v[6:7]
	s_waitcnt vmcnt(0) lgkmcnt(0)
	v_mul_f32_e32 v12, s11, v11
	v_mul_f32_e32 v11, s10, v11
	v_fma_f32 v12, v10, s10, -v12
	v_fmac_f32_e32 v11, s11, v10
	v_add_f32_e32 v4, v4, v12
	v_add_f32_e32 v5, v5, v11
.LBB373_23:
	flat_store_dwordx2 v[6:7], v[4:5]
.LBB373_24:
	s_or_b32 exec_lo, exec_lo, s6
	v_add_nc_u32_e32 v9, 16, v9
	v_mad_i64_i32 v[4:5], null, v9, s3, 0
	v_cmp_le_i32_e32 vcc_lo, v9, v0
	s_and_b32 s0, vcc_lo, s0
	v_lshlrev_b64 v[4:5], 3, v[4:5]
	v_add_co_u32 v6, s2, s4, v4
	v_add_co_ci_u32_e64 v7, null, s5, v5, s2
	s_and_saveexec_b32 s2, s0
	s_cbranch_execz .LBB373_28
; %bb.25:
	v_lshlrev_b64 v[0:1], 3, v[0:1]
	v_mul_f32_e32 v4, s15, v17
	v_mul_f32_e32 v5, s14, v17
	v_cmp_ne_u32_e32 vcc_lo, 1, v8
	v_fma_f32 v4, v16, s14, -v4
	v_add_co_u32 v0, s0, v6, v0
	v_fmac_f32_e32 v5, s15, v16
	v_add_co_ci_u32_e64 v1, null, v7, v1, s0
	s_cbranch_vccnz .LBB373_27
; %bb.26:
	flat_load_dwordx2 v[10:11], v[0:1]
	s_waitcnt vmcnt(0) lgkmcnt(0)
	v_mul_f32_e32 v12, s11, v11
	v_mul_f32_e32 v11, s10, v11
	v_fma_f32 v12, v10, s10, -v12
	v_fmac_f32_e32 v11, s11, v10
	v_add_f32_e32 v4, v4, v12
	v_add_f32_e32 v5, v5, v11
.LBB373_27:
	flat_store_dwordx2 v[0:1], v[4:5]
.LBB373_28:
	s_or_b32 exec_lo, exec_lo, s2
	v_cmp_le_i32_e32 vcc_lo, v9, v2
	s_and_b32 s0, vcc_lo, s1
	s_and_saveexec_b32 s1, s0
	s_cbranch_execz .LBB373_32
; %bb.29:
	v_lshlrev_b64 v[2:3], 3, v[2:3]
	v_mul_f32_e32 v0, s15, v15
	v_mul_f32_e32 v1, s14, v15
	v_cmp_ne_u32_e32 vcc_lo, 1, v8
	v_fma_f32 v0, v14, s14, -v0
	v_add_co_u32 v2, s0, v6, v2
	v_fmac_f32_e32 v1, s15, v14
	v_add_co_ci_u32_e64 v3, null, v7, v3, s0
	s_cbranch_vccnz .LBB373_31
; %bb.30:
	flat_load_dwordx2 v[4:5], v[2:3]
	s_waitcnt vmcnt(0) lgkmcnt(0)
	v_mul_f32_e32 v6, s11, v5
	v_mul_f32_e32 v5, s10, v5
	v_fma_f32 v6, v4, s10, -v6
	v_fmac_f32_e32 v5, s11, v4
	v_add_f32_e32 v0, v0, v6
	v_add_f32_e32 v1, v1, v5
.LBB373_31:
	flat_store_dwordx2 v[2:3], v[0:1]
.LBB373_32:
	s_endpgm
	.section	.rodata,"a",@progbits
	.p2align	6, 0x0
	.amdhsa_kernel _ZL29rocblas_internal_gemmt_kernelIiLi16ELi32ELi8ELc84ELc84ELc76ELb0ELb0E19rocblas_complex_numIfEPKS1_PKS3_PKPS1_EviT_T9_T10_S9_lSB_S9_lSA_T11_S9_li
		.amdhsa_group_segment_fixed_size 4096
		.amdhsa_private_segment_fixed_size 0
		.amdhsa_kernarg_size 100
		.amdhsa_user_sgpr_count 6
		.amdhsa_user_sgpr_private_segment_buffer 1
		.amdhsa_user_sgpr_dispatch_ptr 0
		.amdhsa_user_sgpr_queue_ptr 0
		.amdhsa_user_sgpr_kernarg_segment_ptr 1
		.amdhsa_user_sgpr_dispatch_id 0
		.amdhsa_user_sgpr_flat_scratch_init 0
		.amdhsa_user_sgpr_private_segment_size 0
		.amdhsa_wavefront_size32 1
		.amdhsa_uses_dynamic_stack 0
		.amdhsa_system_sgpr_private_segment_wavefront_offset 0
		.amdhsa_system_sgpr_workgroup_id_x 1
		.amdhsa_system_sgpr_workgroup_id_y 1
		.amdhsa_system_sgpr_workgroup_id_z 1
		.amdhsa_system_sgpr_workgroup_info 0
		.amdhsa_system_vgpr_workitem_id 1
		.amdhsa_next_free_vgpr 59
		.amdhsa_next_free_sgpr 27
		.amdhsa_reserve_vcc 1
		.amdhsa_reserve_flat_scratch 0
		.amdhsa_float_round_mode_32 0
		.amdhsa_float_round_mode_16_64 0
		.amdhsa_float_denorm_mode_32 3
		.amdhsa_float_denorm_mode_16_64 3
		.amdhsa_dx10_clamp 1
		.amdhsa_ieee_mode 1
		.amdhsa_fp16_overflow 0
		.amdhsa_workgroup_processor_mode 1
		.amdhsa_memory_ordered 1
		.amdhsa_forward_progress 1
		.amdhsa_shared_vgpr_count 0
		.amdhsa_exception_fp_ieee_invalid_op 0
		.amdhsa_exception_fp_denorm_src 0
		.amdhsa_exception_fp_ieee_div_zero 0
		.amdhsa_exception_fp_ieee_overflow 0
		.amdhsa_exception_fp_ieee_underflow 0
		.amdhsa_exception_fp_ieee_inexact 0
		.amdhsa_exception_int_div_zero 0
	.end_amdhsa_kernel
	.section	.text._ZL29rocblas_internal_gemmt_kernelIiLi16ELi32ELi8ELc84ELc84ELc76ELb0ELb0E19rocblas_complex_numIfEPKS1_PKS3_PKPS1_EviT_T9_T10_S9_lSB_S9_lSA_T11_S9_li,"axG",@progbits,_ZL29rocblas_internal_gemmt_kernelIiLi16ELi32ELi8ELc84ELc84ELc76ELb0ELb0E19rocblas_complex_numIfEPKS1_PKS3_PKPS1_EviT_T9_T10_S9_lSB_S9_lSA_T11_S9_li,comdat
.Lfunc_end373:
	.size	_ZL29rocblas_internal_gemmt_kernelIiLi16ELi32ELi8ELc84ELc84ELc76ELb0ELb0E19rocblas_complex_numIfEPKS1_PKS3_PKPS1_EviT_T9_T10_S9_lSB_S9_lSA_T11_S9_li, .Lfunc_end373-_ZL29rocblas_internal_gemmt_kernelIiLi16ELi32ELi8ELc84ELc84ELc76ELb0ELb0E19rocblas_complex_numIfEPKS1_PKS3_PKPS1_EviT_T9_T10_S9_lSB_S9_lSA_T11_S9_li
                                        ; -- End function
	.set _ZL29rocblas_internal_gemmt_kernelIiLi16ELi32ELi8ELc84ELc84ELc76ELb0ELb0E19rocblas_complex_numIfEPKS1_PKS3_PKPS1_EviT_T9_T10_S9_lSB_S9_lSA_T11_S9_li.num_vgpr, 59
	.set _ZL29rocblas_internal_gemmt_kernelIiLi16ELi32ELi8ELc84ELc84ELc76ELb0ELb0E19rocblas_complex_numIfEPKS1_PKS3_PKPS1_EviT_T9_T10_S9_lSB_S9_lSA_T11_S9_li.num_agpr, 0
	.set _ZL29rocblas_internal_gemmt_kernelIiLi16ELi32ELi8ELc84ELc84ELc76ELb0ELb0E19rocblas_complex_numIfEPKS1_PKS3_PKPS1_EviT_T9_T10_S9_lSB_S9_lSA_T11_S9_li.numbered_sgpr, 27
	.set _ZL29rocblas_internal_gemmt_kernelIiLi16ELi32ELi8ELc84ELc84ELc76ELb0ELb0E19rocblas_complex_numIfEPKS1_PKS3_PKPS1_EviT_T9_T10_S9_lSB_S9_lSA_T11_S9_li.num_named_barrier, 0
	.set _ZL29rocblas_internal_gemmt_kernelIiLi16ELi32ELi8ELc84ELc84ELc76ELb0ELb0E19rocblas_complex_numIfEPKS1_PKS3_PKPS1_EviT_T9_T10_S9_lSB_S9_lSA_T11_S9_li.private_seg_size, 0
	.set _ZL29rocblas_internal_gemmt_kernelIiLi16ELi32ELi8ELc84ELc84ELc76ELb0ELb0E19rocblas_complex_numIfEPKS1_PKS3_PKPS1_EviT_T9_T10_S9_lSB_S9_lSA_T11_S9_li.uses_vcc, 1
	.set _ZL29rocblas_internal_gemmt_kernelIiLi16ELi32ELi8ELc84ELc84ELc76ELb0ELb0E19rocblas_complex_numIfEPKS1_PKS3_PKPS1_EviT_T9_T10_S9_lSB_S9_lSA_T11_S9_li.uses_flat_scratch, 0
	.set _ZL29rocblas_internal_gemmt_kernelIiLi16ELi32ELi8ELc84ELc84ELc76ELb0ELb0E19rocblas_complex_numIfEPKS1_PKS3_PKPS1_EviT_T9_T10_S9_lSB_S9_lSA_T11_S9_li.has_dyn_sized_stack, 0
	.set _ZL29rocblas_internal_gemmt_kernelIiLi16ELi32ELi8ELc84ELc84ELc76ELb0ELb0E19rocblas_complex_numIfEPKS1_PKS3_PKPS1_EviT_T9_T10_S9_lSB_S9_lSA_T11_S9_li.has_recursion, 0
	.set _ZL29rocblas_internal_gemmt_kernelIiLi16ELi32ELi8ELc84ELc84ELc76ELb0ELb0E19rocblas_complex_numIfEPKS1_PKS3_PKPS1_EviT_T9_T10_S9_lSB_S9_lSA_T11_S9_li.has_indirect_call, 0
	.section	.AMDGPU.csdata,"",@progbits
; Kernel info:
; codeLenInByte = 2536
; TotalNumSgprs: 29
; NumVgprs: 59
; ScratchSize: 0
; MemoryBound: 1
; FloatMode: 240
; IeeeMode: 1
; LDSByteSize: 4096 bytes/workgroup (compile time only)
; SGPRBlocks: 0
; VGPRBlocks: 7
; NumSGPRsForWavesPerEU: 29
; NumVGPRsForWavesPerEU: 59
; Occupancy: 16
; WaveLimiterHint : 1
; COMPUTE_PGM_RSRC2:SCRATCH_EN: 0
; COMPUTE_PGM_RSRC2:USER_SGPR: 6
; COMPUTE_PGM_RSRC2:TRAP_HANDLER: 0
; COMPUTE_PGM_RSRC2:TGID_X_EN: 1
; COMPUTE_PGM_RSRC2:TGID_Y_EN: 1
; COMPUTE_PGM_RSRC2:TGID_Z_EN: 1
; COMPUTE_PGM_RSRC2:TIDIG_COMP_CNT: 1
	.section	.text._ZL29rocblas_internal_gemmt_kernelIiLi16ELi32ELi8ELc84ELc67ELc76ELb0ELb1E19rocblas_complex_numIfEPKS1_PKS3_PKPS1_EviT_T9_T10_S9_lSB_S9_lSA_T11_S9_li,"axG",@progbits,_ZL29rocblas_internal_gemmt_kernelIiLi16ELi32ELi8ELc84ELc67ELc76ELb0ELb1E19rocblas_complex_numIfEPKS1_PKS3_PKPS1_EviT_T9_T10_S9_lSB_S9_lSA_T11_S9_li,comdat
	.globl	_ZL29rocblas_internal_gemmt_kernelIiLi16ELi32ELi8ELc84ELc67ELc76ELb0ELb1E19rocblas_complex_numIfEPKS1_PKS3_PKPS1_EviT_T9_T10_S9_lSB_S9_lSA_T11_S9_li ; -- Begin function _ZL29rocblas_internal_gemmt_kernelIiLi16ELi32ELi8ELc84ELc67ELc76ELb0ELb1E19rocblas_complex_numIfEPKS1_PKS3_PKPS1_EviT_T9_T10_S9_lSB_S9_lSA_T11_S9_li
	.p2align	8
	.type	_ZL29rocblas_internal_gemmt_kernelIiLi16ELi32ELi8ELc84ELc67ELc76ELb0ELb1E19rocblas_complex_numIfEPKS1_PKS3_PKPS1_EviT_T9_T10_S9_lSB_S9_lSA_T11_S9_li,@function
_ZL29rocblas_internal_gemmt_kernelIiLi16ELi32ELi8ELc84ELc67ELc76ELb0ELb1E19rocblas_complex_numIfEPKS1_PKS3_PKPS1_EviT_T9_T10_S9_lSB_S9_lSA_T11_S9_li: ; @_ZL29rocblas_internal_gemmt_kernelIiLi16ELi32ELi8ELc84ELc67ELc76ELb0ELb1E19rocblas_complex_numIfEPKS1_PKS3_PKPS1_EviT_T9_T10_S9_lSB_S9_lSA_T11_S9_li
; %bb.0:
	s_clause 0x1
	s_load_dwordx4 s[12:15], s[4:5], 0x38
	s_load_dwordx4 s[0:3], s[4:5], 0x8
	s_waitcnt lgkmcnt(0)
	s_load_dwordx2 s[10:11], s[14:15], 0x0
	s_load_dwordx2 s[20:21], s[4:5], 0x0
	s_load_dwordx2 s[14:15], s[0:1], 0x0
	s_waitcnt lgkmcnt(0)
	s_and_b32 s0, s11, 0x7fffffff
	v_cmp_eq_f32_e64 s1, s10, 1.0
	s_cmp_eq_u32 s0, 0
	s_mov_b32 s0, 0
	s_cselect_b32 s24, -1, 0
	s_and_b32 s1, s1, s24
	s_andn2_b32 vcc_lo, exec_lo, s1
	s_mov_b32 s1, -1
	s_cbranch_vccnz .LBB374_4
; %bb.1:
	s_cmp_lg_u32 s21, 0
	s_cbranch_scc0 .LBB374_3
; %bb.2:
	v_cmp_neq_f32_e64 s0, s14, 0
	v_cmp_neq_f32_e64 s1, s15, 0
	s_or_b32 s0, s0, s1
.LBB374_3:
	s_mov_b32 s1, s0
.LBB374_4:
	s_and_b32 vcc_lo, exec_lo, s1
	s_cbranch_vccz .LBB374_32
; %bb.5:
	s_load_dwordx2 s[16:17], s[4:5], 0x48
	s_mov_b32 s9, 0
	v_cmp_eq_f32_e64 s18, s14, 0
	s_lshl_b64 s[0:1], s[8:9], 3
	v_cmp_eq_f32_e64 s19, s15, 0
	v_mov_b32_e32 v20, 0
	v_mov_b32_e32 v21, 0
	;; [unrolled: 1-line block ×8, first 2 shown]
	s_waitcnt lgkmcnt(0)
	s_add_u32 s16, s16, s0
	s_addc_u32 s17, s17, s1
	s_lshl_b32 s8, s6, 5
	s_load_dwordx2 s[22:23], s[16:17], 0x0
	s_lshl_b32 s25, s7, 5
	s_and_b32 s6, s18, s19
	s_cmp_lt_i32 s21, 1
	s_cselect_b32 s7, -1, 0
	s_or_b32 s6, s6, s7
	s_and_b32 vcc_lo, exec_lo, s6
	s_cbranch_vccnz .LBB374_16
; %bb.6:
	s_clause 0x2
	s_load_dword s6, s[4:5], 0x30
	s_load_dword s26, s[4:5], 0x18
	s_load_dwordx4 s[16:19], s[4:5], 0x20
	v_lshl_add_u32 v2, v1, 4, v0
	v_and_b32_e32 v8, 7, v0
	v_lshlrev_b32_e32 v12, 3, v0
	v_lshl_add_u32 v13, v1, 6, 0x800
	v_mov_b32_e32 v17, 0
	v_and_b32_e32 v4, 31, v2
	v_lshrrev_b32_e32 v5, 3, v2
	v_lshlrev_b32_e32 v6, 3, v8
	v_lshrrev_b32_e32 v9, 5, v2
	v_mov_b32_e32 v16, 0
	v_or_b32_e32 v2, s8, v4
	v_lshlrev_b32_e32 v7, 3, v4
	v_add_nc_u32_e32 v4, s8, v4
	v_add_nc_u32_e32 v3, s25, v5
	v_lshl_or_b32 v11, v5, 6, v6
	v_cmp_gt_i32_e32 vcc_lo, s20, v2
	v_lshl_or_b32 v10, v9, 8, v7
	s_waitcnt lgkmcnt(0)
	s_ashr_i32 s7, s6, 31
	v_mad_i64_i32 v[5:6], null, s26, v4, 0
	s_add_u32 s18, s18, s0
	s_addc_u32 s19, s19, s1
	v_mad_i64_i32 v[14:15], null, s6, v8, 0
	s_add_u32 s0, s2, s0
	s_addc_u32 s1, s3, s1
	s_load_dwordx2 s[2:3], s[18:19], 0x0
	s_load_dwordx2 s[18:19], s[0:1], 0x0
	v_lshlrev_b64 v[5:6], 3, v[5:6]
	v_ashrrev_i32_e32 v4, 31, v3
	s_lshl_b64 s[16:17], s[16:17], 3
	v_lshlrev_b64 v[14:15], 3, v[14:15]
	v_lshlrev_b32_e32 v7, 3, v9
	s_lshl_b64 s[12:13], s[12:13], 3
	v_add_co_u32 v5, s1, v5, s16
	v_cmp_gt_i32_e64 s0, s20, v3
	v_lshlrev_b64 v[3:4], 3, v[3:4]
	v_add_co_ci_u32_e64 v6, null, s17, v6, s1
	v_add_co_u32 v14, s1, v14, s12
	v_add_co_ci_u32_e64 v15, null, s13, v15, s1
	v_add_co_u32 v5, s1, v5, v7
	v_add_co_ci_u32_e64 v6, null, 0, v6, s1
	v_add_co_u32 v3, s1, v14, v3
	v_add_co_ci_u32_e64 v7, null, v15, v4, s1
	s_waitcnt lgkmcnt(0)
	v_add_co_u32 v4, s1, s18, v5
	v_add_co_ci_u32_e64 v5, null, s19, v6, s1
	v_add_co_u32 v6, s1, s2, v3
	v_add_nc_u32_e32 v11, 0x800, v11
	v_mov_b32_e32 v2, 0
	v_add_co_ci_u32_e64 v7, null, s3, v7, s1
	v_mov_b32_e32 v15, 0
	v_mov_b32_e32 v14, 0
	;; [unrolled: 1-line block ×6, first 2 shown]
	s_lshl_b64 s[2:3], s[6:7], 6
	s_xor_b32 s1, vcc_lo, -1
	s_xor_b32 s0, s0, -1
	s_branch .LBB374_8
.LBB374_7:                              ;   in Loop: Header=BB374_8 Depth=1
	s_or_b32 exec_lo, exec_lo, s6
	ds_write_b32 v11, v3 offset:4
	s_waitcnt lgkmcnt(0)
	s_barrier
	buffer_gl0_inv
	ds_read_b128 v[22:25], v13
	ds_read2_b64 v[26:29], v12 offset1:16
	ds_read_b128 v[30:33], v13 offset:1024
	ds_read_b128 v[34:37], v13 offset:16
	;; [unrolled: 1-line block ×4, first 2 shown]
	ds_read2_b64 v[46:49], v12 offset0:32 offset1:48
	ds_read_b128 v[50:53], v13 offset:1040
	v_add_co_u32 v4, vcc_lo, v4, 64
	v_add_co_ci_u32_e64 v5, null, 0, v5, vcc_lo
	v_add_co_u32 v6, vcc_lo, v6, s2
	v_add_co_ci_u32_e64 v7, null, s3, v7, vcc_lo
	s_add_i32 s9, s9, 8
	s_cmp_lt_i32 s9, s21
	s_waitcnt lgkmcnt(6)
	v_mul_f32_e32 v3, v23, v27
	v_mul_f32_e32 v54, v22, v27
	;; [unrolled: 1-line block ×4, first 2 shown]
	s_waitcnt lgkmcnt(5)
	v_mul_f32_e32 v57, v31, v27
	v_mul_f32_e32 v27, v30, v27
	;; [unrolled: 1-line block ×3, first 2 shown]
	v_fma_f32 v3, v22, v26, -v3
	v_fmac_f32_e32 v54, v23, v26
	v_fma_f32 v22, v22, v28, -v55
	v_fmac_f32_e32 v56, v23, v28
	;; [unrolled: 2-line block ×3, first 2 shown]
	v_mul_f32_e32 v29, v30, v29
	v_fma_f32 v26, v30, v28, -v58
	v_add_f32_e32 v3, v20, v3
	v_add_f32_e32 v20, v21, v54
	;; [unrolled: 1-line block ×6, first 2 shown]
	s_waitcnt lgkmcnt(1)
	v_mul_f32_e32 v30, v25, v47
	ds_read2_b64 v[16:19], v12 offset0:64 offset1:80
	v_fmac_f32_e32 v29, v31, v28
	v_add_f32_e32 v14, v14, v26
	v_mul_f32_e32 v26, v24, v47
	v_fma_f32 v28, v24, v46, -v30
	v_mul_f32_e32 v30, v25, v49
	v_add_f32_e32 v15, v15, v29
	v_mul_f32_e32 v29, v24, v49
	v_fmac_f32_e32 v26, v25, v46
	v_add_f32_e32 v3, v3, v28
	v_fma_f32 v24, v24, v48, -v30
	v_mul_f32_e32 v28, v33, v47
	v_fmac_f32_e32 v29, v25, v48
	v_add_f32_e32 v26, v20, v26
	v_mul_f32_e32 v20, v32, v47
	v_add_f32_e32 v24, v21, v24
	v_fma_f32 v21, v32, v46, -v28
	v_mul_f32_e32 v25, v33, v49
	v_add_f32_e32 v28, v22, v29
	v_fmac_f32_e32 v20, v33, v46
	v_mul_f32_e32 v29, v32, v49
	v_add_f32_e32 v30, v23, v21
	v_fma_f32 v21, v32, v48, -v25
	s_waitcnt lgkmcnt(0)
	v_mul_f32_e32 v22, v35, v17
	v_add_f32_e32 v25, v27, v20
	v_fmac_f32_e32 v29, v33, v48
	v_mul_f32_e32 v27, v34, v17
	v_add_f32_e32 v14, v14, v21
	v_fma_f32 v31, v34, v16, -v22
	v_mul_f32_e32 v32, v35, v19
	ds_read2_b64 v[20:23], v12 offset0:96 offset1:112
	v_fmac_f32_e32 v27, v35, v16
	v_add_f32_e32 v29, v15, v29
	v_add_f32_e32 v3, v3, v31
	v_mul_f32_e32 v15, v34, v19
	v_fma_f32 v31, v34, v18, -v32
	v_add_f32_e32 v26, v26, v27
	v_mul_f32_e32 v27, v51, v17
	v_mul_f32_e32 v17, v50, v17
	v_fmac_f32_e32 v15, v35, v18
	v_add_f32_e32 v24, v24, v31
	v_mul_f32_e32 v31, v51, v19
	v_mul_f32_e32 v19, v50, v19
	v_fmac_f32_e32 v17, v51, v16
	v_add_f32_e32 v28, v28, v15
	v_fma_f32 v27, v50, v16, -v27
	v_fma_f32 v15, v50, v18, -v31
	v_fmac_f32_e32 v19, v51, v18
	v_add_f32_e32 v31, v25, v17
	s_waitcnt lgkmcnt(0)
	v_mul_f32_e32 v18, v37, v21
	v_add_f32_e32 v32, v14, v15
	ds_read2_b64 v[14:17], v12 offset0:128 offset1:144
	v_add_f32_e32 v30, v30, v27
	v_mul_f32_e32 v25, v36, v21
	v_fma_f32 v18, v36, v20, -v18
	v_mul_f32_e32 v27, v37, v23
	v_add_f32_e32 v29, v29, v19
	v_mul_f32_e32 v19, v36, v23
	v_fmac_f32_e32 v25, v37, v20
	v_add_f32_e32 v3, v3, v18
	v_mul_f32_e32 v18, v53, v21
	v_fma_f32 v27, v36, v22, -v27
	v_fmac_f32_e32 v19, v37, v22
	v_mul_f32_e32 v21, v52, v21
	v_mul_f32_e32 v35, v53, v23
	v_fma_f32 v18, v52, v20, -v18
	v_add_f32_e32 v33, v26, v25
	v_add_f32_e32 v34, v24, v27
	ds_read_b128 v[24:27], v13 offset:1056
	v_add_f32_e32 v36, v28, v19
	v_fmac_f32_e32 v21, v53, v20
	v_mul_f32_e32 v23, v52, v23
	v_fma_f32 v19, v52, v22, -v35
	v_add_f32_e32 v35, v30, v18
	s_waitcnt lgkmcnt(1)
	v_mul_f32_e32 v18, v39, v15
	v_add_f32_e32 v37, v31, v21
	v_fmac_f32_e32 v23, v53, v22
	v_add_f32_e32 v22, v32, v19
	v_mul_f32_e32 v32, v38, v15
	v_fma_f32 v28, v38, v14, -v18
	ds_read2_b64 v[18:21], v12 offset0:160 offset1:176
	v_mul_f32_e32 v30, v39, v17
	v_mul_f32_e32 v46, v38, v17
	v_fmac_f32_e32 v32, v39, v14
	v_add_f32_e32 v23, v29, v23
	v_add_f32_e32 v3, v3, v28
	v_fma_f32 v38, v38, v16, -v30
	ds_read_b128 v[28:31], v13 offset:1072
	s_waitcnt lgkmcnt(2)
	v_mul_f32_e32 v47, v25, v15
	v_add_f32_e32 v32, v33, v32
	v_mul_f32_e32 v15, v24, v15
	v_add_f32_e32 v33, v34, v38
	v_mul_f32_e32 v38, v25, v17
	v_fmac_f32_e32 v46, v39, v16
	v_fma_f32 v34, v24, v14, -v47
	v_fmac_f32_e32 v15, v25, v14
	v_mul_f32_e32 v39, v24, v17
	v_fma_f32 v14, v24, v16, -v38
	v_add_f32_e32 v36, v36, v46
	v_add_f32_e32 v34, v35, v34
	s_waitcnt lgkmcnt(1)
	v_mul_f32_e32 v17, v41, v19
	v_add_f32_e32 v24, v37, v15
	v_fmac_f32_e32 v39, v25, v16
	v_mul_f32_e32 v25, v40, v19
	v_add_f32_e32 v22, v22, v14
	v_fma_f32 v35, v40, v18, -v17
	ds_read2_b64 v[14:17], v12 offset0:192 offset1:208
	v_mul_f32_e32 v37, v41, v21
	v_fmac_f32_e32 v25, v41, v18
	v_add_f32_e32 v38, v23, v39
	v_add_f32_e32 v3, v3, v35
	v_mul_f32_e32 v23, v40, v21
	v_fma_f32 v35, v40, v20, -v37
	v_add_f32_e32 v32, v32, v25
	v_mul_f32_e32 v25, v27, v19
	v_mul_f32_e32 v19, v26, v19
	v_fmac_f32_e32 v23, v41, v20
	v_add_f32_e32 v33, v33, v35
	v_mul_f32_e32 v35, v27, v21
	v_fma_f32 v25, v26, v18, -v25
	v_fmac_f32_e32 v19, v27, v18
	v_add_f32_e32 v18, v36, v23
	v_mul_f32_e32 v21, v26, v21
	v_fma_f32 v23, v26, v20, -v35
	v_add_f32_e32 v26, v34, v25
	v_add_f32_e32 v19, v24, v19
	s_waitcnt lgkmcnt(0)
	v_mul_f32_e32 v34, v43, v15
	v_fmac_f32_e32 v21, v27, v20
	v_add_f32_e32 v20, v22, v23
	ds_read2_b64 v[22:25], v12 offset0:224 offset1:240
	v_mul_f32_e32 v27, v42, v15
	v_fma_f32 v34, v42, v14, -v34
	v_mul_f32_e32 v35, v43, v17
	v_mul_f32_e32 v36, v42, v17
	v_add_f32_e32 v21, v38, v21
	v_fmac_f32_e32 v27, v43, v14
	v_add_f32_e32 v3, v3, v34
	v_mul_f32_e32 v34, v29, v15
	v_fma_f32 v35, v42, v16, -v35
	v_fmac_f32_e32 v36, v43, v16
	v_add_f32_e32 v27, v32, v27
	v_mul_f32_e32 v15, v28, v15
	v_fma_f32 v32, v28, v14, -v34
	v_mul_f32_e32 v34, v29, v17
	v_add_f32_e32 v33, v33, v35
	v_add_f32_e32 v35, v18, v36
	v_fmac_f32_e32 v15, v29, v14
	v_add_f32_e32 v14, v26, v32
	v_mul_f32_e32 v17, v28, v17
	v_fma_f32 v18, v28, v16, -v34
	s_waitcnt lgkmcnt(0)
	v_mul_f32_e32 v26, v45, v23
	v_mul_f32_e32 v28, v44, v23
	v_add_f32_e32 v15, v19, v15
	v_fmac_f32_e32 v17, v29, v16
	v_add_f32_e32 v29, v20, v18
	v_fma_f32 v16, v44, v22, -v26
	v_mul_f32_e32 v18, v45, v25
	v_mul_f32_e32 v19, v44, v25
	v_add_f32_e32 v26, v21, v17
	v_mul_f32_e32 v17, v30, v23
	v_add_f32_e32 v20, v3, v16
	v_fma_f32 v3, v44, v24, -v18
	v_mul_f32_e32 v16, v31, v23
	v_mul_f32_e32 v23, v31, v25
	;; [unrolled: 1-line block ×3, first 2 shown]
	v_fmac_f32_e32 v28, v45, v22
	v_fmac_f32_e32 v19, v45, v24
	v_add_f32_e32 v18, v33, v3
	v_fma_f32 v3, v30, v22, -v16
	v_fmac_f32_e32 v17, v31, v22
	v_fma_f32 v22, v30, v24, -v23
	v_fmac_f32_e32 v25, v31, v24
	v_add_f32_e32 v21, v27, v28
	v_add_f32_e32 v19, v35, v19
	;; [unrolled: 1-line block ×6, first 2 shown]
	s_barrier
	buffer_gl0_inv
	s_cbranch_scc0 .LBB374_16
.LBB374_8:                              ; =>This Inner Loop Header: Depth=1
	v_add_nc_u32_e32 v3, s9, v9
	v_cmp_le_i32_e32 vcc_lo, s21, v3
	s_or_b32 s6, s1, vcc_lo
	s_and_saveexec_b32 s7, s6
	s_xor_b32 s6, exec_lo, s7
; %bb.9:                                ;   in Loop: Header=BB374_8 Depth=1
	v_mov_b32_e32 v3, v2
	ds_write_b64 v10, v[2:3]
; %bb.10:                               ;   in Loop: Header=BB374_8 Depth=1
	s_andn2_saveexec_b32 s6, s6
	s_cbranch_execz .LBB374_12
; %bb.11:                               ;   in Loop: Header=BB374_8 Depth=1
	flat_load_dwordx2 v[22:23], v[4:5]
	s_waitcnt vmcnt(0) lgkmcnt(0)
	ds_write_b64 v10, v[22:23]
.LBB374_12:                             ;   in Loop: Header=BB374_8 Depth=1
	s_or_b32 exec_lo, exec_lo, s6
	v_add_nc_u32_e32 v3, s9, v8
	v_cmp_le_i32_e32 vcc_lo, s21, v3
	s_or_b32 s6, vcc_lo, s0
	s_and_saveexec_b32 s7, s6
	s_xor_b32 s6, exec_lo, s7
; %bb.13:                               ;   in Loop: Header=BB374_8 Depth=1
	ds_write_b32 v11, v2
; %bb.14:                               ;   in Loop: Header=BB374_8 Depth=1
	s_or_saveexec_b32 s6, s6
	v_mov_b32_e32 v3, 0
	s_xor_b32 exec_lo, exec_lo, s6
	s_cbranch_execz .LBB374_7
; %bb.15:                               ;   in Loop: Header=BB374_8 Depth=1
	flat_load_dwordx2 v[22:23], v[6:7]
	s_waitcnt vmcnt(0) lgkmcnt(0)
	v_xor_b32_e32 v3, 0x80000000, v23
	ds_write_b32 v11, v22
	s_branch .LBB374_7
.LBB374_16:
	s_clause 0x1
	s_load_dword s3, s[4:5], 0x50
	s_load_dwordx2 s[4:5], s[4:5], 0x58
	v_add_nc_u32_e32 v9, s25, v1
	v_add_nc_u32_e32 v0, s8, v0
	v_cmp_neq_f32_e64 s2, s10, 0
	v_cmp_le_i32_e32 vcc_lo, v9, v0
	v_cmp_gt_i32_e64 s0, s20, v0
	s_waitcnt lgkmcnt(0)
	v_mad_i64_i32 v[1:2], null, v9, s3, 0
	s_lshl_b64 s[4:5], s[4:5], 3
	s_add_u32 s4, s22, s4
	s_addc_u32 s5, s23, s5
	s_xor_b32 s6, s24, -1
	s_or_b32 s2, s2, s6
	v_lshlrev_b64 v[2:3], 3, v[1:2]
	v_ashrrev_i32_e32 v1, 31, v0
	v_cndmask_b32_e64 v8, 0, 1, s2
	s_and_b32 s6, vcc_lo, s0
	v_add_co_u32 v6, s1, s4, v2
	v_add_co_ci_u32_e64 v7, null, s5, v3, s1
	s_and_saveexec_b32 s1, s6
	s_cbranch_execz .LBB374_20
; %bb.17:
	v_lshlrev_b64 v[4:5], 3, v[0:1]
	v_mul_f32_e32 v2, s15, v21
	v_mul_f32_e32 v3, s14, v21
	v_fma_f32 v2, v20, s14, -v2
	v_add_co_u32 v4, vcc_lo, v6, v4
	v_fmac_f32_e32 v3, s15, v20
	v_add_co_ci_u32_e64 v5, null, v7, v5, vcc_lo
	s_andn2_b32 vcc_lo, exec_lo, s2
	s_cbranch_vccnz .LBB374_19
; %bb.18:
	flat_load_dwordx2 v[10:11], v[4:5]
	s_waitcnt vmcnt(0) lgkmcnt(0)
	v_mul_f32_e32 v12, s11, v11
	v_mul_f32_e32 v11, s10, v11
	v_fma_f32 v12, v10, s10, -v12
	v_fmac_f32_e32 v11, s11, v10
	v_add_f32_e32 v2, v2, v12
	v_add_f32_e32 v3, v3, v11
.LBB374_19:
	flat_store_dwordx2 v[4:5], v[2:3]
.LBB374_20:
	s_or_b32 exec_lo, exec_lo, s1
	v_add_nc_u32_e32 v2, 16, v0
	v_cmp_le_i32_e32 vcc_lo, v9, v2
	v_cmp_gt_i32_e64 s1, s20, v2
	v_ashrrev_i32_e32 v3, 31, v2
	s_and_b32 s2, vcc_lo, s1
	s_and_saveexec_b32 s6, s2
	s_cbranch_execz .LBB374_24
; %bb.21:
	v_lshlrev_b64 v[10:11], 3, v[2:3]
	v_mul_f32_e32 v4, s15, v19
	v_mul_f32_e32 v5, s14, v19
	v_cmp_ne_u32_e32 vcc_lo, 1, v8
	v_fma_f32 v4, v18, s14, -v4
	v_add_co_u32 v6, s2, v6, v10
	v_fmac_f32_e32 v5, s15, v18
	v_add_co_ci_u32_e64 v7, null, v7, v11, s2
	s_cbranch_vccnz .LBB374_23
; %bb.22:
	flat_load_dwordx2 v[10:11], v[6:7]
	s_waitcnt vmcnt(0) lgkmcnt(0)
	v_mul_f32_e32 v12, s11, v11
	v_mul_f32_e32 v11, s10, v11
	v_fma_f32 v12, v10, s10, -v12
	v_fmac_f32_e32 v11, s11, v10
	v_add_f32_e32 v4, v4, v12
	v_add_f32_e32 v5, v5, v11
.LBB374_23:
	flat_store_dwordx2 v[6:7], v[4:5]
.LBB374_24:
	s_or_b32 exec_lo, exec_lo, s6
	v_add_nc_u32_e32 v9, 16, v9
	v_mad_i64_i32 v[4:5], null, v9, s3, 0
	v_cmp_le_i32_e32 vcc_lo, v9, v0
	s_and_b32 s0, vcc_lo, s0
	v_lshlrev_b64 v[4:5], 3, v[4:5]
	v_add_co_u32 v6, s2, s4, v4
	v_add_co_ci_u32_e64 v7, null, s5, v5, s2
	s_and_saveexec_b32 s2, s0
	s_cbranch_execz .LBB374_28
; %bb.25:
	v_lshlrev_b64 v[0:1], 3, v[0:1]
	v_mul_f32_e32 v4, s15, v17
	v_mul_f32_e32 v5, s14, v17
	v_cmp_ne_u32_e32 vcc_lo, 1, v8
	v_fma_f32 v4, v16, s14, -v4
	v_add_co_u32 v0, s0, v6, v0
	v_fmac_f32_e32 v5, s15, v16
	v_add_co_ci_u32_e64 v1, null, v7, v1, s0
	s_cbranch_vccnz .LBB374_27
; %bb.26:
	flat_load_dwordx2 v[10:11], v[0:1]
	s_waitcnt vmcnt(0) lgkmcnt(0)
	v_mul_f32_e32 v12, s11, v11
	v_mul_f32_e32 v11, s10, v11
	v_fma_f32 v12, v10, s10, -v12
	v_fmac_f32_e32 v11, s11, v10
	v_add_f32_e32 v4, v4, v12
	v_add_f32_e32 v5, v5, v11
.LBB374_27:
	flat_store_dwordx2 v[0:1], v[4:5]
.LBB374_28:
	s_or_b32 exec_lo, exec_lo, s2
	v_cmp_le_i32_e32 vcc_lo, v9, v2
	s_and_b32 s0, vcc_lo, s1
	s_and_saveexec_b32 s1, s0
	s_cbranch_execz .LBB374_32
; %bb.29:
	v_lshlrev_b64 v[2:3], 3, v[2:3]
	v_mul_f32_e32 v0, s15, v15
	v_mul_f32_e32 v1, s14, v15
	v_cmp_ne_u32_e32 vcc_lo, 1, v8
	v_fma_f32 v0, v14, s14, -v0
	v_add_co_u32 v2, s0, v6, v2
	v_fmac_f32_e32 v1, s15, v14
	v_add_co_ci_u32_e64 v3, null, v7, v3, s0
	s_cbranch_vccnz .LBB374_31
; %bb.30:
	flat_load_dwordx2 v[4:5], v[2:3]
	s_waitcnt vmcnt(0) lgkmcnt(0)
	v_mul_f32_e32 v6, s11, v5
	v_mul_f32_e32 v5, s10, v5
	v_fma_f32 v6, v4, s10, -v6
	v_fmac_f32_e32 v5, s11, v4
	v_add_f32_e32 v0, v0, v6
	v_add_f32_e32 v1, v1, v5
.LBB374_31:
	flat_store_dwordx2 v[2:3], v[0:1]
.LBB374_32:
	s_endpgm
	.section	.rodata,"a",@progbits
	.p2align	6, 0x0
	.amdhsa_kernel _ZL29rocblas_internal_gemmt_kernelIiLi16ELi32ELi8ELc84ELc67ELc76ELb0ELb1E19rocblas_complex_numIfEPKS1_PKS3_PKPS1_EviT_T9_T10_S9_lSB_S9_lSA_T11_S9_li
		.amdhsa_group_segment_fixed_size 4096
		.amdhsa_private_segment_fixed_size 0
		.amdhsa_kernarg_size 100
		.amdhsa_user_sgpr_count 6
		.amdhsa_user_sgpr_private_segment_buffer 1
		.amdhsa_user_sgpr_dispatch_ptr 0
		.amdhsa_user_sgpr_queue_ptr 0
		.amdhsa_user_sgpr_kernarg_segment_ptr 1
		.amdhsa_user_sgpr_dispatch_id 0
		.amdhsa_user_sgpr_flat_scratch_init 0
		.amdhsa_user_sgpr_private_segment_size 0
		.amdhsa_wavefront_size32 1
		.amdhsa_uses_dynamic_stack 0
		.amdhsa_system_sgpr_private_segment_wavefront_offset 0
		.amdhsa_system_sgpr_workgroup_id_x 1
		.amdhsa_system_sgpr_workgroup_id_y 1
		.amdhsa_system_sgpr_workgroup_id_z 1
		.amdhsa_system_sgpr_workgroup_info 0
		.amdhsa_system_vgpr_workitem_id 1
		.amdhsa_next_free_vgpr 59
		.amdhsa_next_free_sgpr 27
		.amdhsa_reserve_vcc 1
		.amdhsa_reserve_flat_scratch 0
		.amdhsa_float_round_mode_32 0
		.amdhsa_float_round_mode_16_64 0
		.amdhsa_float_denorm_mode_32 3
		.amdhsa_float_denorm_mode_16_64 3
		.amdhsa_dx10_clamp 1
		.amdhsa_ieee_mode 1
		.amdhsa_fp16_overflow 0
		.amdhsa_workgroup_processor_mode 1
		.amdhsa_memory_ordered 1
		.amdhsa_forward_progress 1
		.amdhsa_shared_vgpr_count 0
		.amdhsa_exception_fp_ieee_invalid_op 0
		.amdhsa_exception_fp_denorm_src 0
		.amdhsa_exception_fp_ieee_div_zero 0
		.amdhsa_exception_fp_ieee_overflow 0
		.amdhsa_exception_fp_ieee_underflow 0
		.amdhsa_exception_fp_ieee_inexact 0
		.amdhsa_exception_int_div_zero 0
	.end_amdhsa_kernel
	.section	.text._ZL29rocblas_internal_gemmt_kernelIiLi16ELi32ELi8ELc84ELc67ELc76ELb0ELb1E19rocblas_complex_numIfEPKS1_PKS3_PKPS1_EviT_T9_T10_S9_lSB_S9_lSA_T11_S9_li,"axG",@progbits,_ZL29rocblas_internal_gemmt_kernelIiLi16ELi32ELi8ELc84ELc67ELc76ELb0ELb1E19rocblas_complex_numIfEPKS1_PKS3_PKPS1_EviT_T9_T10_S9_lSB_S9_lSA_T11_S9_li,comdat
.Lfunc_end374:
	.size	_ZL29rocblas_internal_gemmt_kernelIiLi16ELi32ELi8ELc84ELc67ELc76ELb0ELb1E19rocblas_complex_numIfEPKS1_PKS3_PKPS1_EviT_T9_T10_S9_lSB_S9_lSA_T11_S9_li, .Lfunc_end374-_ZL29rocblas_internal_gemmt_kernelIiLi16ELi32ELi8ELc84ELc67ELc76ELb0ELb1E19rocblas_complex_numIfEPKS1_PKS3_PKPS1_EviT_T9_T10_S9_lSB_S9_lSA_T11_S9_li
                                        ; -- End function
	.set _ZL29rocblas_internal_gemmt_kernelIiLi16ELi32ELi8ELc84ELc67ELc76ELb0ELb1E19rocblas_complex_numIfEPKS1_PKS3_PKPS1_EviT_T9_T10_S9_lSB_S9_lSA_T11_S9_li.num_vgpr, 59
	.set _ZL29rocblas_internal_gemmt_kernelIiLi16ELi32ELi8ELc84ELc67ELc76ELb0ELb1E19rocblas_complex_numIfEPKS1_PKS3_PKPS1_EviT_T9_T10_S9_lSB_S9_lSA_T11_S9_li.num_agpr, 0
	.set _ZL29rocblas_internal_gemmt_kernelIiLi16ELi32ELi8ELc84ELc67ELc76ELb0ELb1E19rocblas_complex_numIfEPKS1_PKS3_PKPS1_EviT_T9_T10_S9_lSB_S9_lSA_T11_S9_li.numbered_sgpr, 27
	.set _ZL29rocblas_internal_gemmt_kernelIiLi16ELi32ELi8ELc84ELc67ELc76ELb0ELb1E19rocblas_complex_numIfEPKS1_PKS3_PKPS1_EviT_T9_T10_S9_lSB_S9_lSA_T11_S9_li.num_named_barrier, 0
	.set _ZL29rocblas_internal_gemmt_kernelIiLi16ELi32ELi8ELc84ELc67ELc76ELb0ELb1E19rocblas_complex_numIfEPKS1_PKS3_PKPS1_EviT_T9_T10_S9_lSB_S9_lSA_T11_S9_li.private_seg_size, 0
	.set _ZL29rocblas_internal_gemmt_kernelIiLi16ELi32ELi8ELc84ELc67ELc76ELb0ELb1E19rocblas_complex_numIfEPKS1_PKS3_PKPS1_EviT_T9_T10_S9_lSB_S9_lSA_T11_S9_li.uses_vcc, 1
	.set _ZL29rocblas_internal_gemmt_kernelIiLi16ELi32ELi8ELc84ELc67ELc76ELb0ELb1E19rocblas_complex_numIfEPKS1_PKS3_PKPS1_EviT_T9_T10_S9_lSB_S9_lSA_T11_S9_li.uses_flat_scratch, 0
	.set _ZL29rocblas_internal_gemmt_kernelIiLi16ELi32ELi8ELc84ELc67ELc76ELb0ELb1E19rocblas_complex_numIfEPKS1_PKS3_PKPS1_EviT_T9_T10_S9_lSB_S9_lSA_T11_S9_li.has_dyn_sized_stack, 0
	.set _ZL29rocblas_internal_gemmt_kernelIiLi16ELi32ELi8ELc84ELc67ELc76ELb0ELb1E19rocblas_complex_numIfEPKS1_PKS3_PKPS1_EviT_T9_T10_S9_lSB_S9_lSA_T11_S9_li.has_recursion, 0
	.set _ZL29rocblas_internal_gemmt_kernelIiLi16ELi32ELi8ELc84ELc67ELc76ELb0ELb1E19rocblas_complex_numIfEPKS1_PKS3_PKPS1_EviT_T9_T10_S9_lSB_S9_lSA_T11_S9_li.has_indirect_call, 0
	.section	.AMDGPU.csdata,"",@progbits
; Kernel info:
; codeLenInByte = 2556
; TotalNumSgprs: 29
; NumVgprs: 59
; ScratchSize: 0
; MemoryBound: 1
; FloatMode: 240
; IeeeMode: 1
; LDSByteSize: 4096 bytes/workgroup (compile time only)
; SGPRBlocks: 0
; VGPRBlocks: 7
; NumSGPRsForWavesPerEU: 29
; NumVGPRsForWavesPerEU: 59
; Occupancy: 16
; WaveLimiterHint : 1
; COMPUTE_PGM_RSRC2:SCRATCH_EN: 0
; COMPUTE_PGM_RSRC2:USER_SGPR: 6
; COMPUTE_PGM_RSRC2:TRAP_HANDLER: 0
; COMPUTE_PGM_RSRC2:TGID_X_EN: 1
; COMPUTE_PGM_RSRC2:TGID_Y_EN: 1
; COMPUTE_PGM_RSRC2:TGID_Z_EN: 1
; COMPUTE_PGM_RSRC2:TIDIG_COMP_CNT: 1
	.section	.text._ZL29rocblas_internal_gemmt_kernelIiLi16ELi32ELi8ELc67ELc78ELc76ELb1ELb0E19rocblas_complex_numIfEPKS1_PKS3_PKPS1_EviT_T9_T10_S9_lSB_S9_lSA_T11_S9_li,"axG",@progbits,_ZL29rocblas_internal_gemmt_kernelIiLi16ELi32ELi8ELc67ELc78ELc76ELb1ELb0E19rocblas_complex_numIfEPKS1_PKS3_PKPS1_EviT_T9_T10_S9_lSB_S9_lSA_T11_S9_li,comdat
	.globl	_ZL29rocblas_internal_gemmt_kernelIiLi16ELi32ELi8ELc67ELc78ELc76ELb1ELb0E19rocblas_complex_numIfEPKS1_PKS3_PKPS1_EviT_T9_T10_S9_lSB_S9_lSA_T11_S9_li ; -- Begin function _ZL29rocblas_internal_gemmt_kernelIiLi16ELi32ELi8ELc67ELc78ELc76ELb1ELb0E19rocblas_complex_numIfEPKS1_PKS3_PKPS1_EviT_T9_T10_S9_lSB_S9_lSA_T11_S9_li
	.p2align	8
	.type	_ZL29rocblas_internal_gemmt_kernelIiLi16ELi32ELi8ELc67ELc78ELc76ELb1ELb0E19rocblas_complex_numIfEPKS1_PKS3_PKPS1_EviT_T9_T10_S9_lSB_S9_lSA_T11_S9_li,@function
_ZL29rocblas_internal_gemmt_kernelIiLi16ELi32ELi8ELc67ELc78ELc76ELb1ELb0E19rocblas_complex_numIfEPKS1_PKS3_PKPS1_EviT_T9_T10_S9_lSB_S9_lSA_T11_S9_li: ; @_ZL29rocblas_internal_gemmt_kernelIiLi16ELi32ELi8ELc67ELc78ELc76ELb1ELb0E19rocblas_complex_numIfEPKS1_PKS3_PKPS1_EviT_T9_T10_S9_lSB_S9_lSA_T11_S9_li
; %bb.0:
	s_clause 0x1
	s_load_dwordx4 s[12:15], s[4:5], 0x38
	s_load_dwordx4 s[0:3], s[4:5], 0x8
	s_waitcnt lgkmcnt(0)
	s_load_dwordx2 s[10:11], s[14:15], 0x0
	s_load_dwordx2 s[20:21], s[4:5], 0x0
	;; [unrolled: 1-line block ×3, first 2 shown]
	s_waitcnt lgkmcnt(0)
	s_and_b32 s0, s11, 0x7fffffff
	v_cmp_eq_f32_e64 s1, s10, 1.0
	s_cmp_eq_u32 s0, 0
	s_mov_b32 s0, 0
	s_cselect_b32 s26, -1, 0
	s_and_b32 s1, s1, s26
	s_andn2_b32 vcc_lo, exec_lo, s1
	s_mov_b32 s1, -1
	s_cbranch_vccnz .LBB375_4
; %bb.1:
	s_cmp_lg_u32 s21, 0
	s_cbranch_scc0 .LBB375_3
; %bb.2:
	v_cmp_neq_f32_e64 s0, s14, 0
	v_cmp_neq_f32_e64 s1, s15, 0
	s_or_b32 s0, s0, s1
.LBB375_3:
	s_mov_b32 s1, s0
.LBB375_4:
	s_and_b32 vcc_lo, exec_lo, s1
	s_cbranch_vccz .LBB375_32
; %bb.5:
	s_load_dwordx2 s[0:1], s[4:5], 0x48
	s_mov_b32 s9, 0
	v_cmp_eq_f32_e64 s16, s14, 0
	s_lshl_b64 s[24:25], s[8:9], 3
	v_cmp_eq_f32_e64 s8, s15, 0
	v_mov_b32_e32 v20, 0
	v_mov_b32_e32 v21, 0
	;; [unrolled: 1-line block ×8, first 2 shown]
	s_waitcnt lgkmcnt(0)
	s_add_u32 s0, s0, s24
	s_addc_u32 s1, s1, s25
	s_lshl_b32 s6, s6, 5
	s_load_dwordx2 s[22:23], s[0:1], 0x0
	s_lshl_b32 s7, s7, 5
	s_and_b32 s0, s16, s8
	s_cmp_lt_i32 s21, 1
	s_cselect_b32 s1, -1, 0
	s_or_b32 s0, s0, s1
	s_and_b32 vcc_lo, exec_lo, s0
	s_cbranch_vccnz .LBB375_16
; %bb.6:
	s_clause 0x2
	s_load_dword s1, s[4:5], 0x18
	s_load_dwordx4 s[16:19], s[4:5], 0x20
	s_load_dword s8, s[4:5], 0x30
	v_lshl_add_u32 v2, v1, 4, v0
	v_and_b32_e32 v8, 7, v0
	v_lshlrev_b32_e32 v9, 3, v0
	v_lshl_add_u32 v10, v1, 6, 0x800
	v_mov_b32_e32 v15, 0
	v_and_b32_e32 v3, 31, v2
	v_lshrrev_b32_e32 v4, 3, v2
	v_lshlrev_b32_e32 v6, 3, v8
	v_lshrrev_b32_e32 v11, 5, v2
	v_mov_b32_e32 v17, 0
	v_or_b32_e32 v2, s6, v3
	v_lshlrev_b32_e32 v5, 3, v3
	v_add_nc_u32_e32 v3, s6, v3
	v_add_nc_u32_e32 v7, s7, v4
	v_lshl_or_b32 v4, v4, 6, v6
	v_cmp_gt_i32_e32 vcc_lo, s20, v2
	v_lshl_or_b32 v12, v11, 8, v5
	s_waitcnt lgkmcnt(0)
	v_mad_i64_i32 v[2:3], null, s1, v3, 0
	s_add_u32 s18, s18, s24
	s_addc_u32 s19, s19, s25
	s_add_u32 s2, s2, s24
	v_add_nc_u32_e32 v13, 0x800, v4
	v_mad_i64_i32 v[4:5], null, s8, v7, 0
	s_addc_u32 s3, s3, s25
	s_load_dwordx2 s[18:19], s[18:19], 0x0
	s_load_dwordx2 s[2:3], s[2:3], 0x0
	v_lshlrev_b64 v[2:3], 3, v[2:3]
	s_lshl_b64 s[16:17], s[16:17], 3
	v_cmp_gt_i32_e64 s0, s20, v7
	v_lshlrev_b64 v[4:5], 3, v[4:5]
	v_lshlrev_b32_e32 v14, 3, v11
	s_lshl_b64 s[12:13], s[12:13], 3
	v_add_co_u32 v7, s1, v2, s16
	v_add_co_ci_u32_e64 v3, null, s17, v3, s1
	v_add_co_u32 v4, s1, v4, s12
	v_add_co_ci_u32_e64 v5, null, s13, v5, s1
	;; [unrolled: 2-line block ×4, first 2 shown]
	s_waitcnt lgkmcnt(0)
	v_add_co_u32 v4, s1, s2, v7
	v_add_co_ci_u32_e64 v5, null, s3, v3, s1
	v_add_co_u32 v6, s1, s18, v6
	v_mov_b32_e32 v2, 0
	v_add_co_ci_u32_e64 v7, null, s19, v14, s1
	v_mov_b32_e32 v14, 0
	v_mov_b32_e32 v16, 0
	;; [unrolled: 1-line block ×6, first 2 shown]
	s_xor_b32 s1, vcc_lo, -1
	s_xor_b32 s0, s0, -1
	s_branch .LBB375_8
.LBB375_7:                              ;   in Loop: Header=BB375_8 Depth=1
	s_or_b32 exec_lo, exec_lo, s2
	s_waitcnt lgkmcnt(0)
	s_barrier
	buffer_gl0_inv
	ds_read_b128 v[22:25], v10
	ds_read2_b64 v[26:29], v9 offset1:16
	ds_read_b128 v[30:33], v10 offset:1024
	ds_read_b128 v[34:37], v10 offset:16
	;; [unrolled: 1-line block ×4, first 2 shown]
	ds_read2_b64 v[46:49], v9 offset0:32 offset1:48
	ds_read_b128 v[50:53], v10 offset:1040
	v_add_co_u32 v4, vcc_lo, v4, 64
	v_add_co_ci_u32_e64 v5, null, 0, v5, vcc_lo
	v_add_co_u32 v6, vcc_lo, v6, 64
	v_add_co_ci_u32_e64 v7, null, 0, v7, vcc_lo
	s_add_i32 s9, s9, 8
	s_cmp_lt_i32 s9, s21
	s_waitcnt lgkmcnt(6)
	v_mul_f32_e32 v3, v23, v27
	v_mul_f32_e32 v54, v22, v27
	;; [unrolled: 1-line block ×4, first 2 shown]
	s_waitcnt lgkmcnt(5)
	v_mul_f32_e32 v57, v31, v27
	v_mul_f32_e32 v27, v30, v27
	;; [unrolled: 1-line block ×3, first 2 shown]
	v_fma_f32 v3, v22, v26, -v3
	v_fmac_f32_e32 v54, v23, v26
	v_fma_f32 v22, v22, v28, -v55
	v_fmac_f32_e32 v56, v23, v28
	;; [unrolled: 2-line block ×3, first 2 shown]
	v_mul_f32_e32 v29, v30, v29
	v_fma_f32 v26, v30, v28, -v58
	v_add_f32_e32 v3, v20, v3
	v_add_f32_e32 v20, v21, v54
	;; [unrolled: 1-line block ×6, first 2 shown]
	s_waitcnt lgkmcnt(1)
	v_mul_f32_e32 v30, v25, v47
	ds_read2_b64 v[16:19], v9 offset0:64 offset1:80
	v_fmac_f32_e32 v29, v31, v28
	v_add_f32_e32 v14, v14, v26
	v_mul_f32_e32 v26, v24, v47
	v_fma_f32 v28, v24, v46, -v30
	v_mul_f32_e32 v30, v25, v49
	v_add_f32_e32 v15, v15, v29
	v_mul_f32_e32 v29, v24, v49
	v_fmac_f32_e32 v26, v25, v46
	v_add_f32_e32 v3, v3, v28
	v_fma_f32 v24, v24, v48, -v30
	v_mul_f32_e32 v28, v33, v47
	v_fmac_f32_e32 v29, v25, v48
	v_add_f32_e32 v26, v20, v26
	v_mul_f32_e32 v20, v32, v47
	v_add_f32_e32 v24, v21, v24
	v_fma_f32 v21, v32, v46, -v28
	v_mul_f32_e32 v25, v33, v49
	v_add_f32_e32 v28, v22, v29
	v_fmac_f32_e32 v20, v33, v46
	v_mul_f32_e32 v29, v32, v49
	v_add_f32_e32 v30, v23, v21
	v_fma_f32 v21, v32, v48, -v25
	s_waitcnt lgkmcnt(0)
	v_mul_f32_e32 v22, v35, v17
	v_add_f32_e32 v25, v27, v20
	v_fmac_f32_e32 v29, v33, v48
	v_mul_f32_e32 v27, v34, v17
	v_add_f32_e32 v14, v14, v21
	v_fma_f32 v31, v34, v16, -v22
	v_mul_f32_e32 v32, v35, v19
	ds_read2_b64 v[20:23], v9 offset0:96 offset1:112
	v_fmac_f32_e32 v27, v35, v16
	v_add_f32_e32 v29, v15, v29
	v_add_f32_e32 v3, v3, v31
	v_mul_f32_e32 v15, v34, v19
	v_fma_f32 v31, v34, v18, -v32
	v_add_f32_e32 v26, v26, v27
	v_mul_f32_e32 v27, v51, v17
	v_mul_f32_e32 v17, v50, v17
	v_fmac_f32_e32 v15, v35, v18
	v_add_f32_e32 v24, v24, v31
	v_mul_f32_e32 v31, v51, v19
	v_mul_f32_e32 v19, v50, v19
	v_fmac_f32_e32 v17, v51, v16
	v_add_f32_e32 v28, v28, v15
	v_fma_f32 v27, v50, v16, -v27
	v_fma_f32 v15, v50, v18, -v31
	v_fmac_f32_e32 v19, v51, v18
	v_add_f32_e32 v31, v25, v17
	s_waitcnt lgkmcnt(0)
	v_mul_f32_e32 v18, v37, v21
	v_add_f32_e32 v32, v14, v15
	ds_read2_b64 v[14:17], v9 offset0:128 offset1:144
	v_add_f32_e32 v30, v30, v27
	v_mul_f32_e32 v25, v36, v21
	v_fma_f32 v18, v36, v20, -v18
	v_mul_f32_e32 v27, v37, v23
	v_add_f32_e32 v29, v29, v19
	v_mul_f32_e32 v19, v36, v23
	v_fmac_f32_e32 v25, v37, v20
	v_add_f32_e32 v3, v3, v18
	v_mul_f32_e32 v18, v53, v21
	v_fma_f32 v27, v36, v22, -v27
	v_fmac_f32_e32 v19, v37, v22
	v_mul_f32_e32 v21, v52, v21
	v_mul_f32_e32 v35, v53, v23
	v_fma_f32 v18, v52, v20, -v18
	v_add_f32_e32 v33, v26, v25
	v_add_f32_e32 v34, v24, v27
	ds_read_b128 v[24:27], v10 offset:1056
	v_add_f32_e32 v36, v28, v19
	v_fmac_f32_e32 v21, v53, v20
	v_mul_f32_e32 v23, v52, v23
	v_fma_f32 v19, v52, v22, -v35
	v_add_f32_e32 v35, v30, v18
	s_waitcnt lgkmcnt(1)
	v_mul_f32_e32 v18, v39, v15
	v_add_f32_e32 v37, v31, v21
	v_fmac_f32_e32 v23, v53, v22
	v_add_f32_e32 v22, v32, v19
	v_mul_f32_e32 v32, v38, v15
	v_fma_f32 v28, v38, v14, -v18
	ds_read2_b64 v[18:21], v9 offset0:160 offset1:176
	v_mul_f32_e32 v30, v39, v17
	v_mul_f32_e32 v46, v38, v17
	v_fmac_f32_e32 v32, v39, v14
	v_add_f32_e32 v23, v29, v23
	v_add_f32_e32 v3, v3, v28
	v_fma_f32 v38, v38, v16, -v30
	ds_read_b128 v[28:31], v10 offset:1072
	s_waitcnt lgkmcnt(2)
	v_mul_f32_e32 v47, v25, v15
	v_add_f32_e32 v32, v33, v32
	v_mul_f32_e32 v15, v24, v15
	v_add_f32_e32 v33, v34, v38
	v_mul_f32_e32 v38, v25, v17
	v_fmac_f32_e32 v46, v39, v16
	v_fma_f32 v34, v24, v14, -v47
	v_fmac_f32_e32 v15, v25, v14
	v_mul_f32_e32 v39, v24, v17
	v_fma_f32 v14, v24, v16, -v38
	v_add_f32_e32 v36, v36, v46
	v_add_f32_e32 v34, v35, v34
	s_waitcnt lgkmcnt(1)
	v_mul_f32_e32 v17, v41, v19
	v_add_f32_e32 v24, v37, v15
	v_fmac_f32_e32 v39, v25, v16
	v_mul_f32_e32 v25, v40, v19
	v_add_f32_e32 v22, v22, v14
	v_fma_f32 v35, v40, v18, -v17
	ds_read2_b64 v[14:17], v9 offset0:192 offset1:208
	v_mul_f32_e32 v37, v41, v21
	v_fmac_f32_e32 v25, v41, v18
	v_add_f32_e32 v38, v23, v39
	v_add_f32_e32 v3, v3, v35
	v_mul_f32_e32 v23, v40, v21
	v_fma_f32 v35, v40, v20, -v37
	v_add_f32_e32 v32, v32, v25
	v_mul_f32_e32 v25, v27, v19
	v_mul_f32_e32 v19, v26, v19
	v_fmac_f32_e32 v23, v41, v20
	v_add_f32_e32 v33, v33, v35
	v_mul_f32_e32 v35, v27, v21
	v_fma_f32 v25, v26, v18, -v25
	v_fmac_f32_e32 v19, v27, v18
	v_add_f32_e32 v18, v36, v23
	v_mul_f32_e32 v21, v26, v21
	v_fma_f32 v23, v26, v20, -v35
	v_add_f32_e32 v26, v34, v25
	v_add_f32_e32 v19, v24, v19
	s_waitcnt lgkmcnt(0)
	v_mul_f32_e32 v34, v43, v15
	v_fmac_f32_e32 v21, v27, v20
	v_add_f32_e32 v20, v22, v23
	ds_read2_b64 v[22:25], v9 offset0:224 offset1:240
	v_mul_f32_e32 v27, v42, v15
	v_fma_f32 v34, v42, v14, -v34
	v_mul_f32_e32 v35, v43, v17
	v_mul_f32_e32 v36, v42, v17
	v_add_f32_e32 v21, v38, v21
	v_fmac_f32_e32 v27, v43, v14
	v_add_f32_e32 v3, v3, v34
	v_mul_f32_e32 v34, v29, v15
	v_fma_f32 v35, v42, v16, -v35
	v_fmac_f32_e32 v36, v43, v16
	v_add_f32_e32 v27, v32, v27
	v_mul_f32_e32 v15, v28, v15
	v_fma_f32 v32, v28, v14, -v34
	v_mul_f32_e32 v34, v29, v17
	v_add_f32_e32 v33, v33, v35
	v_add_f32_e32 v35, v18, v36
	v_fmac_f32_e32 v15, v29, v14
	v_add_f32_e32 v14, v26, v32
	v_mul_f32_e32 v17, v28, v17
	v_fma_f32 v18, v28, v16, -v34
	s_waitcnt lgkmcnt(0)
	v_mul_f32_e32 v26, v45, v23
	v_mul_f32_e32 v28, v44, v23
	v_add_f32_e32 v15, v19, v15
	v_fmac_f32_e32 v17, v29, v16
	v_add_f32_e32 v29, v20, v18
	v_fma_f32 v16, v44, v22, -v26
	v_mul_f32_e32 v18, v45, v25
	v_mul_f32_e32 v19, v44, v25
	v_add_f32_e32 v26, v21, v17
	v_mul_f32_e32 v17, v30, v23
	v_add_f32_e32 v20, v3, v16
	v_fma_f32 v3, v44, v24, -v18
	v_mul_f32_e32 v16, v31, v23
	v_mul_f32_e32 v23, v31, v25
	;; [unrolled: 1-line block ×3, first 2 shown]
	v_fmac_f32_e32 v28, v45, v22
	v_fmac_f32_e32 v19, v45, v24
	v_add_f32_e32 v18, v33, v3
	v_fma_f32 v3, v30, v22, -v16
	v_fmac_f32_e32 v17, v31, v22
	v_fma_f32 v22, v30, v24, -v23
	v_fmac_f32_e32 v25, v31, v24
	v_add_f32_e32 v21, v27, v28
	v_add_f32_e32 v19, v35, v19
	v_add_f32_e32 v16, v14, v3
	v_add_f32_e32 v17, v15, v17
	v_add_f32_e32 v14, v29, v22
	v_add_f32_e32 v15, v26, v25
	s_barrier
	buffer_gl0_inv
	s_cbranch_scc0 .LBB375_16
.LBB375_8:                              ; =>This Inner Loop Header: Depth=1
	v_add_nc_u32_e32 v3, s9, v11
	v_cmp_le_i32_e32 vcc_lo, s21, v3
	s_or_b32 s2, s1, vcc_lo
	s_and_saveexec_b32 s3, s2
	s_xor_b32 s2, exec_lo, s3
; %bb.9:                                ;   in Loop: Header=BB375_8 Depth=1
	ds_write_b32 v12, v2
; %bb.10:                               ;   in Loop: Header=BB375_8 Depth=1
	s_or_saveexec_b32 s2, s2
	v_mov_b32_e32 v3, 0
	s_xor_b32 exec_lo, exec_lo, s2
	s_cbranch_execz .LBB375_12
; %bb.11:                               ;   in Loop: Header=BB375_8 Depth=1
	flat_load_dwordx2 v[22:23], v[4:5]
	s_waitcnt vmcnt(0) lgkmcnt(0)
	v_xor_b32_e32 v3, 0x80000000, v23
	ds_write_b32 v12, v22
.LBB375_12:                             ;   in Loop: Header=BB375_8 Depth=1
	s_or_b32 exec_lo, exec_lo, s2
	v_add_nc_u32_e32 v22, s9, v8
	ds_write_b32 v12, v3 offset:4
	v_cmp_le_i32_e32 vcc_lo, s21, v22
	s_or_b32 s2, vcc_lo, s0
	s_and_saveexec_b32 s3, s2
	s_xor_b32 s2, exec_lo, s3
; %bb.13:                               ;   in Loop: Header=BB375_8 Depth=1
	v_mov_b32_e32 v3, v2
	ds_write_b64 v13, v[2:3]
; %bb.14:                               ;   in Loop: Header=BB375_8 Depth=1
	s_andn2_saveexec_b32 s2, s2
	s_cbranch_execz .LBB375_7
; %bb.15:                               ;   in Loop: Header=BB375_8 Depth=1
	flat_load_dwordx2 v[22:23], v[6:7]
	s_waitcnt vmcnt(0) lgkmcnt(0)
	ds_write_b64 v13, v[22:23]
	s_branch .LBB375_7
.LBB375_16:
	s_clause 0x1
	s_load_dword s3, s[4:5], 0x50
	s_load_dwordx2 s[4:5], s[4:5], 0x58
	v_add_nc_u32_e32 v9, s7, v1
	v_add_nc_u32_e32 v0, s6, v0
	v_cmp_neq_f32_e64 s2, s10, 0
	v_cmp_le_i32_e32 vcc_lo, v9, v0
	v_cmp_gt_i32_e64 s0, s20, v0
	s_waitcnt lgkmcnt(0)
	v_mad_i64_i32 v[1:2], null, v9, s3, 0
	s_lshl_b64 s[4:5], s[4:5], 3
	s_add_u32 s4, s22, s4
	s_addc_u32 s5, s23, s5
	s_xor_b32 s6, s26, -1
	s_or_b32 s2, s2, s6
	v_lshlrev_b64 v[2:3], 3, v[1:2]
	v_ashrrev_i32_e32 v1, 31, v0
	v_cndmask_b32_e64 v8, 0, 1, s2
	s_and_b32 s6, vcc_lo, s0
	v_add_co_u32 v6, s1, s4, v2
	v_add_co_ci_u32_e64 v7, null, s5, v3, s1
	s_and_saveexec_b32 s1, s6
	s_cbranch_execz .LBB375_20
; %bb.17:
	v_lshlrev_b64 v[4:5], 3, v[0:1]
	v_mul_f32_e32 v2, s15, v21
	v_mul_f32_e32 v3, s14, v21
	v_fma_f32 v2, v20, s14, -v2
	v_add_co_u32 v4, vcc_lo, v6, v4
	v_fmac_f32_e32 v3, s15, v20
	v_add_co_ci_u32_e64 v5, null, v7, v5, vcc_lo
	s_andn2_b32 vcc_lo, exec_lo, s2
	s_cbranch_vccnz .LBB375_19
; %bb.18:
	flat_load_dwordx2 v[10:11], v[4:5]
	s_waitcnt vmcnt(0) lgkmcnt(0)
	v_mul_f32_e32 v12, s11, v11
	v_mul_f32_e32 v11, s10, v11
	v_fma_f32 v12, v10, s10, -v12
	v_fmac_f32_e32 v11, s11, v10
	v_add_f32_e32 v2, v2, v12
	v_add_f32_e32 v3, v3, v11
.LBB375_19:
	flat_store_dwordx2 v[4:5], v[2:3]
.LBB375_20:
	s_or_b32 exec_lo, exec_lo, s1
	v_add_nc_u32_e32 v2, 16, v0
	v_cmp_le_i32_e32 vcc_lo, v9, v2
	v_cmp_gt_i32_e64 s1, s20, v2
	v_ashrrev_i32_e32 v3, 31, v2
	s_and_b32 s2, vcc_lo, s1
	s_and_saveexec_b32 s6, s2
	s_cbranch_execz .LBB375_24
; %bb.21:
	v_lshlrev_b64 v[10:11], 3, v[2:3]
	v_mul_f32_e32 v4, s15, v19
	v_mul_f32_e32 v5, s14, v19
	v_cmp_ne_u32_e32 vcc_lo, 1, v8
	v_fma_f32 v4, v18, s14, -v4
	v_add_co_u32 v6, s2, v6, v10
	v_fmac_f32_e32 v5, s15, v18
	v_add_co_ci_u32_e64 v7, null, v7, v11, s2
	s_cbranch_vccnz .LBB375_23
; %bb.22:
	flat_load_dwordx2 v[10:11], v[6:7]
	s_waitcnt vmcnt(0) lgkmcnt(0)
	v_mul_f32_e32 v12, s11, v11
	v_mul_f32_e32 v11, s10, v11
	v_fma_f32 v12, v10, s10, -v12
	v_fmac_f32_e32 v11, s11, v10
	v_add_f32_e32 v4, v4, v12
	v_add_f32_e32 v5, v5, v11
.LBB375_23:
	flat_store_dwordx2 v[6:7], v[4:5]
.LBB375_24:
	s_or_b32 exec_lo, exec_lo, s6
	v_add_nc_u32_e32 v9, 16, v9
	v_mad_i64_i32 v[4:5], null, v9, s3, 0
	v_cmp_le_i32_e32 vcc_lo, v9, v0
	s_and_b32 s0, vcc_lo, s0
	v_lshlrev_b64 v[4:5], 3, v[4:5]
	v_add_co_u32 v6, s2, s4, v4
	v_add_co_ci_u32_e64 v7, null, s5, v5, s2
	s_and_saveexec_b32 s2, s0
	s_cbranch_execz .LBB375_28
; %bb.25:
	v_lshlrev_b64 v[0:1], 3, v[0:1]
	v_mul_f32_e32 v4, s15, v17
	v_mul_f32_e32 v5, s14, v17
	v_cmp_ne_u32_e32 vcc_lo, 1, v8
	v_fma_f32 v4, v16, s14, -v4
	v_add_co_u32 v0, s0, v6, v0
	v_fmac_f32_e32 v5, s15, v16
	v_add_co_ci_u32_e64 v1, null, v7, v1, s0
	s_cbranch_vccnz .LBB375_27
; %bb.26:
	flat_load_dwordx2 v[10:11], v[0:1]
	s_waitcnt vmcnt(0) lgkmcnt(0)
	v_mul_f32_e32 v12, s11, v11
	v_mul_f32_e32 v11, s10, v11
	v_fma_f32 v12, v10, s10, -v12
	v_fmac_f32_e32 v11, s11, v10
	v_add_f32_e32 v4, v4, v12
	v_add_f32_e32 v5, v5, v11
.LBB375_27:
	flat_store_dwordx2 v[0:1], v[4:5]
.LBB375_28:
	s_or_b32 exec_lo, exec_lo, s2
	v_cmp_le_i32_e32 vcc_lo, v9, v2
	s_and_b32 s0, vcc_lo, s1
	s_and_saveexec_b32 s1, s0
	s_cbranch_execz .LBB375_32
; %bb.29:
	v_lshlrev_b64 v[2:3], 3, v[2:3]
	v_mul_f32_e32 v0, s15, v15
	v_mul_f32_e32 v1, s14, v15
	v_cmp_ne_u32_e32 vcc_lo, 1, v8
	v_fma_f32 v0, v14, s14, -v0
	v_add_co_u32 v2, s0, v6, v2
	v_fmac_f32_e32 v1, s15, v14
	v_add_co_ci_u32_e64 v3, null, v7, v3, s0
	s_cbranch_vccnz .LBB375_31
; %bb.30:
	flat_load_dwordx2 v[4:5], v[2:3]
	s_waitcnt vmcnt(0) lgkmcnt(0)
	v_mul_f32_e32 v6, s11, v5
	v_mul_f32_e32 v5, s10, v5
	v_fma_f32 v6, v4, s10, -v6
	v_fmac_f32_e32 v5, s11, v4
	v_add_f32_e32 v0, v0, v6
	v_add_f32_e32 v1, v1, v5
.LBB375_31:
	flat_store_dwordx2 v[2:3], v[0:1]
.LBB375_32:
	s_endpgm
	.section	.rodata,"a",@progbits
	.p2align	6, 0x0
	.amdhsa_kernel _ZL29rocblas_internal_gemmt_kernelIiLi16ELi32ELi8ELc67ELc78ELc76ELb1ELb0E19rocblas_complex_numIfEPKS1_PKS3_PKPS1_EviT_T9_T10_S9_lSB_S9_lSA_T11_S9_li
		.amdhsa_group_segment_fixed_size 4096
		.amdhsa_private_segment_fixed_size 0
		.amdhsa_kernarg_size 100
		.amdhsa_user_sgpr_count 6
		.amdhsa_user_sgpr_private_segment_buffer 1
		.amdhsa_user_sgpr_dispatch_ptr 0
		.amdhsa_user_sgpr_queue_ptr 0
		.amdhsa_user_sgpr_kernarg_segment_ptr 1
		.amdhsa_user_sgpr_dispatch_id 0
		.amdhsa_user_sgpr_flat_scratch_init 0
		.amdhsa_user_sgpr_private_segment_size 0
		.amdhsa_wavefront_size32 1
		.amdhsa_uses_dynamic_stack 0
		.amdhsa_system_sgpr_private_segment_wavefront_offset 0
		.amdhsa_system_sgpr_workgroup_id_x 1
		.amdhsa_system_sgpr_workgroup_id_y 1
		.amdhsa_system_sgpr_workgroup_id_z 1
		.amdhsa_system_sgpr_workgroup_info 0
		.amdhsa_system_vgpr_workitem_id 1
		.amdhsa_next_free_vgpr 59
		.amdhsa_next_free_sgpr 27
		.amdhsa_reserve_vcc 1
		.amdhsa_reserve_flat_scratch 0
		.amdhsa_float_round_mode_32 0
		.amdhsa_float_round_mode_16_64 0
		.amdhsa_float_denorm_mode_32 3
		.amdhsa_float_denorm_mode_16_64 3
		.amdhsa_dx10_clamp 1
		.amdhsa_ieee_mode 1
		.amdhsa_fp16_overflow 0
		.amdhsa_workgroup_processor_mode 1
		.amdhsa_memory_ordered 1
		.amdhsa_forward_progress 1
		.amdhsa_shared_vgpr_count 0
		.amdhsa_exception_fp_ieee_invalid_op 0
		.amdhsa_exception_fp_denorm_src 0
		.amdhsa_exception_fp_ieee_div_zero 0
		.amdhsa_exception_fp_ieee_overflow 0
		.amdhsa_exception_fp_ieee_underflow 0
		.amdhsa_exception_fp_ieee_inexact 0
		.amdhsa_exception_int_div_zero 0
	.end_amdhsa_kernel
	.section	.text._ZL29rocblas_internal_gemmt_kernelIiLi16ELi32ELi8ELc67ELc78ELc76ELb1ELb0E19rocblas_complex_numIfEPKS1_PKS3_PKPS1_EviT_T9_T10_S9_lSB_S9_lSA_T11_S9_li,"axG",@progbits,_ZL29rocblas_internal_gemmt_kernelIiLi16ELi32ELi8ELc67ELc78ELc76ELb1ELb0E19rocblas_complex_numIfEPKS1_PKS3_PKPS1_EviT_T9_T10_S9_lSB_S9_lSA_T11_S9_li,comdat
.Lfunc_end375:
	.size	_ZL29rocblas_internal_gemmt_kernelIiLi16ELi32ELi8ELc67ELc78ELc76ELb1ELb0E19rocblas_complex_numIfEPKS1_PKS3_PKPS1_EviT_T9_T10_S9_lSB_S9_lSA_T11_S9_li, .Lfunc_end375-_ZL29rocblas_internal_gemmt_kernelIiLi16ELi32ELi8ELc67ELc78ELc76ELb1ELb0E19rocblas_complex_numIfEPKS1_PKS3_PKPS1_EviT_T9_T10_S9_lSB_S9_lSA_T11_S9_li
                                        ; -- End function
	.set _ZL29rocblas_internal_gemmt_kernelIiLi16ELi32ELi8ELc67ELc78ELc76ELb1ELb0E19rocblas_complex_numIfEPKS1_PKS3_PKPS1_EviT_T9_T10_S9_lSB_S9_lSA_T11_S9_li.num_vgpr, 59
	.set _ZL29rocblas_internal_gemmt_kernelIiLi16ELi32ELi8ELc67ELc78ELc76ELb1ELb0E19rocblas_complex_numIfEPKS1_PKS3_PKPS1_EviT_T9_T10_S9_lSB_S9_lSA_T11_S9_li.num_agpr, 0
	.set _ZL29rocblas_internal_gemmt_kernelIiLi16ELi32ELi8ELc67ELc78ELc76ELb1ELb0E19rocblas_complex_numIfEPKS1_PKS3_PKPS1_EviT_T9_T10_S9_lSB_S9_lSA_T11_S9_li.numbered_sgpr, 27
	.set _ZL29rocblas_internal_gemmt_kernelIiLi16ELi32ELi8ELc67ELc78ELc76ELb1ELb0E19rocblas_complex_numIfEPKS1_PKS3_PKPS1_EviT_T9_T10_S9_lSB_S9_lSA_T11_S9_li.num_named_barrier, 0
	.set _ZL29rocblas_internal_gemmt_kernelIiLi16ELi32ELi8ELc67ELc78ELc76ELb1ELb0E19rocblas_complex_numIfEPKS1_PKS3_PKPS1_EviT_T9_T10_S9_lSB_S9_lSA_T11_S9_li.private_seg_size, 0
	.set _ZL29rocblas_internal_gemmt_kernelIiLi16ELi32ELi8ELc67ELc78ELc76ELb1ELb0E19rocblas_complex_numIfEPKS1_PKS3_PKPS1_EviT_T9_T10_S9_lSB_S9_lSA_T11_S9_li.uses_vcc, 1
	.set _ZL29rocblas_internal_gemmt_kernelIiLi16ELi32ELi8ELc67ELc78ELc76ELb1ELb0E19rocblas_complex_numIfEPKS1_PKS3_PKPS1_EviT_T9_T10_S9_lSB_S9_lSA_T11_S9_li.uses_flat_scratch, 0
	.set _ZL29rocblas_internal_gemmt_kernelIiLi16ELi32ELi8ELc67ELc78ELc76ELb1ELb0E19rocblas_complex_numIfEPKS1_PKS3_PKPS1_EviT_T9_T10_S9_lSB_S9_lSA_T11_S9_li.has_dyn_sized_stack, 0
	.set _ZL29rocblas_internal_gemmt_kernelIiLi16ELi32ELi8ELc67ELc78ELc76ELb1ELb0E19rocblas_complex_numIfEPKS1_PKS3_PKPS1_EviT_T9_T10_S9_lSB_S9_lSA_T11_S9_li.has_recursion, 0
	.set _ZL29rocblas_internal_gemmt_kernelIiLi16ELi32ELi8ELc67ELc78ELc76ELb1ELb0E19rocblas_complex_numIfEPKS1_PKS3_PKPS1_EviT_T9_T10_S9_lSB_S9_lSA_T11_S9_li.has_indirect_call, 0
	.section	.AMDGPU.csdata,"",@progbits
; Kernel info:
; codeLenInByte = 2536
; TotalNumSgprs: 29
; NumVgprs: 59
; ScratchSize: 0
; MemoryBound: 1
; FloatMode: 240
; IeeeMode: 1
; LDSByteSize: 4096 bytes/workgroup (compile time only)
; SGPRBlocks: 0
; VGPRBlocks: 7
; NumSGPRsForWavesPerEU: 29
; NumVGPRsForWavesPerEU: 59
; Occupancy: 16
; WaveLimiterHint : 1
; COMPUTE_PGM_RSRC2:SCRATCH_EN: 0
; COMPUTE_PGM_RSRC2:USER_SGPR: 6
; COMPUTE_PGM_RSRC2:TRAP_HANDLER: 0
; COMPUTE_PGM_RSRC2:TGID_X_EN: 1
; COMPUTE_PGM_RSRC2:TGID_Y_EN: 1
; COMPUTE_PGM_RSRC2:TGID_Z_EN: 1
; COMPUTE_PGM_RSRC2:TIDIG_COMP_CNT: 1
	.section	.text._ZL29rocblas_internal_gemmt_kernelIiLi16ELi32ELi8ELc67ELc84ELc76ELb1ELb0E19rocblas_complex_numIfEPKS1_PKS3_PKPS1_EviT_T9_T10_S9_lSB_S9_lSA_T11_S9_li,"axG",@progbits,_ZL29rocblas_internal_gemmt_kernelIiLi16ELi32ELi8ELc67ELc84ELc76ELb1ELb0E19rocblas_complex_numIfEPKS1_PKS3_PKPS1_EviT_T9_T10_S9_lSB_S9_lSA_T11_S9_li,comdat
	.globl	_ZL29rocblas_internal_gemmt_kernelIiLi16ELi32ELi8ELc67ELc84ELc76ELb1ELb0E19rocblas_complex_numIfEPKS1_PKS3_PKPS1_EviT_T9_T10_S9_lSB_S9_lSA_T11_S9_li ; -- Begin function _ZL29rocblas_internal_gemmt_kernelIiLi16ELi32ELi8ELc67ELc84ELc76ELb1ELb0E19rocblas_complex_numIfEPKS1_PKS3_PKPS1_EviT_T9_T10_S9_lSB_S9_lSA_T11_S9_li
	.p2align	8
	.type	_ZL29rocblas_internal_gemmt_kernelIiLi16ELi32ELi8ELc67ELc84ELc76ELb1ELb0E19rocblas_complex_numIfEPKS1_PKS3_PKPS1_EviT_T9_T10_S9_lSB_S9_lSA_T11_S9_li,@function
_ZL29rocblas_internal_gemmt_kernelIiLi16ELi32ELi8ELc67ELc84ELc76ELb1ELb0E19rocblas_complex_numIfEPKS1_PKS3_PKPS1_EviT_T9_T10_S9_lSB_S9_lSA_T11_S9_li: ; @_ZL29rocblas_internal_gemmt_kernelIiLi16ELi32ELi8ELc67ELc84ELc76ELb1ELb0E19rocblas_complex_numIfEPKS1_PKS3_PKPS1_EviT_T9_T10_S9_lSB_S9_lSA_T11_S9_li
; %bb.0:
	s_clause 0x1
	s_load_dwordx4 s[12:15], s[4:5], 0x38
	s_load_dwordx4 s[0:3], s[4:5], 0x8
	s_waitcnt lgkmcnt(0)
	s_load_dwordx2 s[10:11], s[14:15], 0x0
	s_load_dwordx2 s[20:21], s[4:5], 0x0
	;; [unrolled: 1-line block ×3, first 2 shown]
	s_waitcnt lgkmcnt(0)
	s_and_b32 s0, s11, 0x7fffffff
	v_cmp_eq_f32_e64 s1, s10, 1.0
	s_cmp_eq_u32 s0, 0
	s_mov_b32 s0, 0
	s_cselect_b32 s24, -1, 0
	s_and_b32 s1, s1, s24
	s_andn2_b32 vcc_lo, exec_lo, s1
	s_mov_b32 s1, -1
	s_cbranch_vccnz .LBB376_4
; %bb.1:
	s_cmp_lg_u32 s21, 0
	s_cbranch_scc0 .LBB376_3
; %bb.2:
	v_cmp_neq_f32_e64 s0, s14, 0
	v_cmp_neq_f32_e64 s1, s15, 0
	s_or_b32 s0, s0, s1
.LBB376_3:
	s_mov_b32 s1, s0
.LBB376_4:
	s_and_b32 vcc_lo, exec_lo, s1
	s_cbranch_vccz .LBB376_32
; %bb.5:
	s_load_dwordx2 s[16:17], s[4:5], 0x48
	s_mov_b32 s9, 0
	v_cmp_eq_f32_e64 s18, s14, 0
	s_lshl_b64 s[0:1], s[8:9], 3
	v_cmp_eq_f32_e64 s19, s15, 0
	v_mov_b32_e32 v20, 0
	v_mov_b32_e32 v21, 0
	v_mov_b32_e32 v18, 0
	v_mov_b32_e32 v19, 0
	v_mov_b32_e32 v16, 0
	v_mov_b32_e32 v17, 0
	v_mov_b32_e32 v14, 0
	v_mov_b32_e32 v15, 0
	s_waitcnt lgkmcnt(0)
	s_add_u32 s16, s16, s0
	s_addc_u32 s17, s17, s1
	s_lshl_b32 s8, s6, 5
	s_load_dwordx2 s[22:23], s[16:17], 0x0
	s_lshl_b32 s25, s7, 5
	s_and_b32 s6, s18, s19
	s_cmp_lt_i32 s21, 1
	s_cselect_b32 s7, -1, 0
	s_or_b32 s6, s6, s7
	s_and_b32 vcc_lo, exec_lo, s6
	s_cbranch_vccnz .LBB376_16
; %bb.6:
	s_clause 0x2
	s_load_dword s6, s[4:5], 0x30
	s_load_dword s26, s[4:5], 0x18
	s_load_dwordx4 s[16:19], s[4:5], 0x20
	v_lshl_add_u32 v2, v1, 4, v0
	v_and_b32_e32 v8, 7, v0
	v_lshlrev_b32_e32 v12, 3, v0
	v_lshl_add_u32 v13, v1, 6, 0x800
	v_mov_b32_e32 v17, 0
	v_and_b32_e32 v4, 31, v2
	v_lshrrev_b32_e32 v5, 3, v2
	v_lshlrev_b32_e32 v6, 3, v8
	v_lshrrev_b32_e32 v9, 5, v2
	v_mov_b32_e32 v16, 0
	v_or_b32_e32 v2, s8, v4
	v_lshlrev_b32_e32 v7, 3, v4
	v_add_nc_u32_e32 v4, s8, v4
	v_add_nc_u32_e32 v3, s25, v5
	v_lshl_or_b32 v11, v5, 6, v6
	v_cmp_gt_i32_e32 vcc_lo, s20, v2
	v_lshl_or_b32 v10, v9, 8, v7
	s_waitcnt lgkmcnt(0)
	s_ashr_i32 s7, s6, 31
	v_mad_i64_i32 v[5:6], null, s26, v4, 0
	s_add_u32 s18, s18, s0
	s_addc_u32 s19, s19, s1
	v_mad_i64_i32 v[14:15], null, s6, v8, 0
	s_add_u32 s0, s2, s0
	s_addc_u32 s1, s3, s1
	s_load_dwordx2 s[2:3], s[18:19], 0x0
	s_load_dwordx2 s[18:19], s[0:1], 0x0
	v_lshlrev_b64 v[5:6], 3, v[5:6]
	v_ashrrev_i32_e32 v4, 31, v3
	s_lshl_b64 s[16:17], s[16:17], 3
	v_lshlrev_b64 v[14:15], 3, v[14:15]
	v_lshlrev_b32_e32 v7, 3, v9
	s_lshl_b64 s[12:13], s[12:13], 3
	v_add_co_u32 v5, s1, v5, s16
	v_cmp_gt_i32_e64 s0, s20, v3
	v_lshlrev_b64 v[3:4], 3, v[3:4]
	v_add_co_ci_u32_e64 v6, null, s17, v6, s1
	v_add_co_u32 v14, s1, v14, s12
	v_add_co_ci_u32_e64 v15, null, s13, v15, s1
	v_add_co_u32 v5, s1, v5, v7
	v_add_co_ci_u32_e64 v6, null, 0, v6, s1
	v_add_co_u32 v3, s1, v14, v3
	v_add_co_ci_u32_e64 v7, null, v15, v4, s1
	s_waitcnt lgkmcnt(0)
	v_add_co_u32 v4, s1, s18, v5
	v_add_co_ci_u32_e64 v5, null, s19, v6, s1
	v_add_co_u32 v6, s1, s2, v3
	v_add_nc_u32_e32 v11, 0x800, v11
	v_mov_b32_e32 v2, 0
	v_add_co_ci_u32_e64 v7, null, s3, v7, s1
	v_mov_b32_e32 v15, 0
	v_mov_b32_e32 v14, 0
	;; [unrolled: 1-line block ×6, first 2 shown]
	s_lshl_b64 s[2:3], s[6:7], 6
	s_xor_b32 s1, vcc_lo, -1
	s_xor_b32 s0, s0, -1
	s_branch .LBB376_8
.LBB376_7:                              ;   in Loop: Header=BB376_8 Depth=1
	s_or_b32 exec_lo, exec_lo, s6
	s_waitcnt lgkmcnt(0)
	s_barrier
	buffer_gl0_inv
	ds_read_b128 v[22:25], v13
	ds_read2_b64 v[26:29], v12 offset1:16
	ds_read_b128 v[30:33], v13 offset:1024
	ds_read_b128 v[34:37], v13 offset:16
	;; [unrolled: 1-line block ×4, first 2 shown]
	ds_read2_b64 v[46:49], v12 offset0:32 offset1:48
	ds_read_b128 v[50:53], v13 offset:1040
	v_add_co_u32 v4, vcc_lo, v4, 64
	v_add_co_ci_u32_e64 v5, null, 0, v5, vcc_lo
	v_add_co_u32 v6, vcc_lo, v6, s2
	v_add_co_ci_u32_e64 v7, null, s3, v7, vcc_lo
	s_add_i32 s9, s9, 8
	s_cmp_lt_i32 s9, s21
	s_waitcnt lgkmcnt(6)
	v_mul_f32_e32 v3, v23, v27
	v_mul_f32_e32 v54, v22, v27
	;; [unrolled: 1-line block ×4, first 2 shown]
	s_waitcnt lgkmcnt(5)
	v_mul_f32_e32 v57, v31, v27
	v_mul_f32_e32 v27, v30, v27
	v_mul_f32_e32 v58, v31, v29
	v_fma_f32 v3, v22, v26, -v3
	v_fmac_f32_e32 v54, v23, v26
	v_fma_f32 v22, v22, v28, -v55
	v_fmac_f32_e32 v56, v23, v28
	;; [unrolled: 2-line block ×3, first 2 shown]
	v_mul_f32_e32 v29, v30, v29
	v_fma_f32 v26, v30, v28, -v58
	v_add_f32_e32 v3, v20, v3
	v_add_f32_e32 v20, v21, v54
	v_add_f32_e32 v21, v18, v22
	v_add_f32_e32 v22, v19, v56
	v_add_f32_e32 v23, v16, v23
	v_add_f32_e32 v27, v17, v27
	s_waitcnt lgkmcnt(1)
	v_mul_f32_e32 v30, v25, v47
	ds_read2_b64 v[16:19], v12 offset0:64 offset1:80
	v_fmac_f32_e32 v29, v31, v28
	v_add_f32_e32 v14, v14, v26
	v_mul_f32_e32 v26, v24, v47
	v_fma_f32 v28, v24, v46, -v30
	v_mul_f32_e32 v30, v25, v49
	v_add_f32_e32 v15, v15, v29
	v_mul_f32_e32 v29, v24, v49
	v_fmac_f32_e32 v26, v25, v46
	v_add_f32_e32 v3, v3, v28
	v_fma_f32 v24, v24, v48, -v30
	v_mul_f32_e32 v28, v33, v47
	v_fmac_f32_e32 v29, v25, v48
	v_add_f32_e32 v26, v20, v26
	v_mul_f32_e32 v20, v32, v47
	v_add_f32_e32 v24, v21, v24
	v_fma_f32 v21, v32, v46, -v28
	v_mul_f32_e32 v25, v33, v49
	v_add_f32_e32 v28, v22, v29
	v_fmac_f32_e32 v20, v33, v46
	v_mul_f32_e32 v29, v32, v49
	v_add_f32_e32 v30, v23, v21
	v_fma_f32 v21, v32, v48, -v25
	s_waitcnt lgkmcnt(0)
	v_mul_f32_e32 v22, v35, v17
	v_add_f32_e32 v25, v27, v20
	v_fmac_f32_e32 v29, v33, v48
	v_mul_f32_e32 v27, v34, v17
	v_add_f32_e32 v14, v14, v21
	v_fma_f32 v31, v34, v16, -v22
	v_mul_f32_e32 v32, v35, v19
	ds_read2_b64 v[20:23], v12 offset0:96 offset1:112
	v_fmac_f32_e32 v27, v35, v16
	v_add_f32_e32 v29, v15, v29
	v_add_f32_e32 v3, v3, v31
	v_mul_f32_e32 v15, v34, v19
	v_fma_f32 v31, v34, v18, -v32
	v_add_f32_e32 v26, v26, v27
	v_mul_f32_e32 v27, v51, v17
	v_mul_f32_e32 v17, v50, v17
	v_fmac_f32_e32 v15, v35, v18
	v_add_f32_e32 v24, v24, v31
	v_mul_f32_e32 v31, v51, v19
	v_mul_f32_e32 v19, v50, v19
	v_fmac_f32_e32 v17, v51, v16
	v_add_f32_e32 v28, v28, v15
	v_fma_f32 v27, v50, v16, -v27
	v_fma_f32 v15, v50, v18, -v31
	v_fmac_f32_e32 v19, v51, v18
	v_add_f32_e32 v31, v25, v17
	s_waitcnt lgkmcnt(0)
	v_mul_f32_e32 v18, v37, v21
	v_add_f32_e32 v32, v14, v15
	ds_read2_b64 v[14:17], v12 offset0:128 offset1:144
	v_add_f32_e32 v30, v30, v27
	v_mul_f32_e32 v25, v36, v21
	v_fma_f32 v18, v36, v20, -v18
	v_mul_f32_e32 v27, v37, v23
	v_add_f32_e32 v29, v29, v19
	v_mul_f32_e32 v19, v36, v23
	v_fmac_f32_e32 v25, v37, v20
	v_add_f32_e32 v3, v3, v18
	v_mul_f32_e32 v18, v53, v21
	v_fma_f32 v27, v36, v22, -v27
	v_fmac_f32_e32 v19, v37, v22
	v_mul_f32_e32 v21, v52, v21
	v_mul_f32_e32 v35, v53, v23
	v_fma_f32 v18, v52, v20, -v18
	v_add_f32_e32 v33, v26, v25
	v_add_f32_e32 v34, v24, v27
	ds_read_b128 v[24:27], v13 offset:1056
	v_add_f32_e32 v36, v28, v19
	v_fmac_f32_e32 v21, v53, v20
	v_mul_f32_e32 v23, v52, v23
	v_fma_f32 v19, v52, v22, -v35
	v_add_f32_e32 v35, v30, v18
	s_waitcnt lgkmcnt(1)
	v_mul_f32_e32 v18, v39, v15
	v_add_f32_e32 v37, v31, v21
	v_fmac_f32_e32 v23, v53, v22
	v_add_f32_e32 v22, v32, v19
	v_mul_f32_e32 v32, v38, v15
	v_fma_f32 v28, v38, v14, -v18
	ds_read2_b64 v[18:21], v12 offset0:160 offset1:176
	v_mul_f32_e32 v30, v39, v17
	v_mul_f32_e32 v46, v38, v17
	v_fmac_f32_e32 v32, v39, v14
	v_add_f32_e32 v23, v29, v23
	v_add_f32_e32 v3, v3, v28
	v_fma_f32 v38, v38, v16, -v30
	ds_read_b128 v[28:31], v13 offset:1072
	s_waitcnt lgkmcnt(2)
	v_mul_f32_e32 v47, v25, v15
	v_add_f32_e32 v32, v33, v32
	v_mul_f32_e32 v15, v24, v15
	v_add_f32_e32 v33, v34, v38
	v_mul_f32_e32 v38, v25, v17
	v_fmac_f32_e32 v46, v39, v16
	v_fma_f32 v34, v24, v14, -v47
	v_fmac_f32_e32 v15, v25, v14
	v_mul_f32_e32 v39, v24, v17
	v_fma_f32 v14, v24, v16, -v38
	v_add_f32_e32 v36, v36, v46
	v_add_f32_e32 v34, v35, v34
	s_waitcnt lgkmcnt(1)
	v_mul_f32_e32 v17, v41, v19
	v_add_f32_e32 v24, v37, v15
	v_fmac_f32_e32 v39, v25, v16
	v_mul_f32_e32 v25, v40, v19
	v_add_f32_e32 v22, v22, v14
	v_fma_f32 v35, v40, v18, -v17
	ds_read2_b64 v[14:17], v12 offset0:192 offset1:208
	v_mul_f32_e32 v37, v41, v21
	v_fmac_f32_e32 v25, v41, v18
	v_add_f32_e32 v38, v23, v39
	v_add_f32_e32 v3, v3, v35
	v_mul_f32_e32 v23, v40, v21
	v_fma_f32 v35, v40, v20, -v37
	v_add_f32_e32 v32, v32, v25
	v_mul_f32_e32 v25, v27, v19
	v_mul_f32_e32 v19, v26, v19
	v_fmac_f32_e32 v23, v41, v20
	v_add_f32_e32 v33, v33, v35
	v_mul_f32_e32 v35, v27, v21
	v_fma_f32 v25, v26, v18, -v25
	v_fmac_f32_e32 v19, v27, v18
	v_add_f32_e32 v18, v36, v23
	v_mul_f32_e32 v21, v26, v21
	v_fma_f32 v23, v26, v20, -v35
	v_add_f32_e32 v26, v34, v25
	v_add_f32_e32 v19, v24, v19
	s_waitcnt lgkmcnt(0)
	v_mul_f32_e32 v34, v43, v15
	v_fmac_f32_e32 v21, v27, v20
	v_add_f32_e32 v20, v22, v23
	ds_read2_b64 v[22:25], v12 offset0:224 offset1:240
	v_mul_f32_e32 v27, v42, v15
	v_fma_f32 v34, v42, v14, -v34
	v_mul_f32_e32 v35, v43, v17
	v_mul_f32_e32 v36, v42, v17
	v_add_f32_e32 v21, v38, v21
	v_fmac_f32_e32 v27, v43, v14
	v_add_f32_e32 v3, v3, v34
	v_mul_f32_e32 v34, v29, v15
	v_fma_f32 v35, v42, v16, -v35
	v_fmac_f32_e32 v36, v43, v16
	v_add_f32_e32 v27, v32, v27
	v_mul_f32_e32 v15, v28, v15
	v_fma_f32 v32, v28, v14, -v34
	v_mul_f32_e32 v34, v29, v17
	v_add_f32_e32 v33, v33, v35
	v_add_f32_e32 v35, v18, v36
	v_fmac_f32_e32 v15, v29, v14
	v_add_f32_e32 v14, v26, v32
	v_mul_f32_e32 v17, v28, v17
	v_fma_f32 v18, v28, v16, -v34
	s_waitcnt lgkmcnt(0)
	v_mul_f32_e32 v26, v45, v23
	v_mul_f32_e32 v28, v44, v23
	v_add_f32_e32 v15, v19, v15
	v_fmac_f32_e32 v17, v29, v16
	v_add_f32_e32 v29, v20, v18
	v_fma_f32 v16, v44, v22, -v26
	v_mul_f32_e32 v18, v45, v25
	v_mul_f32_e32 v19, v44, v25
	v_add_f32_e32 v26, v21, v17
	v_mul_f32_e32 v17, v30, v23
	v_add_f32_e32 v20, v3, v16
	v_fma_f32 v3, v44, v24, -v18
	v_mul_f32_e32 v16, v31, v23
	v_mul_f32_e32 v23, v31, v25
	;; [unrolled: 1-line block ×3, first 2 shown]
	v_fmac_f32_e32 v28, v45, v22
	v_fmac_f32_e32 v19, v45, v24
	v_add_f32_e32 v18, v33, v3
	v_fma_f32 v3, v30, v22, -v16
	v_fmac_f32_e32 v17, v31, v22
	v_fma_f32 v22, v30, v24, -v23
	v_fmac_f32_e32 v25, v31, v24
	v_add_f32_e32 v21, v27, v28
	v_add_f32_e32 v19, v35, v19
	v_add_f32_e32 v16, v14, v3
	v_add_f32_e32 v17, v15, v17
	v_add_f32_e32 v14, v29, v22
	v_add_f32_e32 v15, v26, v25
	s_barrier
	buffer_gl0_inv
	s_cbranch_scc0 .LBB376_16
.LBB376_8:                              ; =>This Inner Loop Header: Depth=1
	v_add_nc_u32_e32 v3, s9, v9
	v_cmp_le_i32_e32 vcc_lo, s21, v3
	s_or_b32 s6, s1, vcc_lo
	s_and_saveexec_b32 s7, s6
	s_xor_b32 s6, exec_lo, s7
; %bb.9:                                ;   in Loop: Header=BB376_8 Depth=1
	ds_write_b32 v10, v2
; %bb.10:                               ;   in Loop: Header=BB376_8 Depth=1
	s_or_saveexec_b32 s6, s6
	v_mov_b32_e32 v3, 0
	s_xor_b32 exec_lo, exec_lo, s6
	s_cbranch_execz .LBB376_12
; %bb.11:                               ;   in Loop: Header=BB376_8 Depth=1
	flat_load_dwordx2 v[22:23], v[4:5]
	s_waitcnt vmcnt(0) lgkmcnt(0)
	v_xor_b32_e32 v3, 0x80000000, v23
	ds_write_b32 v10, v22
.LBB376_12:                             ;   in Loop: Header=BB376_8 Depth=1
	s_or_b32 exec_lo, exec_lo, s6
	v_add_nc_u32_e32 v22, s9, v8
	ds_write_b32 v10, v3 offset:4
	v_cmp_le_i32_e32 vcc_lo, s21, v22
	s_or_b32 s6, vcc_lo, s0
	s_and_saveexec_b32 s7, s6
	s_xor_b32 s6, exec_lo, s7
; %bb.13:                               ;   in Loop: Header=BB376_8 Depth=1
	v_mov_b32_e32 v3, v2
	ds_write_b64 v11, v[2:3]
; %bb.14:                               ;   in Loop: Header=BB376_8 Depth=1
	s_andn2_saveexec_b32 s6, s6
	s_cbranch_execz .LBB376_7
; %bb.15:                               ;   in Loop: Header=BB376_8 Depth=1
	flat_load_dwordx2 v[22:23], v[6:7]
	s_waitcnt vmcnt(0) lgkmcnt(0)
	ds_write_b64 v11, v[22:23]
	s_branch .LBB376_7
.LBB376_16:
	s_clause 0x1
	s_load_dword s3, s[4:5], 0x50
	s_load_dwordx2 s[4:5], s[4:5], 0x58
	v_add_nc_u32_e32 v9, s25, v1
	v_add_nc_u32_e32 v0, s8, v0
	v_cmp_neq_f32_e64 s2, s10, 0
	v_cmp_le_i32_e32 vcc_lo, v9, v0
	v_cmp_gt_i32_e64 s0, s20, v0
	s_waitcnt lgkmcnt(0)
	v_mad_i64_i32 v[1:2], null, v9, s3, 0
	s_lshl_b64 s[4:5], s[4:5], 3
	s_add_u32 s4, s22, s4
	s_addc_u32 s5, s23, s5
	s_xor_b32 s6, s24, -1
	s_or_b32 s2, s2, s6
	v_lshlrev_b64 v[2:3], 3, v[1:2]
	v_ashrrev_i32_e32 v1, 31, v0
	v_cndmask_b32_e64 v8, 0, 1, s2
	s_and_b32 s6, vcc_lo, s0
	v_add_co_u32 v6, s1, s4, v2
	v_add_co_ci_u32_e64 v7, null, s5, v3, s1
	s_and_saveexec_b32 s1, s6
	s_cbranch_execz .LBB376_20
; %bb.17:
	v_lshlrev_b64 v[4:5], 3, v[0:1]
	v_mul_f32_e32 v2, s15, v21
	v_mul_f32_e32 v3, s14, v21
	v_fma_f32 v2, v20, s14, -v2
	v_add_co_u32 v4, vcc_lo, v6, v4
	v_fmac_f32_e32 v3, s15, v20
	v_add_co_ci_u32_e64 v5, null, v7, v5, vcc_lo
	s_andn2_b32 vcc_lo, exec_lo, s2
	s_cbranch_vccnz .LBB376_19
; %bb.18:
	flat_load_dwordx2 v[10:11], v[4:5]
	s_waitcnt vmcnt(0) lgkmcnt(0)
	v_mul_f32_e32 v12, s11, v11
	v_mul_f32_e32 v11, s10, v11
	v_fma_f32 v12, v10, s10, -v12
	v_fmac_f32_e32 v11, s11, v10
	v_add_f32_e32 v2, v2, v12
	v_add_f32_e32 v3, v3, v11
.LBB376_19:
	flat_store_dwordx2 v[4:5], v[2:3]
.LBB376_20:
	s_or_b32 exec_lo, exec_lo, s1
	v_add_nc_u32_e32 v2, 16, v0
	v_cmp_le_i32_e32 vcc_lo, v9, v2
	v_cmp_gt_i32_e64 s1, s20, v2
	v_ashrrev_i32_e32 v3, 31, v2
	s_and_b32 s2, vcc_lo, s1
	s_and_saveexec_b32 s6, s2
	s_cbranch_execz .LBB376_24
; %bb.21:
	v_lshlrev_b64 v[10:11], 3, v[2:3]
	v_mul_f32_e32 v4, s15, v19
	v_mul_f32_e32 v5, s14, v19
	v_cmp_ne_u32_e32 vcc_lo, 1, v8
	v_fma_f32 v4, v18, s14, -v4
	v_add_co_u32 v6, s2, v6, v10
	v_fmac_f32_e32 v5, s15, v18
	v_add_co_ci_u32_e64 v7, null, v7, v11, s2
	s_cbranch_vccnz .LBB376_23
; %bb.22:
	flat_load_dwordx2 v[10:11], v[6:7]
	s_waitcnt vmcnt(0) lgkmcnt(0)
	v_mul_f32_e32 v12, s11, v11
	v_mul_f32_e32 v11, s10, v11
	v_fma_f32 v12, v10, s10, -v12
	v_fmac_f32_e32 v11, s11, v10
	v_add_f32_e32 v4, v4, v12
	v_add_f32_e32 v5, v5, v11
.LBB376_23:
	flat_store_dwordx2 v[6:7], v[4:5]
.LBB376_24:
	s_or_b32 exec_lo, exec_lo, s6
	v_add_nc_u32_e32 v9, 16, v9
	v_mad_i64_i32 v[4:5], null, v9, s3, 0
	v_cmp_le_i32_e32 vcc_lo, v9, v0
	s_and_b32 s0, vcc_lo, s0
	v_lshlrev_b64 v[4:5], 3, v[4:5]
	v_add_co_u32 v6, s2, s4, v4
	v_add_co_ci_u32_e64 v7, null, s5, v5, s2
	s_and_saveexec_b32 s2, s0
	s_cbranch_execz .LBB376_28
; %bb.25:
	v_lshlrev_b64 v[0:1], 3, v[0:1]
	v_mul_f32_e32 v4, s15, v17
	v_mul_f32_e32 v5, s14, v17
	v_cmp_ne_u32_e32 vcc_lo, 1, v8
	v_fma_f32 v4, v16, s14, -v4
	v_add_co_u32 v0, s0, v6, v0
	v_fmac_f32_e32 v5, s15, v16
	v_add_co_ci_u32_e64 v1, null, v7, v1, s0
	s_cbranch_vccnz .LBB376_27
; %bb.26:
	flat_load_dwordx2 v[10:11], v[0:1]
	s_waitcnt vmcnt(0) lgkmcnt(0)
	v_mul_f32_e32 v12, s11, v11
	v_mul_f32_e32 v11, s10, v11
	v_fma_f32 v12, v10, s10, -v12
	v_fmac_f32_e32 v11, s11, v10
	v_add_f32_e32 v4, v4, v12
	v_add_f32_e32 v5, v5, v11
.LBB376_27:
	flat_store_dwordx2 v[0:1], v[4:5]
.LBB376_28:
	s_or_b32 exec_lo, exec_lo, s2
	v_cmp_le_i32_e32 vcc_lo, v9, v2
	s_and_b32 s0, vcc_lo, s1
	s_and_saveexec_b32 s1, s0
	s_cbranch_execz .LBB376_32
; %bb.29:
	v_lshlrev_b64 v[2:3], 3, v[2:3]
	v_mul_f32_e32 v0, s15, v15
	v_mul_f32_e32 v1, s14, v15
	v_cmp_ne_u32_e32 vcc_lo, 1, v8
	v_fma_f32 v0, v14, s14, -v0
	v_add_co_u32 v2, s0, v6, v2
	v_fmac_f32_e32 v1, s15, v14
	v_add_co_ci_u32_e64 v3, null, v7, v3, s0
	s_cbranch_vccnz .LBB376_31
; %bb.30:
	flat_load_dwordx2 v[4:5], v[2:3]
	s_waitcnt vmcnt(0) lgkmcnt(0)
	v_mul_f32_e32 v6, s11, v5
	v_mul_f32_e32 v5, s10, v5
	v_fma_f32 v6, v4, s10, -v6
	v_fmac_f32_e32 v5, s11, v4
	v_add_f32_e32 v0, v0, v6
	v_add_f32_e32 v1, v1, v5
.LBB376_31:
	flat_store_dwordx2 v[2:3], v[0:1]
.LBB376_32:
	s_endpgm
	.section	.rodata,"a",@progbits
	.p2align	6, 0x0
	.amdhsa_kernel _ZL29rocblas_internal_gemmt_kernelIiLi16ELi32ELi8ELc67ELc84ELc76ELb1ELb0E19rocblas_complex_numIfEPKS1_PKS3_PKPS1_EviT_T9_T10_S9_lSB_S9_lSA_T11_S9_li
		.amdhsa_group_segment_fixed_size 4096
		.amdhsa_private_segment_fixed_size 0
		.amdhsa_kernarg_size 100
		.amdhsa_user_sgpr_count 6
		.amdhsa_user_sgpr_private_segment_buffer 1
		.amdhsa_user_sgpr_dispatch_ptr 0
		.amdhsa_user_sgpr_queue_ptr 0
		.amdhsa_user_sgpr_kernarg_segment_ptr 1
		.amdhsa_user_sgpr_dispatch_id 0
		.amdhsa_user_sgpr_flat_scratch_init 0
		.amdhsa_user_sgpr_private_segment_size 0
		.amdhsa_wavefront_size32 1
		.amdhsa_uses_dynamic_stack 0
		.amdhsa_system_sgpr_private_segment_wavefront_offset 0
		.amdhsa_system_sgpr_workgroup_id_x 1
		.amdhsa_system_sgpr_workgroup_id_y 1
		.amdhsa_system_sgpr_workgroup_id_z 1
		.amdhsa_system_sgpr_workgroup_info 0
		.amdhsa_system_vgpr_workitem_id 1
		.amdhsa_next_free_vgpr 59
		.amdhsa_next_free_sgpr 27
		.amdhsa_reserve_vcc 1
		.amdhsa_reserve_flat_scratch 0
		.amdhsa_float_round_mode_32 0
		.amdhsa_float_round_mode_16_64 0
		.amdhsa_float_denorm_mode_32 3
		.amdhsa_float_denorm_mode_16_64 3
		.amdhsa_dx10_clamp 1
		.amdhsa_ieee_mode 1
		.amdhsa_fp16_overflow 0
		.amdhsa_workgroup_processor_mode 1
		.amdhsa_memory_ordered 1
		.amdhsa_forward_progress 1
		.amdhsa_shared_vgpr_count 0
		.amdhsa_exception_fp_ieee_invalid_op 0
		.amdhsa_exception_fp_denorm_src 0
		.amdhsa_exception_fp_ieee_div_zero 0
		.amdhsa_exception_fp_ieee_overflow 0
		.amdhsa_exception_fp_ieee_underflow 0
		.amdhsa_exception_fp_ieee_inexact 0
		.amdhsa_exception_int_div_zero 0
	.end_amdhsa_kernel
	.section	.text._ZL29rocblas_internal_gemmt_kernelIiLi16ELi32ELi8ELc67ELc84ELc76ELb1ELb0E19rocblas_complex_numIfEPKS1_PKS3_PKPS1_EviT_T9_T10_S9_lSB_S9_lSA_T11_S9_li,"axG",@progbits,_ZL29rocblas_internal_gemmt_kernelIiLi16ELi32ELi8ELc67ELc84ELc76ELb1ELb0E19rocblas_complex_numIfEPKS1_PKS3_PKPS1_EviT_T9_T10_S9_lSB_S9_lSA_T11_S9_li,comdat
.Lfunc_end376:
	.size	_ZL29rocblas_internal_gemmt_kernelIiLi16ELi32ELi8ELc67ELc84ELc76ELb1ELb0E19rocblas_complex_numIfEPKS1_PKS3_PKPS1_EviT_T9_T10_S9_lSB_S9_lSA_T11_S9_li, .Lfunc_end376-_ZL29rocblas_internal_gemmt_kernelIiLi16ELi32ELi8ELc67ELc84ELc76ELb1ELb0E19rocblas_complex_numIfEPKS1_PKS3_PKPS1_EviT_T9_T10_S9_lSB_S9_lSA_T11_S9_li
                                        ; -- End function
	.set _ZL29rocblas_internal_gemmt_kernelIiLi16ELi32ELi8ELc67ELc84ELc76ELb1ELb0E19rocblas_complex_numIfEPKS1_PKS3_PKPS1_EviT_T9_T10_S9_lSB_S9_lSA_T11_S9_li.num_vgpr, 59
	.set _ZL29rocblas_internal_gemmt_kernelIiLi16ELi32ELi8ELc67ELc84ELc76ELb1ELb0E19rocblas_complex_numIfEPKS1_PKS3_PKPS1_EviT_T9_T10_S9_lSB_S9_lSA_T11_S9_li.num_agpr, 0
	.set _ZL29rocblas_internal_gemmt_kernelIiLi16ELi32ELi8ELc67ELc84ELc76ELb1ELb0E19rocblas_complex_numIfEPKS1_PKS3_PKPS1_EviT_T9_T10_S9_lSB_S9_lSA_T11_S9_li.numbered_sgpr, 27
	.set _ZL29rocblas_internal_gemmt_kernelIiLi16ELi32ELi8ELc67ELc84ELc76ELb1ELb0E19rocblas_complex_numIfEPKS1_PKS3_PKPS1_EviT_T9_T10_S9_lSB_S9_lSA_T11_S9_li.num_named_barrier, 0
	.set _ZL29rocblas_internal_gemmt_kernelIiLi16ELi32ELi8ELc67ELc84ELc76ELb1ELb0E19rocblas_complex_numIfEPKS1_PKS3_PKPS1_EviT_T9_T10_S9_lSB_S9_lSA_T11_S9_li.private_seg_size, 0
	.set _ZL29rocblas_internal_gemmt_kernelIiLi16ELi32ELi8ELc67ELc84ELc76ELb1ELb0E19rocblas_complex_numIfEPKS1_PKS3_PKPS1_EviT_T9_T10_S9_lSB_S9_lSA_T11_S9_li.uses_vcc, 1
	.set _ZL29rocblas_internal_gemmt_kernelIiLi16ELi32ELi8ELc67ELc84ELc76ELb1ELb0E19rocblas_complex_numIfEPKS1_PKS3_PKPS1_EviT_T9_T10_S9_lSB_S9_lSA_T11_S9_li.uses_flat_scratch, 0
	.set _ZL29rocblas_internal_gemmt_kernelIiLi16ELi32ELi8ELc67ELc84ELc76ELb1ELb0E19rocblas_complex_numIfEPKS1_PKS3_PKPS1_EviT_T9_T10_S9_lSB_S9_lSA_T11_S9_li.has_dyn_sized_stack, 0
	.set _ZL29rocblas_internal_gemmt_kernelIiLi16ELi32ELi8ELc67ELc84ELc76ELb1ELb0E19rocblas_complex_numIfEPKS1_PKS3_PKPS1_EviT_T9_T10_S9_lSB_S9_lSA_T11_S9_li.has_recursion, 0
	.set _ZL29rocblas_internal_gemmt_kernelIiLi16ELi32ELi8ELc67ELc84ELc76ELb1ELb0E19rocblas_complex_numIfEPKS1_PKS3_PKPS1_EviT_T9_T10_S9_lSB_S9_lSA_T11_S9_li.has_indirect_call, 0
	.section	.AMDGPU.csdata,"",@progbits
; Kernel info:
; codeLenInByte = 2556
; TotalNumSgprs: 29
; NumVgprs: 59
; ScratchSize: 0
; MemoryBound: 1
; FloatMode: 240
; IeeeMode: 1
; LDSByteSize: 4096 bytes/workgroup (compile time only)
; SGPRBlocks: 0
; VGPRBlocks: 7
; NumSGPRsForWavesPerEU: 29
; NumVGPRsForWavesPerEU: 59
; Occupancy: 16
; WaveLimiterHint : 1
; COMPUTE_PGM_RSRC2:SCRATCH_EN: 0
; COMPUTE_PGM_RSRC2:USER_SGPR: 6
; COMPUTE_PGM_RSRC2:TRAP_HANDLER: 0
; COMPUTE_PGM_RSRC2:TGID_X_EN: 1
; COMPUTE_PGM_RSRC2:TGID_Y_EN: 1
; COMPUTE_PGM_RSRC2:TGID_Z_EN: 1
; COMPUTE_PGM_RSRC2:TIDIG_COMP_CNT: 1
	.section	.text._ZL29rocblas_internal_gemmt_kernelIiLi16ELi32ELi8ELc67ELc67ELc76ELb1ELb1E19rocblas_complex_numIfEPKS1_PKS3_PKPS1_EviT_T9_T10_S9_lSB_S9_lSA_T11_S9_li,"axG",@progbits,_ZL29rocblas_internal_gemmt_kernelIiLi16ELi32ELi8ELc67ELc67ELc76ELb1ELb1E19rocblas_complex_numIfEPKS1_PKS3_PKPS1_EviT_T9_T10_S9_lSB_S9_lSA_T11_S9_li,comdat
	.globl	_ZL29rocblas_internal_gemmt_kernelIiLi16ELi32ELi8ELc67ELc67ELc76ELb1ELb1E19rocblas_complex_numIfEPKS1_PKS3_PKPS1_EviT_T9_T10_S9_lSB_S9_lSA_T11_S9_li ; -- Begin function _ZL29rocblas_internal_gemmt_kernelIiLi16ELi32ELi8ELc67ELc67ELc76ELb1ELb1E19rocblas_complex_numIfEPKS1_PKS3_PKPS1_EviT_T9_T10_S9_lSB_S9_lSA_T11_S9_li
	.p2align	8
	.type	_ZL29rocblas_internal_gemmt_kernelIiLi16ELi32ELi8ELc67ELc67ELc76ELb1ELb1E19rocblas_complex_numIfEPKS1_PKS3_PKPS1_EviT_T9_T10_S9_lSB_S9_lSA_T11_S9_li,@function
_ZL29rocblas_internal_gemmt_kernelIiLi16ELi32ELi8ELc67ELc67ELc76ELb1ELb1E19rocblas_complex_numIfEPKS1_PKS3_PKPS1_EviT_T9_T10_S9_lSB_S9_lSA_T11_S9_li: ; @_ZL29rocblas_internal_gemmt_kernelIiLi16ELi32ELi8ELc67ELc67ELc76ELb1ELb1E19rocblas_complex_numIfEPKS1_PKS3_PKPS1_EviT_T9_T10_S9_lSB_S9_lSA_T11_S9_li
; %bb.0:
	s_clause 0x1
	s_load_dwordx4 s[12:15], s[4:5], 0x38
	s_load_dwordx4 s[0:3], s[4:5], 0x8
	s_waitcnt lgkmcnt(0)
	s_load_dwordx2 s[10:11], s[14:15], 0x0
	s_load_dwordx2 s[20:21], s[4:5], 0x0
	;; [unrolled: 1-line block ×3, first 2 shown]
	s_waitcnt lgkmcnt(0)
	s_and_b32 s0, s11, 0x7fffffff
	v_cmp_eq_f32_e64 s1, s10, 1.0
	s_cmp_eq_u32 s0, 0
	s_mov_b32 s0, 0
	s_cselect_b32 s24, -1, 0
	s_and_b32 s1, s1, s24
	s_andn2_b32 vcc_lo, exec_lo, s1
	s_mov_b32 s1, -1
	s_cbranch_vccnz .LBB377_4
; %bb.1:
	s_cmp_lg_u32 s21, 0
	s_cbranch_scc0 .LBB377_3
; %bb.2:
	v_cmp_neq_f32_e64 s0, s14, 0
	v_cmp_neq_f32_e64 s1, s15, 0
	s_or_b32 s0, s0, s1
.LBB377_3:
	s_mov_b32 s1, s0
.LBB377_4:
	s_and_b32 vcc_lo, exec_lo, s1
	s_cbranch_vccz .LBB377_32
; %bb.5:
	s_load_dwordx2 s[16:17], s[4:5], 0x48
	s_mov_b32 s9, 0
	v_cmp_eq_f32_e64 s18, s14, 0
	s_lshl_b64 s[0:1], s[8:9], 3
	v_cmp_eq_f32_e64 s19, s15, 0
	v_mov_b32_e32 v19, 0
	v_mov_b32_e32 v20, 0
	;; [unrolled: 1-line block ×8, first 2 shown]
	s_waitcnt lgkmcnt(0)
	s_add_u32 s16, s16, s0
	s_addc_u32 s17, s17, s1
	s_lshl_b32 s8, s6, 5
	s_load_dwordx2 s[22:23], s[16:17], 0x0
	s_lshl_b32 s25, s7, 5
	s_and_b32 s6, s18, s19
	s_cmp_lt_i32 s21, 1
	s_cselect_b32 s7, -1, 0
	s_or_b32 s6, s6, s7
	s_and_b32 vcc_lo, exec_lo, s6
	s_cbranch_vccnz .LBB377_16
; %bb.6:
	s_clause 0x2
	s_load_dword s6, s[4:5], 0x30
	s_load_dword s26, s[4:5], 0x18
	s_load_dwordx4 s[16:19], s[4:5], 0x20
	v_lshl_add_u32 v2, v1, 4, v0
	v_and_b32_e32 v6, 7, v0
	v_lshl_add_u32 v11, v1, 6, 0x800
	v_mov_b32_e32 v16, 0
	v_mov_b32_e32 v18, 0
	v_and_b32_e32 v3, 31, v2
	v_lshrrev_b32_e32 v4, 3, v2
	v_lshlrev_b32_e32 v5, 3, v6
	v_lshrrev_b32_e32 v7, 5, v2
	v_mov_b32_e32 v17, 0
	v_or_b32_e32 v8, s8, v3
	v_lshlrev_b32_e32 v9, 3, v3
	v_add_nc_u32_e32 v3, s8, v3
	v_add_nc_u32_e32 v2, s25, v4
	v_lshl_or_b32 v10, v4, 6, v5
	v_lshlrev_b32_e32 v15, 3, v7
	v_cmp_gt_i32_e32 vcc_lo, s20, v8
	s_waitcnt lgkmcnt(0)
	s_ashr_i32 s7, s6, 31
	v_mad_i64_i32 v[4:5], null, s26, v3, 0
	s_add_u32 s18, s18, s0
	s_addc_u32 s19, s19, s1
	v_mad_i64_i32 v[12:13], null, s6, v6, 0
	s_add_u32 s0, s2, s0
	s_addc_u32 s1, s3, s1
	s_load_dwordx2 s[2:3], s[18:19], 0x0
	s_load_dwordx2 s[18:19], s[0:1], 0x0
	v_lshlrev_b64 v[4:5], 3, v[4:5]
	v_ashrrev_i32_e32 v3, 31, v2
	s_lshl_b64 s[16:17], s[16:17], 3
	v_lshlrev_b64 v[13:14], 3, v[12:13]
	s_lshl_b64 s[12:13], s[12:13], 3
	v_cmp_gt_i32_e64 s0, s20, v2
	v_add_co_u32 v4, s1, v4, s16
	v_lshlrev_b64 v[2:3], 3, v[2:3]
	v_add_co_ci_u32_e64 v5, null, s17, v5, s1
	v_add_co_u32 v13, s1, v13, s12
	v_add_co_ci_u32_e64 v14, null, s13, v14, s1
	v_add_co_u32 v4, s1, v4, v15
	;; [unrolled: 2-line block ×3, first 2 shown]
	v_add_co_ci_u32_e64 v14, null, v14, v3, s1
	s_waitcnt lgkmcnt(0)
	v_add_co_u32 v2, s1, s18, v4
	v_add_co_ci_u32_e64 v3, null, s19, v5, s1
	v_add_co_u32 v4, s1, s2, v13
	v_lshl_or_b32 v8, v7, 8, v9
	v_add_nc_u32_e32 v9, 0x800, v10
	v_lshlrev_b32_e32 v10, 3, v0
	v_mov_b32_e32 v12, 0
	v_add_co_ci_u32_e64 v5, null, s3, v14, s1
	v_mov_b32_e32 v14, 0
	v_mov_b32_e32 v13, 0
	;; [unrolled: 1-line block ×5, first 2 shown]
	s_lshl_b64 s[2:3], s[6:7], 6
	s_xor_b32 s1, vcc_lo, -1
	s_xor_b32 s0, s0, -1
	s_branch .LBB377_8
.LBB377_7:                              ;   in Loop: Header=BB377_8 Depth=1
	s_or_b32 exec_lo, exec_lo, s6
	ds_write_b32 v9, v21 offset:4
	s_waitcnt lgkmcnt(0)
	s_barrier
	buffer_gl0_inv
	ds_read_b128 v[21:24], v11
	ds_read2_b64 v[25:28], v10 offset1:16
	ds_read_b128 v[29:32], v11 offset:1024
	ds_read_b128 v[33:36], v11 offset:16
	;; [unrolled: 1-line block ×4, first 2 shown]
	ds_read2_b64 v[45:48], v10 offset0:32 offset1:48
	ds_read_b128 v[49:52], v11 offset:1040
	v_add_co_u32 v2, vcc_lo, v2, 64
	v_add_co_ci_u32_e64 v3, null, 0, v3, vcc_lo
	v_add_co_u32 v4, vcc_lo, v4, s2
	v_add_co_ci_u32_e64 v5, null, s3, v5, vcc_lo
	s_add_i32 s9, s9, 8
	s_cmp_lt_i32 s9, s21
	s_waitcnt lgkmcnt(6)
	v_mul_f32_e32 v53, v22, v26
	v_mul_f32_e32 v54, v21, v26
	;; [unrolled: 1-line block ×4, first 2 shown]
	s_waitcnt lgkmcnt(5)
	v_mul_f32_e32 v57, v30, v26
	v_mul_f32_e32 v26, v29, v26
	;; [unrolled: 1-line block ×3, first 2 shown]
	v_fma_f32 v53, v21, v25, -v53
	v_fmac_f32_e32 v54, v22, v25
	v_fma_f32 v21, v21, v27, -v55
	v_fmac_f32_e32 v56, v22, v27
	;; [unrolled: 2-line block ×3, first 2 shown]
	v_mul_f32_e32 v28, v29, v28
	v_fma_f32 v25, v29, v27, -v58
	v_add_f32_e32 v19, v19, v53
	v_add_f32_e32 v21, v17, v21
	;; [unrolled: 1-line block ×5, first 2 shown]
	s_waitcnt lgkmcnt(1)
	v_mul_f32_e32 v53, v24, v46
	ds_read2_b64 v[15:18], v10 offset0:64 offset1:80
	v_fmac_f32_e32 v28, v30, v27
	v_add_f32_e32 v13, v13, v25
	v_mul_f32_e32 v25, v23, v46
	v_fma_f32 v27, v23, v45, -v53
	v_mul_f32_e32 v30, v24, v48
	v_add_f32_e32 v20, v20, v54
	v_add_f32_e32 v14, v14, v28
	v_fmac_f32_e32 v25, v24, v45
	v_mul_f32_e32 v28, v23, v48
	v_add_f32_e32 v27, v19, v27
	v_fma_f32 v19, v23, v47, -v30
	v_mul_f32_e32 v23, v32, v46
	v_add_f32_e32 v25, v20, v25
	v_fmac_f32_e32 v28, v24, v47
	v_mul_f32_e32 v20, v31, v46
	v_add_f32_e32 v24, v21, v19
	v_fma_f32 v19, v31, v45, -v23
	v_mul_f32_e32 v21, v32, v48
	v_add_f32_e32 v23, v29, v28
	v_fmac_f32_e32 v20, v32, v45
	v_mul_f32_e32 v28, v31, v48
	v_add_f32_e32 v29, v22, v19
	v_fma_f32 v19, v31, v47, -v21
	s_waitcnt lgkmcnt(0)
	v_mul_f32_e32 v21, v34, v16
	v_add_f32_e32 v26, v26, v20
	v_fmac_f32_e32 v28, v32, v47
	v_mul_f32_e32 v30, v33, v16
	v_add_f32_e32 v13, v13, v19
	v_fma_f32 v31, v33, v15, -v21
	v_mul_f32_e32 v32, v34, v18
	ds_read2_b64 v[19:22], v10 offset0:96 offset1:112
	v_fmac_f32_e32 v30, v34, v15
	v_add_f32_e32 v28, v14, v28
	v_add_f32_e32 v27, v27, v31
	v_mul_f32_e32 v14, v33, v18
	v_fma_f32 v31, v33, v17, -v32
	v_add_f32_e32 v25, v25, v30
	v_mul_f32_e32 v30, v50, v16
	v_mul_f32_e32 v16, v49, v16
	v_fmac_f32_e32 v14, v34, v17
	v_add_f32_e32 v24, v24, v31
	v_mul_f32_e32 v31, v50, v18
	v_fma_f32 v30, v49, v15, -v30
	v_fmac_f32_e32 v16, v50, v15
	v_mul_f32_e32 v18, v49, v18
	v_add_f32_e32 v32, v23, v14
	v_fma_f32 v14, v49, v17, -v31
	v_add_f32_e32 v29, v29, v30
	v_add_f32_e32 v30, v26, v16
	v_fmac_f32_e32 v18, v50, v17
	s_waitcnt lgkmcnt(0)
	v_mul_f32_e32 v17, v36, v20
	v_add_f32_e32 v31, v13, v14
	ds_read2_b64 v[13:16], v10 offset0:128 offset1:144
	v_mul_f32_e32 v23, v35, v20
	v_mul_f32_e32 v26, v36, v22
	v_fma_f32 v17, v35, v19, -v17
	v_add_f32_e32 v28, v28, v18
	v_mul_f32_e32 v18, v35, v22
	v_fmac_f32_e32 v23, v36, v19
	v_fma_f32 v26, v35, v21, -v26
	v_add_f32_e32 v27, v27, v17
	v_mul_f32_e32 v17, v52, v20
	v_fmac_f32_e32 v18, v36, v21
	v_mul_f32_e32 v20, v51, v20
	v_mul_f32_e32 v35, v52, v22
	v_add_f32_e32 v33, v25, v23
	v_fma_f32 v17, v51, v19, -v17
	v_add_f32_e32 v34, v24, v26
	ds_read_b128 v[23:26], v11 offset:1056
	v_add_f32_e32 v32, v32, v18
	v_fmac_f32_e32 v20, v52, v19
	v_mul_f32_e32 v22, v51, v22
	v_fma_f32 v18, v51, v21, -v35
	v_add_f32_e32 v35, v29, v17
	s_waitcnt lgkmcnt(1)
	v_mul_f32_e32 v17, v38, v14
	v_add_f32_e32 v36, v30, v20
	v_fmac_f32_e32 v22, v52, v21
	v_add_f32_e32 v21, v31, v18
	v_mul_f32_e32 v31, v37, v14
	v_fma_f32 v29, v37, v13, -v17
	ds_read2_b64 v[17:20], v10 offset0:160 offset1:176
	v_mul_f32_e32 v30, v38, v16
	v_mul_f32_e32 v46, v37, v16
	v_fmac_f32_e32 v31, v38, v13
	v_add_f32_e32 v22, v28, v22
	v_add_f32_e32 v45, v27, v29
	v_fma_f32 v37, v37, v15, -v30
	ds_read_b128 v[27:30], v11 offset:1072
	s_waitcnt lgkmcnt(2)
	v_mul_f32_e32 v47, v24, v14
	v_add_f32_e32 v31, v33, v31
	v_mul_f32_e32 v14, v23, v14
	v_add_f32_e32 v33, v34, v37
	v_mul_f32_e32 v37, v24, v16
	v_fmac_f32_e32 v46, v38, v15
	v_fma_f32 v34, v23, v13, -v47
	v_fmac_f32_e32 v14, v24, v13
	v_mul_f32_e32 v38, v23, v16
	v_fma_f32 v13, v23, v15, -v37
	v_add_f32_e32 v32, v32, v46
	v_add_f32_e32 v34, v35, v34
	s_waitcnt lgkmcnt(1)
	v_mul_f32_e32 v16, v40, v18
	v_add_f32_e32 v23, v36, v14
	v_fmac_f32_e32 v38, v24, v15
	v_mul_f32_e32 v24, v39, v18
	v_add_f32_e32 v21, v21, v13
	v_fma_f32 v35, v39, v17, -v16
	ds_read2_b64 v[13:16], v10 offset0:192 offset1:208
	v_mul_f32_e32 v36, v40, v20
	v_fmac_f32_e32 v24, v40, v17
	v_add_f32_e32 v37, v22, v38
	v_mul_f32_e32 v22, v39, v20
	v_add_f32_e32 v35, v45, v35
	v_fma_f32 v36, v39, v19, -v36
	v_add_f32_e32 v31, v31, v24
	v_mul_f32_e32 v24, v26, v18
	v_mul_f32_e32 v18, v25, v18
	v_fmac_f32_e32 v22, v40, v19
	v_add_f32_e32 v33, v33, v36
	v_mul_f32_e32 v36, v26, v20
	v_fma_f32 v24, v25, v17, -v24
	v_fmac_f32_e32 v18, v26, v17
	v_add_f32_e32 v17, v32, v22
	v_mul_f32_e32 v20, v25, v20
	v_fma_f32 v22, v25, v19, -v36
	v_add_f32_e32 v25, v34, v24
	v_add_f32_e32 v18, v23, v18
	s_waitcnt lgkmcnt(0)
	v_mul_f32_e32 v32, v42, v14
	v_fmac_f32_e32 v20, v26, v19
	v_add_f32_e32 v19, v21, v22
	ds_read2_b64 v[21:24], v10 offset0:224 offset1:240
	v_mul_f32_e32 v26, v41, v14
	v_fma_f32 v32, v41, v13, -v32
	v_mul_f32_e32 v34, v42, v16
	v_mul_f32_e32 v36, v41, v16
	v_add_f32_e32 v20, v37, v20
	v_fmac_f32_e32 v26, v42, v13
	v_add_f32_e32 v32, v35, v32
	v_mul_f32_e32 v35, v28, v14
	v_fma_f32 v34, v41, v15, -v34
	v_fmac_f32_e32 v36, v42, v15
	v_add_f32_e32 v26, v31, v26
	v_mul_f32_e32 v14, v27, v14
	v_fma_f32 v31, v27, v13, -v35
	v_add_f32_e32 v33, v33, v34
	v_mul_f32_e32 v34, v28, v16
	v_add_f32_e32 v35, v17, v36
	v_fmac_f32_e32 v14, v28, v13
	v_add_f32_e32 v13, v25, v31
	v_mul_f32_e32 v16, v27, v16
	v_fma_f32 v17, v27, v15, -v34
	s_waitcnt lgkmcnt(0)
	v_mul_f32_e32 v25, v44, v22
	v_mul_f32_e32 v27, v43, v22
	v_add_f32_e32 v14, v18, v14
	v_fmac_f32_e32 v16, v28, v15
	v_add_f32_e32 v28, v19, v17
	v_fma_f32 v15, v43, v21, -v25
	v_fmac_f32_e32 v27, v44, v21
	v_mul_f32_e32 v17, v44, v24
	v_mul_f32_e32 v18, v43, v24
	v_add_f32_e32 v25, v20, v16
	v_add_f32_e32 v19, v32, v15
	;; [unrolled: 1-line block ×3, first 2 shown]
	v_fma_f32 v15, v43, v23, -v17
	v_mul_f32_e32 v16, v30, v22
	v_mul_f32_e32 v22, v29, v22
	;; [unrolled: 1-line block ×4, first 2 shown]
	v_fmac_f32_e32 v18, v44, v23
	v_add_f32_e32 v17, v33, v15
	v_fma_f32 v15, v29, v21, -v16
	v_fmac_f32_e32 v22, v30, v21
	v_fma_f32 v21, v29, v23, -v26
	v_fmac_f32_e32 v24, v30, v23
	v_add_f32_e32 v18, v35, v18
	v_add_f32_e32 v15, v13, v15
	;; [unrolled: 1-line block ×5, first 2 shown]
	s_barrier
	buffer_gl0_inv
	s_cbranch_scc0 .LBB377_16
.LBB377_8:                              ; =>This Inner Loop Header: Depth=1
	v_add_nc_u32_e32 v21, s9, v7
	v_cmp_le_i32_e32 vcc_lo, s21, v21
	s_or_b32 s6, s1, vcc_lo
	s_and_saveexec_b32 s7, s6
	s_xor_b32 s6, exec_lo, s7
; %bb.9:                                ;   in Loop: Header=BB377_8 Depth=1
	ds_write_b32 v8, v12
; %bb.10:                               ;   in Loop: Header=BB377_8 Depth=1
	s_or_saveexec_b32 s6, s6
	v_mov_b32_e32 v21, 0
	s_xor_b32 exec_lo, exec_lo, s6
	s_cbranch_execz .LBB377_12
; %bb.11:                               ;   in Loop: Header=BB377_8 Depth=1
	flat_load_dwordx2 v[22:23], v[2:3]
	s_waitcnt vmcnt(0) lgkmcnt(0)
	v_xor_b32_e32 v21, 0x80000000, v23
	ds_write_b32 v8, v22
.LBB377_12:                             ;   in Loop: Header=BB377_8 Depth=1
	s_or_b32 exec_lo, exec_lo, s6
	v_add_nc_u32_e32 v22, s9, v6
	ds_write_b32 v8, v21 offset:4
	v_cmp_le_i32_e32 vcc_lo, s21, v22
	s_or_b32 s6, vcc_lo, s0
	s_and_saveexec_b32 s7, s6
	s_xor_b32 s6, exec_lo, s7
; %bb.13:                               ;   in Loop: Header=BB377_8 Depth=1
	ds_write_b32 v9, v12
; %bb.14:                               ;   in Loop: Header=BB377_8 Depth=1
	s_or_saveexec_b32 s6, s6
	v_mov_b32_e32 v21, 0
	s_xor_b32 exec_lo, exec_lo, s6
	s_cbranch_execz .LBB377_7
; %bb.15:                               ;   in Loop: Header=BB377_8 Depth=1
	flat_load_dwordx2 v[22:23], v[4:5]
	s_waitcnt vmcnt(0) lgkmcnt(0)
	v_xor_b32_e32 v21, 0x80000000, v23
	ds_write_b32 v9, v22
	s_branch .LBB377_7
.LBB377_16:
	s_clause 0x1
	s_load_dword s3, s[4:5], 0x50
	s_load_dwordx2 s[4:5], s[4:5], 0x58
	v_add_nc_u32_e32 v9, s25, v1
	v_add_nc_u32_e32 v0, s8, v0
	v_cmp_neq_f32_e64 s2, s10, 0
	v_cmp_le_i32_e32 vcc_lo, v9, v0
	v_cmp_gt_i32_e64 s0, s20, v0
	s_waitcnt lgkmcnt(0)
	v_mad_i64_i32 v[1:2], null, v9, s3, 0
	s_lshl_b64 s[4:5], s[4:5], 3
	s_add_u32 s4, s22, s4
	s_addc_u32 s5, s23, s5
	s_xor_b32 s6, s24, -1
	s_or_b32 s2, s2, s6
	v_lshlrev_b64 v[2:3], 3, v[1:2]
	v_ashrrev_i32_e32 v1, 31, v0
	v_cndmask_b32_e64 v8, 0, 1, s2
	s_and_b32 s6, vcc_lo, s0
	v_add_co_u32 v6, s1, s4, v2
	v_add_co_ci_u32_e64 v7, null, s5, v3, s1
	s_and_saveexec_b32 s1, s6
	s_cbranch_execz .LBB377_20
; %bb.17:
	v_lshlrev_b64 v[4:5], 3, v[0:1]
	v_mul_f32_e32 v2, s15, v20
	v_mul_f32_e32 v3, s14, v20
	v_fma_f32 v2, v19, s14, -v2
	v_add_co_u32 v4, vcc_lo, v6, v4
	v_fmac_f32_e32 v3, s15, v19
	v_add_co_ci_u32_e64 v5, null, v7, v5, vcc_lo
	s_andn2_b32 vcc_lo, exec_lo, s2
	s_cbranch_vccnz .LBB377_19
; %bb.18:
	flat_load_dwordx2 v[10:11], v[4:5]
	s_waitcnt vmcnt(0) lgkmcnt(0)
	v_mul_f32_e32 v12, s11, v11
	v_mul_f32_e32 v11, s10, v11
	v_fma_f32 v12, v10, s10, -v12
	v_fmac_f32_e32 v11, s11, v10
	v_add_f32_e32 v2, v2, v12
	v_add_f32_e32 v3, v3, v11
.LBB377_19:
	flat_store_dwordx2 v[4:5], v[2:3]
.LBB377_20:
	s_or_b32 exec_lo, exec_lo, s1
	v_add_nc_u32_e32 v2, 16, v0
	v_cmp_le_i32_e32 vcc_lo, v9, v2
	v_cmp_gt_i32_e64 s1, s20, v2
	v_ashrrev_i32_e32 v3, 31, v2
	s_and_b32 s2, vcc_lo, s1
	s_and_saveexec_b32 s6, s2
	s_cbranch_execz .LBB377_24
; %bb.21:
	v_lshlrev_b64 v[10:11], 3, v[2:3]
	v_mul_f32_e32 v4, s15, v18
	v_mul_f32_e32 v5, s14, v18
	v_cmp_ne_u32_e32 vcc_lo, 1, v8
	v_fma_f32 v4, v17, s14, -v4
	v_add_co_u32 v6, s2, v6, v10
	v_fmac_f32_e32 v5, s15, v17
	v_add_co_ci_u32_e64 v7, null, v7, v11, s2
	s_cbranch_vccnz .LBB377_23
; %bb.22:
	flat_load_dwordx2 v[10:11], v[6:7]
	s_waitcnt vmcnt(0) lgkmcnt(0)
	v_mul_f32_e32 v12, s11, v11
	v_mul_f32_e32 v11, s10, v11
	v_fma_f32 v12, v10, s10, -v12
	v_fmac_f32_e32 v11, s11, v10
	v_add_f32_e32 v4, v4, v12
	v_add_f32_e32 v5, v5, v11
.LBB377_23:
	flat_store_dwordx2 v[6:7], v[4:5]
.LBB377_24:
	s_or_b32 exec_lo, exec_lo, s6
	v_add_nc_u32_e32 v9, 16, v9
	v_mad_i64_i32 v[4:5], null, v9, s3, 0
	v_cmp_le_i32_e32 vcc_lo, v9, v0
	s_and_b32 s0, vcc_lo, s0
	v_lshlrev_b64 v[4:5], 3, v[4:5]
	v_add_co_u32 v6, s2, s4, v4
	v_add_co_ci_u32_e64 v7, null, s5, v5, s2
	s_and_saveexec_b32 s2, s0
	s_cbranch_execz .LBB377_28
; %bb.25:
	v_lshlrev_b64 v[0:1], 3, v[0:1]
	v_mul_f32_e32 v4, s15, v16
	v_mul_f32_e32 v5, s14, v16
	v_cmp_ne_u32_e32 vcc_lo, 1, v8
	v_fma_f32 v4, v15, s14, -v4
	v_add_co_u32 v0, s0, v6, v0
	v_fmac_f32_e32 v5, s15, v15
	v_add_co_ci_u32_e64 v1, null, v7, v1, s0
	s_cbranch_vccnz .LBB377_27
; %bb.26:
	flat_load_dwordx2 v[10:11], v[0:1]
	s_waitcnt vmcnt(0) lgkmcnt(0)
	v_mul_f32_e32 v12, s11, v11
	v_mul_f32_e32 v11, s10, v11
	v_fma_f32 v12, v10, s10, -v12
	v_fmac_f32_e32 v11, s11, v10
	v_add_f32_e32 v4, v4, v12
	v_add_f32_e32 v5, v5, v11
.LBB377_27:
	flat_store_dwordx2 v[0:1], v[4:5]
.LBB377_28:
	s_or_b32 exec_lo, exec_lo, s2
	v_cmp_le_i32_e32 vcc_lo, v9, v2
	s_and_b32 s0, vcc_lo, s1
	s_and_saveexec_b32 s1, s0
	s_cbranch_execz .LBB377_32
; %bb.29:
	v_lshlrev_b64 v[2:3], 3, v[2:3]
	v_mul_f32_e32 v0, s15, v14
	v_mul_f32_e32 v1, s14, v14
	v_cmp_ne_u32_e32 vcc_lo, 1, v8
	v_fma_f32 v0, v13, s14, -v0
	v_add_co_u32 v2, s0, v6, v2
	v_fmac_f32_e32 v1, s15, v13
	v_add_co_ci_u32_e64 v3, null, v7, v3, s0
	s_cbranch_vccnz .LBB377_31
; %bb.30:
	flat_load_dwordx2 v[4:5], v[2:3]
	s_waitcnt vmcnt(0) lgkmcnt(0)
	v_mul_f32_e32 v6, s11, v5
	v_mul_f32_e32 v5, s10, v5
	v_fma_f32 v6, v4, s10, -v6
	v_fmac_f32_e32 v5, s11, v4
	v_add_f32_e32 v0, v0, v6
	v_add_f32_e32 v1, v1, v5
.LBB377_31:
	flat_store_dwordx2 v[2:3], v[0:1]
.LBB377_32:
	s_endpgm
	.section	.rodata,"a",@progbits
	.p2align	6, 0x0
	.amdhsa_kernel _ZL29rocblas_internal_gemmt_kernelIiLi16ELi32ELi8ELc67ELc67ELc76ELb1ELb1E19rocblas_complex_numIfEPKS1_PKS3_PKPS1_EviT_T9_T10_S9_lSB_S9_lSA_T11_S9_li
		.amdhsa_group_segment_fixed_size 4096
		.amdhsa_private_segment_fixed_size 0
		.amdhsa_kernarg_size 100
		.amdhsa_user_sgpr_count 6
		.amdhsa_user_sgpr_private_segment_buffer 1
		.amdhsa_user_sgpr_dispatch_ptr 0
		.amdhsa_user_sgpr_queue_ptr 0
		.amdhsa_user_sgpr_kernarg_segment_ptr 1
		.amdhsa_user_sgpr_dispatch_id 0
		.amdhsa_user_sgpr_flat_scratch_init 0
		.amdhsa_user_sgpr_private_segment_size 0
		.amdhsa_wavefront_size32 1
		.amdhsa_uses_dynamic_stack 0
		.amdhsa_system_sgpr_private_segment_wavefront_offset 0
		.amdhsa_system_sgpr_workgroup_id_x 1
		.amdhsa_system_sgpr_workgroup_id_y 1
		.amdhsa_system_sgpr_workgroup_id_z 1
		.amdhsa_system_sgpr_workgroup_info 0
		.amdhsa_system_vgpr_workitem_id 1
		.amdhsa_next_free_vgpr 59
		.amdhsa_next_free_sgpr 27
		.amdhsa_reserve_vcc 1
		.amdhsa_reserve_flat_scratch 0
		.amdhsa_float_round_mode_32 0
		.amdhsa_float_round_mode_16_64 0
		.amdhsa_float_denorm_mode_32 3
		.amdhsa_float_denorm_mode_16_64 3
		.amdhsa_dx10_clamp 1
		.amdhsa_ieee_mode 1
		.amdhsa_fp16_overflow 0
		.amdhsa_workgroup_processor_mode 1
		.amdhsa_memory_ordered 1
		.amdhsa_forward_progress 1
		.amdhsa_shared_vgpr_count 0
		.amdhsa_exception_fp_ieee_invalid_op 0
		.amdhsa_exception_fp_denorm_src 0
		.amdhsa_exception_fp_ieee_div_zero 0
		.amdhsa_exception_fp_ieee_overflow 0
		.amdhsa_exception_fp_ieee_underflow 0
		.amdhsa_exception_fp_ieee_inexact 0
		.amdhsa_exception_int_div_zero 0
	.end_amdhsa_kernel
	.section	.text._ZL29rocblas_internal_gemmt_kernelIiLi16ELi32ELi8ELc67ELc67ELc76ELb1ELb1E19rocblas_complex_numIfEPKS1_PKS3_PKPS1_EviT_T9_T10_S9_lSB_S9_lSA_T11_S9_li,"axG",@progbits,_ZL29rocblas_internal_gemmt_kernelIiLi16ELi32ELi8ELc67ELc67ELc76ELb1ELb1E19rocblas_complex_numIfEPKS1_PKS3_PKPS1_EviT_T9_T10_S9_lSB_S9_lSA_T11_S9_li,comdat
.Lfunc_end377:
	.size	_ZL29rocblas_internal_gemmt_kernelIiLi16ELi32ELi8ELc67ELc67ELc76ELb1ELb1E19rocblas_complex_numIfEPKS1_PKS3_PKPS1_EviT_T9_T10_S9_lSB_S9_lSA_T11_S9_li, .Lfunc_end377-_ZL29rocblas_internal_gemmt_kernelIiLi16ELi32ELi8ELc67ELc67ELc76ELb1ELb1E19rocblas_complex_numIfEPKS1_PKS3_PKPS1_EviT_T9_T10_S9_lSB_S9_lSA_T11_S9_li
                                        ; -- End function
	.set _ZL29rocblas_internal_gemmt_kernelIiLi16ELi32ELi8ELc67ELc67ELc76ELb1ELb1E19rocblas_complex_numIfEPKS1_PKS3_PKPS1_EviT_T9_T10_S9_lSB_S9_lSA_T11_S9_li.num_vgpr, 59
	.set _ZL29rocblas_internal_gemmt_kernelIiLi16ELi32ELi8ELc67ELc67ELc76ELb1ELb1E19rocblas_complex_numIfEPKS1_PKS3_PKPS1_EviT_T9_T10_S9_lSB_S9_lSA_T11_S9_li.num_agpr, 0
	.set _ZL29rocblas_internal_gemmt_kernelIiLi16ELi32ELi8ELc67ELc67ELc76ELb1ELb1E19rocblas_complex_numIfEPKS1_PKS3_PKPS1_EviT_T9_T10_S9_lSB_S9_lSA_T11_S9_li.numbered_sgpr, 27
	.set _ZL29rocblas_internal_gemmt_kernelIiLi16ELi32ELi8ELc67ELc67ELc76ELb1ELb1E19rocblas_complex_numIfEPKS1_PKS3_PKPS1_EviT_T9_T10_S9_lSB_S9_lSA_T11_S9_li.num_named_barrier, 0
	.set _ZL29rocblas_internal_gemmt_kernelIiLi16ELi32ELi8ELc67ELc67ELc76ELb1ELb1E19rocblas_complex_numIfEPKS1_PKS3_PKPS1_EviT_T9_T10_S9_lSB_S9_lSA_T11_S9_li.private_seg_size, 0
	.set _ZL29rocblas_internal_gemmt_kernelIiLi16ELi32ELi8ELc67ELc67ELc76ELb1ELb1E19rocblas_complex_numIfEPKS1_PKS3_PKPS1_EviT_T9_T10_S9_lSB_S9_lSA_T11_S9_li.uses_vcc, 1
	.set _ZL29rocblas_internal_gemmt_kernelIiLi16ELi32ELi8ELc67ELc67ELc76ELb1ELb1E19rocblas_complex_numIfEPKS1_PKS3_PKPS1_EviT_T9_T10_S9_lSB_S9_lSA_T11_S9_li.uses_flat_scratch, 0
	.set _ZL29rocblas_internal_gemmt_kernelIiLi16ELi32ELi8ELc67ELc67ELc76ELb1ELb1E19rocblas_complex_numIfEPKS1_PKS3_PKPS1_EviT_T9_T10_S9_lSB_S9_lSA_T11_S9_li.has_dyn_sized_stack, 0
	.set _ZL29rocblas_internal_gemmt_kernelIiLi16ELi32ELi8ELc67ELc67ELc76ELb1ELb1E19rocblas_complex_numIfEPKS1_PKS3_PKPS1_EviT_T9_T10_S9_lSB_S9_lSA_T11_S9_li.has_recursion, 0
	.set _ZL29rocblas_internal_gemmt_kernelIiLi16ELi32ELi8ELc67ELc67ELc76ELb1ELb1E19rocblas_complex_numIfEPKS1_PKS3_PKPS1_EviT_T9_T10_S9_lSB_S9_lSA_T11_S9_li.has_indirect_call, 0
	.section	.AMDGPU.csdata,"",@progbits
; Kernel info:
; codeLenInByte = 2576
; TotalNumSgprs: 29
; NumVgprs: 59
; ScratchSize: 0
; MemoryBound: 0
; FloatMode: 240
; IeeeMode: 1
; LDSByteSize: 4096 bytes/workgroup (compile time only)
; SGPRBlocks: 0
; VGPRBlocks: 7
; NumSGPRsForWavesPerEU: 29
; NumVGPRsForWavesPerEU: 59
; Occupancy: 16
; WaveLimiterHint : 1
; COMPUTE_PGM_RSRC2:SCRATCH_EN: 0
; COMPUTE_PGM_RSRC2:USER_SGPR: 6
; COMPUTE_PGM_RSRC2:TRAP_HANDLER: 0
; COMPUTE_PGM_RSRC2:TGID_X_EN: 1
; COMPUTE_PGM_RSRC2:TGID_Y_EN: 1
; COMPUTE_PGM_RSRC2:TGID_Z_EN: 1
; COMPUTE_PGM_RSRC2:TIDIG_COMP_CNT: 1
	.section	.text._ZL29rocblas_internal_gemmt_kernelIiLi16ELi32ELi8ELc78ELc78ELc85ELb0ELb0E19rocblas_complex_numIfES1_PKPKS1_PKPS1_EviT_T9_T10_S9_lSB_S9_lSA_T11_S9_li,"axG",@progbits,_ZL29rocblas_internal_gemmt_kernelIiLi16ELi32ELi8ELc78ELc78ELc85ELb0ELb0E19rocblas_complex_numIfES1_PKPKS1_PKPS1_EviT_T9_T10_S9_lSB_S9_lSA_T11_S9_li,comdat
	.globl	_ZL29rocblas_internal_gemmt_kernelIiLi16ELi32ELi8ELc78ELc78ELc85ELb0ELb0E19rocblas_complex_numIfES1_PKPKS1_PKPS1_EviT_T9_T10_S9_lSB_S9_lSA_T11_S9_li ; -- Begin function _ZL29rocblas_internal_gemmt_kernelIiLi16ELi32ELi8ELc78ELc78ELc85ELb0ELb0E19rocblas_complex_numIfES1_PKPKS1_PKPS1_EviT_T9_T10_S9_lSB_S9_lSA_T11_S9_li
	.p2align	8
	.type	_ZL29rocblas_internal_gemmt_kernelIiLi16ELi32ELi8ELc78ELc78ELc85ELb0ELb0E19rocblas_complex_numIfES1_PKPKS1_PKPS1_EviT_T9_T10_S9_lSB_S9_lSA_T11_S9_li,@function
_ZL29rocblas_internal_gemmt_kernelIiLi16ELi32ELi8ELc78ELc78ELc85ELb0ELb0E19rocblas_complex_numIfES1_PKPKS1_PKPS1_EviT_T9_T10_S9_lSB_S9_lSA_T11_S9_li: ; @_ZL29rocblas_internal_gemmt_kernelIiLi16ELi32ELi8ELc78ELc78ELc85ELb0ELb0E19rocblas_complex_numIfES1_PKPKS1_PKPS1_EviT_T9_T10_S9_lSB_S9_lSA_T11_S9_li
; %bb.0:
	s_clause 0x1
	s_load_dwordx2 s[2:3], s[4:5], 0x40
	s_load_dwordx4 s[12:15], s[4:5], 0x0
	s_waitcnt lgkmcnt(0)
	s_and_b32 s0, s3, 0x7fffffff
	v_cmp_eq_f32_e64 s1, s2, 1.0
	s_cmp_eq_u32 s0, 0
	s_mov_b32 s0, 0
	s_cselect_b32 s20, -1, 0
	s_and_b32 s1, s1, s20
	s_andn2_b32 vcc_lo, exec_lo, s1
	s_mov_b32 s1, -1
	s_cbranch_vccnz .LBB378_4
; %bb.1:
	s_cmp_lg_u32 s13, 0
	s_cbranch_scc0 .LBB378_3
; %bb.2:
	v_cmp_neq_f32_e64 s0, s14, 0
	v_cmp_neq_f32_e64 s1, s15, 0
	s_or_b32 s0, s0, s1
.LBB378_3:
	s_mov_b32 s1, s0
.LBB378_4:
	s_and_b32 vcc_lo, exec_lo, s1
	s_cbranch_vccz .LBB378_32
; %bb.5:
	s_load_dwordx2 s[10:11], s[4:5], 0x48
	s_mov_b32 s9, 0
	v_cmp_eq_f32_e64 s16, s14, 0
	s_lshl_b64 s[0:1], s[8:9], 3
	v_cmp_eq_f32_e64 s17, s15, 0
	v_mov_b32_e32 v20, 0
	v_mov_b32_e32 v21, 0
	;; [unrolled: 1-line block ×8, first 2 shown]
	s_waitcnt lgkmcnt(0)
	s_add_u32 s10, s10, s0
	s_addc_u32 s11, s11, s1
	s_lshl_b32 s8, s6, 5
	s_load_dwordx2 s[10:11], s[10:11], 0x0
	s_lshl_b32 s21, s7, 5
	s_and_b32 s6, s16, s17
	s_cmp_lt_i32 s13, 1
	s_cselect_b32 s7, -1, 0
	s_or_b32 s6, s6, s7
	s_and_b32 vcc_lo, exec_lo, s6
	s_cbranch_vccnz .LBB378_16
; %bb.6:
	s_clause 0x4
	s_load_dword s6, s[4:5], 0x18
	s_load_dword s26, s[4:5], 0x30
	s_load_dwordx2 s[24:25], s[4:5], 0x38
	s_load_dwordx4 s[16:19], s[4:5], 0x20
	s_load_dwordx2 s[22:23], s[4:5], 0x10
	v_lshl_add_u32 v2, v1, 4, v0
	v_and_b32_e32 v8, 7, v0
	v_lshlrev_b32_e32 v12, 3, v0
	v_lshl_add_u32 v13, v1, 6, 0x800
	v_mov_b32_e32 v17, 0
	v_and_b32_e32 v3, 31, v2
	v_lshrrev_b32_e32 v4, 3, v2
	v_lshlrev_b32_e32 v14, 3, v8
	v_lshrrev_b32_e32 v9, 5, v2
	v_mov_b32_e32 v19, 0
	v_or_b32_e32 v5, s8, v3
	v_lshlrev_b32_e32 v6, 3, v3
	v_add_nc_u32_e32 v7, s21, v4
	v_lshl_or_b32 v11, v4, 6, v14
	v_add_nc_u32_e32 v2, s8, v3
	v_cmp_gt_i32_e32 vcc_lo, s12, v5
	s_waitcnt lgkmcnt(0)
	s_ashr_i32 s7, s6, 31
	v_mad_i64_i32 v[3:4], null, v9, s6, 0
	s_add_u32 s18, s18, s0
	s_addc_u32 s19, s19, s1
	s_add_u32 s0, s22, s0
	s_addc_u32 s1, s23, s1
	s_load_dwordx2 s[18:19], s[18:19], 0x0
	s_load_dwordx2 s[22:23], s[0:1], 0x0
	v_lshl_or_b32 v10, v9, 8, v6
	v_cmp_gt_i32_e64 s0, s12, v7
	v_lshlrev_b64 v[4:5], 3, v[3:4]
	v_mad_i64_i32 v[6:7], null, s26, v7, 0
	v_ashrrev_i32_e32 v3, 31, v2
	s_lshl_b64 s[16:17], s[16:17], 3
	v_add_nc_u32_e32 v11, 0x800, v11
	v_add_co_u32 v15, s1, v4, s16
	v_lshlrev_b64 v[2:3], 3, v[2:3]
	v_add_co_ci_u32_e64 v16, null, s17, v5, s1
	v_lshlrev_b64 v[4:5], 3, v[6:7]
	s_lshl_b64 s[16:17], s[24:25], 3
	v_mov_b32_e32 v18, 0
	v_add_co_u32 v2, s1, v15, v2
	v_add_co_ci_u32_e64 v3, null, v16, v3, s1
	v_add_co_u32 v4, s1, v4, s16
	v_add_co_ci_u32_e64 v5, null, s17, v5, s1
	s_waitcnt lgkmcnt(0)
	v_add_co_u32 v2, s1, s22, v2
	v_add_co_ci_u32_e64 v3, null, s23, v3, s1
	v_add_co_u32 v6, s1, v4, v14
	v_add_co_ci_u32_e64 v5, null, 0, v5, s1
	v_mov_b32_e32 v4, 0
	v_add_co_u32 v6, s1, s18, v6
	v_add_co_ci_u32_e64 v7, null, s19, v5, s1
	v_mov_b32_e32 v15, 0
	v_mov_b32_e32 v14, 0
	;; [unrolled: 1-line block ×5, first 2 shown]
	s_lshl_b64 s[6:7], s[6:7], 6
	s_xor_b32 s1, vcc_lo, -1
	s_xor_b32 s0, s0, -1
	s_branch .LBB378_8
.LBB378_7:                              ;   in Loop: Header=BB378_8 Depth=1
	s_or_b32 exec_lo, exec_lo, s16
	s_waitcnt lgkmcnt(0)
	s_barrier
	buffer_gl0_inv
	ds_read_b128 v[22:25], v13
	ds_read2_b64 v[26:29], v12 offset1:16
	ds_read_b128 v[30:33], v13 offset:1024
	ds_read_b128 v[34:37], v13 offset:16
	;; [unrolled: 1-line block ×4, first 2 shown]
	ds_read2_b64 v[46:49], v12 offset0:32 offset1:48
	ds_read_b128 v[50:53], v13 offset:1040
	v_add_co_u32 v2, vcc_lo, v2, s6
	v_add_co_ci_u32_e64 v3, null, s7, v3, vcc_lo
	v_add_co_u32 v6, vcc_lo, v6, 64
	v_add_co_ci_u32_e64 v7, null, 0, v7, vcc_lo
	s_add_i32 s9, s9, 8
	s_cmp_lt_i32 s9, s13
	s_waitcnt lgkmcnt(6)
	v_mul_f32_e32 v5, v23, v27
	v_mul_f32_e32 v54, v22, v27
	;; [unrolled: 1-line block ×4, first 2 shown]
	s_waitcnt lgkmcnt(5)
	v_mul_f32_e32 v57, v31, v27
	v_mul_f32_e32 v27, v30, v27
	v_mul_f32_e32 v58, v31, v29
	v_fma_f32 v5, v22, v26, -v5
	v_fmac_f32_e32 v54, v23, v26
	v_fma_f32 v22, v22, v28, -v55
	v_fmac_f32_e32 v56, v23, v28
	;; [unrolled: 2-line block ×3, first 2 shown]
	v_mul_f32_e32 v29, v30, v29
	v_fma_f32 v26, v30, v28, -v58
	v_add_f32_e32 v5, v20, v5
	v_add_f32_e32 v20, v21, v54
	;; [unrolled: 1-line block ×6, first 2 shown]
	s_waitcnt lgkmcnt(1)
	v_mul_f32_e32 v30, v25, v47
	ds_read2_b64 v[16:19], v12 offset0:64 offset1:80
	v_fmac_f32_e32 v29, v31, v28
	v_add_f32_e32 v14, v14, v26
	v_mul_f32_e32 v26, v24, v47
	v_fma_f32 v28, v24, v46, -v30
	v_mul_f32_e32 v30, v25, v49
	v_add_f32_e32 v15, v15, v29
	v_mul_f32_e32 v29, v24, v49
	v_fmac_f32_e32 v26, v25, v46
	v_add_f32_e32 v5, v5, v28
	v_fma_f32 v24, v24, v48, -v30
	v_mul_f32_e32 v28, v33, v47
	v_fmac_f32_e32 v29, v25, v48
	v_add_f32_e32 v26, v20, v26
	v_mul_f32_e32 v20, v32, v47
	v_add_f32_e32 v24, v21, v24
	v_fma_f32 v21, v32, v46, -v28
	v_mul_f32_e32 v25, v33, v49
	v_add_f32_e32 v28, v22, v29
	v_fmac_f32_e32 v20, v33, v46
	v_mul_f32_e32 v29, v32, v49
	v_add_f32_e32 v30, v23, v21
	v_fma_f32 v21, v32, v48, -v25
	s_waitcnt lgkmcnt(0)
	v_mul_f32_e32 v22, v35, v17
	v_add_f32_e32 v25, v27, v20
	v_fmac_f32_e32 v29, v33, v48
	v_mul_f32_e32 v27, v34, v17
	v_add_f32_e32 v14, v14, v21
	v_fma_f32 v31, v34, v16, -v22
	v_mul_f32_e32 v32, v35, v19
	ds_read2_b64 v[20:23], v12 offset0:96 offset1:112
	v_fmac_f32_e32 v27, v35, v16
	v_add_f32_e32 v29, v15, v29
	v_add_f32_e32 v5, v5, v31
	v_mul_f32_e32 v15, v34, v19
	v_fma_f32 v31, v34, v18, -v32
	v_add_f32_e32 v26, v26, v27
	v_mul_f32_e32 v27, v51, v17
	v_mul_f32_e32 v17, v50, v17
	v_fmac_f32_e32 v15, v35, v18
	v_add_f32_e32 v24, v24, v31
	v_mul_f32_e32 v31, v51, v19
	v_mul_f32_e32 v19, v50, v19
	v_fmac_f32_e32 v17, v51, v16
	v_add_f32_e32 v28, v28, v15
	v_fma_f32 v27, v50, v16, -v27
	v_fma_f32 v15, v50, v18, -v31
	v_fmac_f32_e32 v19, v51, v18
	v_add_f32_e32 v31, v25, v17
	s_waitcnt lgkmcnt(0)
	v_mul_f32_e32 v18, v37, v21
	v_add_f32_e32 v32, v14, v15
	ds_read2_b64 v[14:17], v12 offset0:128 offset1:144
	v_add_f32_e32 v30, v30, v27
	v_mul_f32_e32 v25, v36, v21
	v_fma_f32 v18, v36, v20, -v18
	v_mul_f32_e32 v27, v37, v23
	v_add_f32_e32 v29, v29, v19
	v_mul_f32_e32 v19, v36, v23
	v_fmac_f32_e32 v25, v37, v20
	v_add_f32_e32 v5, v5, v18
	v_mul_f32_e32 v18, v53, v21
	v_fma_f32 v27, v36, v22, -v27
	v_fmac_f32_e32 v19, v37, v22
	v_mul_f32_e32 v21, v52, v21
	v_mul_f32_e32 v35, v53, v23
	v_fma_f32 v18, v52, v20, -v18
	v_add_f32_e32 v33, v26, v25
	v_add_f32_e32 v34, v24, v27
	ds_read_b128 v[24:27], v13 offset:1056
	v_add_f32_e32 v36, v28, v19
	v_fmac_f32_e32 v21, v53, v20
	v_mul_f32_e32 v23, v52, v23
	v_fma_f32 v19, v52, v22, -v35
	v_add_f32_e32 v35, v30, v18
	s_waitcnt lgkmcnt(1)
	v_mul_f32_e32 v18, v39, v15
	v_add_f32_e32 v37, v31, v21
	v_fmac_f32_e32 v23, v53, v22
	v_add_f32_e32 v22, v32, v19
	v_mul_f32_e32 v32, v38, v15
	v_fma_f32 v28, v38, v14, -v18
	ds_read2_b64 v[18:21], v12 offset0:160 offset1:176
	v_mul_f32_e32 v30, v39, v17
	v_mul_f32_e32 v46, v38, v17
	v_fmac_f32_e32 v32, v39, v14
	v_add_f32_e32 v23, v29, v23
	v_add_f32_e32 v5, v5, v28
	v_fma_f32 v38, v38, v16, -v30
	ds_read_b128 v[28:31], v13 offset:1072
	s_waitcnt lgkmcnt(2)
	v_mul_f32_e32 v47, v25, v15
	v_add_f32_e32 v32, v33, v32
	v_mul_f32_e32 v15, v24, v15
	v_add_f32_e32 v33, v34, v38
	v_mul_f32_e32 v38, v25, v17
	v_fmac_f32_e32 v46, v39, v16
	v_fma_f32 v34, v24, v14, -v47
	v_fmac_f32_e32 v15, v25, v14
	v_mul_f32_e32 v39, v24, v17
	v_fma_f32 v14, v24, v16, -v38
	v_add_f32_e32 v36, v36, v46
	v_add_f32_e32 v34, v35, v34
	s_waitcnt lgkmcnt(1)
	v_mul_f32_e32 v17, v41, v19
	v_add_f32_e32 v24, v37, v15
	v_fmac_f32_e32 v39, v25, v16
	v_mul_f32_e32 v25, v40, v19
	v_add_f32_e32 v22, v22, v14
	v_fma_f32 v35, v40, v18, -v17
	ds_read2_b64 v[14:17], v12 offset0:192 offset1:208
	v_mul_f32_e32 v37, v41, v21
	v_fmac_f32_e32 v25, v41, v18
	v_add_f32_e32 v38, v23, v39
	v_add_f32_e32 v5, v5, v35
	v_mul_f32_e32 v23, v40, v21
	v_fma_f32 v35, v40, v20, -v37
	v_add_f32_e32 v32, v32, v25
	v_mul_f32_e32 v25, v27, v19
	v_mul_f32_e32 v19, v26, v19
	v_fmac_f32_e32 v23, v41, v20
	v_add_f32_e32 v33, v33, v35
	v_mul_f32_e32 v35, v27, v21
	v_fma_f32 v25, v26, v18, -v25
	v_fmac_f32_e32 v19, v27, v18
	v_add_f32_e32 v18, v36, v23
	v_mul_f32_e32 v21, v26, v21
	v_fma_f32 v23, v26, v20, -v35
	v_add_f32_e32 v26, v34, v25
	v_add_f32_e32 v19, v24, v19
	s_waitcnt lgkmcnt(0)
	v_mul_f32_e32 v34, v43, v15
	v_fmac_f32_e32 v21, v27, v20
	v_add_f32_e32 v20, v22, v23
	ds_read2_b64 v[22:25], v12 offset0:224 offset1:240
	v_mul_f32_e32 v27, v42, v15
	v_fma_f32 v34, v42, v14, -v34
	v_mul_f32_e32 v35, v43, v17
	v_mul_f32_e32 v36, v42, v17
	v_add_f32_e32 v21, v38, v21
	v_fmac_f32_e32 v27, v43, v14
	v_add_f32_e32 v5, v5, v34
	v_mul_f32_e32 v34, v29, v15
	v_fma_f32 v35, v42, v16, -v35
	v_fmac_f32_e32 v36, v43, v16
	v_add_f32_e32 v27, v32, v27
	v_mul_f32_e32 v15, v28, v15
	v_fma_f32 v32, v28, v14, -v34
	v_mul_f32_e32 v34, v29, v17
	v_add_f32_e32 v33, v33, v35
	v_add_f32_e32 v35, v18, v36
	v_fmac_f32_e32 v15, v29, v14
	v_add_f32_e32 v14, v26, v32
	v_mul_f32_e32 v17, v28, v17
	v_fma_f32 v18, v28, v16, -v34
	s_waitcnt lgkmcnt(0)
	v_mul_f32_e32 v26, v45, v23
	v_mul_f32_e32 v28, v44, v23
	v_add_f32_e32 v15, v19, v15
	v_fmac_f32_e32 v17, v29, v16
	v_add_f32_e32 v29, v20, v18
	v_fma_f32 v16, v44, v22, -v26
	v_mul_f32_e32 v18, v45, v25
	v_mul_f32_e32 v19, v44, v25
	v_add_f32_e32 v26, v21, v17
	v_mul_f32_e32 v17, v30, v23
	v_add_f32_e32 v20, v5, v16
	v_fma_f32 v5, v44, v24, -v18
	v_mul_f32_e32 v16, v31, v23
	v_mul_f32_e32 v23, v31, v25
	;; [unrolled: 1-line block ×3, first 2 shown]
	v_fmac_f32_e32 v28, v45, v22
	v_fmac_f32_e32 v19, v45, v24
	v_add_f32_e32 v18, v33, v5
	v_fma_f32 v5, v30, v22, -v16
	v_fmac_f32_e32 v17, v31, v22
	v_fma_f32 v22, v30, v24, -v23
	v_fmac_f32_e32 v25, v31, v24
	v_add_f32_e32 v21, v27, v28
	v_add_f32_e32 v19, v35, v19
	;; [unrolled: 1-line block ×6, first 2 shown]
	s_barrier
	buffer_gl0_inv
	s_cbranch_scc0 .LBB378_16
.LBB378_8:                              ; =>This Inner Loop Header: Depth=1
	v_add_nc_u32_e32 v5, s9, v9
	v_cmp_le_i32_e32 vcc_lo, s13, v5
	s_or_b32 s16, s1, vcc_lo
	s_and_saveexec_b32 s17, s16
	s_xor_b32 s16, exec_lo, s17
; %bb.9:                                ;   in Loop: Header=BB378_8 Depth=1
	v_mov_b32_e32 v5, v4
	ds_write_b64 v10, v[4:5]
; %bb.10:                               ;   in Loop: Header=BB378_8 Depth=1
	s_andn2_saveexec_b32 s16, s16
	s_cbranch_execz .LBB378_12
; %bb.11:                               ;   in Loop: Header=BB378_8 Depth=1
	flat_load_dwordx2 v[22:23], v[2:3]
	s_waitcnt vmcnt(0) lgkmcnt(0)
	ds_write_b64 v10, v[22:23]
.LBB378_12:                             ;   in Loop: Header=BB378_8 Depth=1
	s_or_b32 exec_lo, exec_lo, s16
	v_add_nc_u32_e32 v5, s9, v8
	v_cmp_le_i32_e32 vcc_lo, s13, v5
	s_or_b32 s16, vcc_lo, s0
	s_and_saveexec_b32 s17, s16
	s_xor_b32 s16, exec_lo, s17
; %bb.13:                               ;   in Loop: Header=BB378_8 Depth=1
	v_mov_b32_e32 v5, v4
	ds_write_b64 v11, v[4:5]
; %bb.14:                               ;   in Loop: Header=BB378_8 Depth=1
	s_andn2_saveexec_b32 s16, s16
	s_cbranch_execz .LBB378_7
; %bb.15:                               ;   in Loop: Header=BB378_8 Depth=1
	flat_load_dwordx2 v[22:23], v[6:7]
	s_waitcnt vmcnt(0) lgkmcnt(0)
	ds_write_b64 v11, v[22:23]
	s_branch .LBB378_7
.LBB378_16:
	s_clause 0x1
	s_load_dword s6, s[4:5], 0x50
	s_load_dwordx2 s[4:5], s[4:5], 0x58
	v_add_nc_u32_e32 v9, s21, v1
	v_add_nc_u32_e32 v0, s8, v0
	v_cmp_neq_f32_e64 s7, s2, 0
	v_cmp_gt_i32_e64 s0, s12, v9
	v_cmp_le_i32_e32 vcc_lo, v0, v9
	s_waitcnt lgkmcnt(0)
	v_mad_i64_i32 v[1:2], null, v9, s6, 0
	s_lshl_b64 s[4:5], s[4:5], 3
	s_add_u32 s4, s10, s4
	s_addc_u32 s5, s11, s5
	s_xor_b32 s8, s20, -1
	s_or_b32 s7, s7, s8
	v_lshlrev_b64 v[2:3], 3, v[1:2]
	v_ashrrev_i32_e32 v1, 31, v0
	v_cndmask_b32_e64 v8, 0, 1, s7
	s_and_b32 s8, s0, vcc_lo
	v_add_co_u32 v6, s1, s4, v2
	v_add_co_ci_u32_e64 v7, null, s5, v3, s1
	s_and_saveexec_b32 s1, s8
	s_cbranch_execz .LBB378_20
; %bb.17:
	v_lshlrev_b64 v[4:5], 3, v[0:1]
	v_mul_f32_e32 v2, s15, v21
	v_mul_f32_e32 v3, s14, v21
	v_fma_f32 v2, v20, s14, -v2
	v_add_co_u32 v4, vcc_lo, v6, v4
	v_fmac_f32_e32 v3, s15, v20
	v_add_co_ci_u32_e64 v5, null, v7, v5, vcc_lo
	s_andn2_b32 vcc_lo, exec_lo, s7
	s_cbranch_vccnz .LBB378_19
; %bb.18:
	flat_load_dwordx2 v[10:11], v[4:5]
	s_waitcnt vmcnt(0) lgkmcnt(0)
	v_mul_f32_e32 v12, s3, v11
	v_mul_f32_e32 v11, s2, v11
	v_fma_f32 v12, v10, s2, -v12
	v_fmac_f32_e32 v11, s3, v10
	v_add_f32_e32 v2, v2, v12
	v_add_f32_e32 v3, v3, v11
.LBB378_19:
	flat_store_dwordx2 v[4:5], v[2:3]
.LBB378_20:
	s_or_b32 exec_lo, exec_lo, s1
	v_add_nc_u32_e32 v2, 16, v0
	v_cmp_le_i32_e32 vcc_lo, v2, v9
	v_ashrrev_i32_e32 v3, 31, v2
	s_and_b32 s0, s0, vcc_lo
	s_and_saveexec_b32 s1, s0
	s_cbranch_execz .LBB378_24
; %bb.21:
	v_lshlrev_b64 v[10:11], 3, v[2:3]
	v_mul_f32_e32 v4, s15, v19
	v_mul_f32_e32 v5, s14, v19
	v_cmp_ne_u32_e32 vcc_lo, 1, v8
	v_fma_f32 v4, v18, s14, -v4
	v_add_co_u32 v6, s0, v6, v10
	v_fmac_f32_e32 v5, s15, v18
	v_add_co_ci_u32_e64 v7, null, v7, v11, s0
	s_cbranch_vccnz .LBB378_23
; %bb.22:
	flat_load_dwordx2 v[10:11], v[6:7]
	s_waitcnt vmcnt(0) lgkmcnt(0)
	v_mul_f32_e32 v12, s3, v11
	v_mul_f32_e32 v11, s2, v11
	v_fma_f32 v12, v10, s2, -v12
	v_fmac_f32_e32 v11, s3, v10
	v_add_f32_e32 v4, v4, v12
	v_add_f32_e32 v5, v5, v11
.LBB378_23:
	flat_store_dwordx2 v[6:7], v[4:5]
.LBB378_24:
	s_or_b32 exec_lo, exec_lo, s1
	v_add_nc_u32_e32 v9, 16, v9
	v_mad_i64_i32 v[4:5], null, v9, s6, 0
	v_cmp_gt_i32_e64 s0, s12, v9
	v_cmp_le_i32_e32 vcc_lo, v0, v9
	v_lshlrev_b64 v[4:5], 3, v[4:5]
	v_add_co_u32 v6, s1, s4, v4
	v_add_co_ci_u32_e64 v7, null, s5, v5, s1
	s_and_b32 s1, s0, vcc_lo
	s_and_saveexec_b32 s4, s1
	s_cbranch_execz .LBB378_28
; %bb.25:
	v_lshlrev_b64 v[0:1], 3, v[0:1]
	v_mul_f32_e32 v4, s15, v17
	v_mul_f32_e32 v5, s14, v17
	v_cmp_ne_u32_e32 vcc_lo, 1, v8
	v_fma_f32 v4, v16, s14, -v4
	v_add_co_u32 v0, s1, v6, v0
	v_fmac_f32_e32 v5, s15, v16
	v_add_co_ci_u32_e64 v1, null, v7, v1, s1
	s_cbranch_vccnz .LBB378_27
; %bb.26:
	flat_load_dwordx2 v[10:11], v[0:1]
	s_waitcnt vmcnt(0) lgkmcnt(0)
	v_mul_f32_e32 v12, s3, v11
	v_mul_f32_e32 v11, s2, v11
	v_fma_f32 v12, v10, s2, -v12
	v_fmac_f32_e32 v11, s3, v10
	v_add_f32_e32 v4, v4, v12
	v_add_f32_e32 v5, v5, v11
.LBB378_27:
	flat_store_dwordx2 v[0:1], v[4:5]
.LBB378_28:
	s_or_b32 exec_lo, exec_lo, s4
	v_cmp_le_i32_e32 vcc_lo, v2, v9
	s_and_b32 s0, s0, vcc_lo
	s_and_saveexec_b32 s1, s0
	s_cbranch_execz .LBB378_32
; %bb.29:
	v_lshlrev_b64 v[2:3], 3, v[2:3]
	v_mul_f32_e32 v0, s15, v15
	v_mul_f32_e32 v1, s14, v15
	v_cmp_ne_u32_e32 vcc_lo, 1, v8
	v_fma_f32 v0, v14, s14, -v0
	v_add_co_u32 v2, s0, v6, v2
	v_fmac_f32_e32 v1, s15, v14
	v_add_co_ci_u32_e64 v3, null, v7, v3, s0
	s_cbranch_vccnz .LBB378_31
; %bb.30:
	flat_load_dwordx2 v[4:5], v[2:3]
	s_waitcnt vmcnt(0) lgkmcnt(0)
	v_mul_f32_e32 v6, s3, v5
	v_mul_f32_e32 v5, s2, v5
	v_fma_f32 v6, v4, s2, -v6
	v_fmac_f32_e32 v5, s3, v4
	v_add_f32_e32 v0, v0, v6
	v_add_f32_e32 v1, v1, v5
.LBB378_31:
	flat_store_dwordx2 v[2:3], v[0:1]
.LBB378_32:
	s_endpgm
	.section	.rodata,"a",@progbits
	.p2align	6, 0x0
	.amdhsa_kernel _ZL29rocblas_internal_gemmt_kernelIiLi16ELi32ELi8ELc78ELc78ELc85ELb0ELb0E19rocblas_complex_numIfES1_PKPKS1_PKPS1_EviT_T9_T10_S9_lSB_S9_lSA_T11_S9_li
		.amdhsa_group_segment_fixed_size 4096
		.amdhsa_private_segment_fixed_size 0
		.amdhsa_kernarg_size 100
		.amdhsa_user_sgpr_count 6
		.amdhsa_user_sgpr_private_segment_buffer 1
		.amdhsa_user_sgpr_dispatch_ptr 0
		.amdhsa_user_sgpr_queue_ptr 0
		.amdhsa_user_sgpr_kernarg_segment_ptr 1
		.amdhsa_user_sgpr_dispatch_id 0
		.amdhsa_user_sgpr_flat_scratch_init 0
		.amdhsa_user_sgpr_private_segment_size 0
		.amdhsa_wavefront_size32 1
		.amdhsa_uses_dynamic_stack 0
		.amdhsa_system_sgpr_private_segment_wavefront_offset 0
		.amdhsa_system_sgpr_workgroup_id_x 1
		.amdhsa_system_sgpr_workgroup_id_y 1
		.amdhsa_system_sgpr_workgroup_id_z 1
		.amdhsa_system_sgpr_workgroup_info 0
		.amdhsa_system_vgpr_workitem_id 1
		.amdhsa_next_free_vgpr 59
		.amdhsa_next_free_sgpr 27
		.amdhsa_reserve_vcc 1
		.amdhsa_reserve_flat_scratch 0
		.amdhsa_float_round_mode_32 0
		.amdhsa_float_round_mode_16_64 0
		.amdhsa_float_denorm_mode_32 3
		.amdhsa_float_denorm_mode_16_64 3
		.amdhsa_dx10_clamp 1
		.amdhsa_ieee_mode 1
		.amdhsa_fp16_overflow 0
		.amdhsa_workgroup_processor_mode 1
		.amdhsa_memory_ordered 1
		.amdhsa_forward_progress 1
		.amdhsa_shared_vgpr_count 0
		.amdhsa_exception_fp_ieee_invalid_op 0
		.amdhsa_exception_fp_denorm_src 0
		.amdhsa_exception_fp_ieee_div_zero 0
		.amdhsa_exception_fp_ieee_overflow 0
		.amdhsa_exception_fp_ieee_underflow 0
		.amdhsa_exception_fp_ieee_inexact 0
		.amdhsa_exception_int_div_zero 0
	.end_amdhsa_kernel
	.section	.text._ZL29rocblas_internal_gemmt_kernelIiLi16ELi32ELi8ELc78ELc78ELc85ELb0ELb0E19rocblas_complex_numIfES1_PKPKS1_PKPS1_EviT_T9_T10_S9_lSB_S9_lSA_T11_S9_li,"axG",@progbits,_ZL29rocblas_internal_gemmt_kernelIiLi16ELi32ELi8ELc78ELc78ELc85ELb0ELb0E19rocblas_complex_numIfES1_PKPKS1_PKPS1_EviT_T9_T10_S9_lSB_S9_lSA_T11_S9_li,comdat
.Lfunc_end378:
	.size	_ZL29rocblas_internal_gemmt_kernelIiLi16ELi32ELi8ELc78ELc78ELc85ELb0ELb0E19rocblas_complex_numIfES1_PKPKS1_PKPS1_EviT_T9_T10_S9_lSB_S9_lSA_T11_S9_li, .Lfunc_end378-_ZL29rocblas_internal_gemmt_kernelIiLi16ELi32ELi8ELc78ELc78ELc85ELb0ELb0E19rocblas_complex_numIfES1_PKPKS1_PKPS1_EviT_T9_T10_S9_lSB_S9_lSA_T11_S9_li
                                        ; -- End function
	.set _ZL29rocblas_internal_gemmt_kernelIiLi16ELi32ELi8ELc78ELc78ELc85ELb0ELb0E19rocblas_complex_numIfES1_PKPKS1_PKPS1_EviT_T9_T10_S9_lSB_S9_lSA_T11_S9_li.num_vgpr, 59
	.set _ZL29rocblas_internal_gemmt_kernelIiLi16ELi32ELi8ELc78ELc78ELc85ELb0ELb0E19rocblas_complex_numIfES1_PKPKS1_PKPS1_EviT_T9_T10_S9_lSB_S9_lSA_T11_S9_li.num_agpr, 0
	.set _ZL29rocblas_internal_gemmt_kernelIiLi16ELi32ELi8ELc78ELc78ELc85ELb0ELb0E19rocblas_complex_numIfES1_PKPKS1_PKPS1_EviT_T9_T10_S9_lSB_S9_lSA_T11_S9_li.numbered_sgpr, 27
	.set _ZL29rocblas_internal_gemmt_kernelIiLi16ELi32ELi8ELc78ELc78ELc85ELb0ELb0E19rocblas_complex_numIfES1_PKPKS1_PKPS1_EviT_T9_T10_S9_lSB_S9_lSA_T11_S9_li.num_named_barrier, 0
	.set _ZL29rocblas_internal_gemmt_kernelIiLi16ELi32ELi8ELc78ELc78ELc85ELb0ELb0E19rocblas_complex_numIfES1_PKPKS1_PKPS1_EviT_T9_T10_S9_lSB_S9_lSA_T11_S9_li.private_seg_size, 0
	.set _ZL29rocblas_internal_gemmt_kernelIiLi16ELi32ELi8ELc78ELc78ELc85ELb0ELb0E19rocblas_complex_numIfES1_PKPKS1_PKPS1_EviT_T9_T10_S9_lSB_S9_lSA_T11_S9_li.uses_vcc, 1
	.set _ZL29rocblas_internal_gemmt_kernelIiLi16ELi32ELi8ELc78ELc78ELc85ELb0ELb0E19rocblas_complex_numIfES1_PKPKS1_PKPS1_EviT_T9_T10_S9_lSB_S9_lSA_T11_S9_li.uses_flat_scratch, 0
	.set _ZL29rocblas_internal_gemmt_kernelIiLi16ELi32ELi8ELc78ELc78ELc85ELb0ELb0E19rocblas_complex_numIfES1_PKPKS1_PKPS1_EviT_T9_T10_S9_lSB_S9_lSA_T11_S9_li.has_dyn_sized_stack, 0
	.set _ZL29rocblas_internal_gemmt_kernelIiLi16ELi32ELi8ELc78ELc78ELc85ELb0ELb0E19rocblas_complex_numIfES1_PKPKS1_PKPS1_EviT_T9_T10_S9_lSB_S9_lSA_T11_S9_li.has_recursion, 0
	.set _ZL29rocblas_internal_gemmt_kernelIiLi16ELi32ELi8ELc78ELc78ELc85ELb0ELb0E19rocblas_complex_numIfES1_PKPKS1_PKPS1_EviT_T9_T10_S9_lSB_S9_lSA_T11_S9_li.has_indirect_call, 0
	.section	.AMDGPU.csdata,"",@progbits
; Kernel info:
; codeLenInByte = 2520
; TotalNumSgprs: 29
; NumVgprs: 59
; ScratchSize: 0
; MemoryBound: 1
; FloatMode: 240
; IeeeMode: 1
; LDSByteSize: 4096 bytes/workgroup (compile time only)
; SGPRBlocks: 0
; VGPRBlocks: 7
; NumSGPRsForWavesPerEU: 29
; NumVGPRsForWavesPerEU: 59
; Occupancy: 16
; WaveLimiterHint : 1
; COMPUTE_PGM_RSRC2:SCRATCH_EN: 0
; COMPUTE_PGM_RSRC2:USER_SGPR: 6
; COMPUTE_PGM_RSRC2:TRAP_HANDLER: 0
; COMPUTE_PGM_RSRC2:TGID_X_EN: 1
; COMPUTE_PGM_RSRC2:TGID_Y_EN: 1
; COMPUTE_PGM_RSRC2:TGID_Z_EN: 1
; COMPUTE_PGM_RSRC2:TIDIG_COMP_CNT: 1
	.section	.text._ZL29rocblas_internal_gemmt_kernelIiLi16ELi32ELi8ELc78ELc84ELc85ELb0ELb0E19rocblas_complex_numIfES1_PKPKS1_PKPS1_EviT_T9_T10_S9_lSB_S9_lSA_T11_S9_li,"axG",@progbits,_ZL29rocblas_internal_gemmt_kernelIiLi16ELi32ELi8ELc78ELc84ELc85ELb0ELb0E19rocblas_complex_numIfES1_PKPKS1_PKPS1_EviT_T9_T10_S9_lSB_S9_lSA_T11_S9_li,comdat
	.globl	_ZL29rocblas_internal_gemmt_kernelIiLi16ELi32ELi8ELc78ELc84ELc85ELb0ELb0E19rocblas_complex_numIfES1_PKPKS1_PKPS1_EviT_T9_T10_S9_lSB_S9_lSA_T11_S9_li ; -- Begin function _ZL29rocblas_internal_gemmt_kernelIiLi16ELi32ELi8ELc78ELc84ELc85ELb0ELb0E19rocblas_complex_numIfES1_PKPKS1_PKPS1_EviT_T9_T10_S9_lSB_S9_lSA_T11_S9_li
	.p2align	8
	.type	_ZL29rocblas_internal_gemmt_kernelIiLi16ELi32ELi8ELc78ELc84ELc85ELb0ELb0E19rocblas_complex_numIfES1_PKPKS1_PKPS1_EviT_T9_T10_S9_lSB_S9_lSA_T11_S9_li,@function
_ZL29rocblas_internal_gemmt_kernelIiLi16ELi32ELi8ELc78ELc84ELc85ELb0ELb0E19rocblas_complex_numIfES1_PKPKS1_PKPS1_EviT_T9_T10_S9_lSB_S9_lSA_T11_S9_li: ; @_ZL29rocblas_internal_gemmt_kernelIiLi16ELi32ELi8ELc78ELc84ELc85ELb0ELb0E19rocblas_complex_numIfES1_PKPKS1_PKPS1_EviT_T9_T10_S9_lSB_S9_lSA_T11_S9_li
; %bb.0:
	s_clause 0x1
	s_load_dwordx2 s[2:3], s[4:5], 0x40
	s_load_dwordx4 s[12:15], s[4:5], 0x0
	s_waitcnt lgkmcnt(0)
	s_and_b32 s0, s3, 0x7fffffff
	v_cmp_eq_f32_e64 s1, s2, 1.0
	s_cmp_eq_u32 s0, 0
	s_mov_b32 s0, 0
	s_cselect_b32 s22, -1, 0
	s_and_b32 s1, s1, s22
	s_andn2_b32 vcc_lo, exec_lo, s1
	s_mov_b32 s1, -1
	s_cbranch_vccnz .LBB379_4
; %bb.1:
	s_cmp_lg_u32 s13, 0
	s_cbranch_scc0 .LBB379_3
; %bb.2:
	v_cmp_neq_f32_e64 s0, s14, 0
	v_cmp_neq_f32_e64 s1, s15, 0
	s_or_b32 s0, s0, s1
.LBB379_3:
	s_mov_b32 s1, s0
.LBB379_4:
	s_and_b32 vcc_lo, exec_lo, s1
	s_cbranch_vccz .LBB379_32
; %bb.5:
	s_load_dwordx2 s[10:11], s[4:5], 0x48
	s_mov_b32 s9, 0
	v_cmp_eq_f32_e64 s16, s14, 0
	s_lshl_b64 s[0:1], s[8:9], 3
	v_cmp_eq_f32_e64 s17, s15, 0
	v_mov_b32_e32 v20, 0
	v_mov_b32_e32 v21, 0
	;; [unrolled: 1-line block ×8, first 2 shown]
	s_waitcnt lgkmcnt(0)
	s_add_u32 s10, s10, s0
	s_addc_u32 s11, s11, s1
	s_lshl_b32 s8, s6, 5
	s_load_dwordx2 s[10:11], s[10:11], 0x0
	s_lshl_b32 s23, s7, 5
	s_and_b32 s6, s16, s17
	s_cmp_lt_i32 s13, 1
	s_cselect_b32 s7, -1, 0
	s_or_b32 s6, s6, s7
	s_and_b32 vcc_lo, exec_lo, s6
	s_cbranch_vccnz .LBB379_16
; %bb.6:
	s_clause 0x3
	s_load_dword s6, s[4:5], 0x18
	s_load_dword s20, s[4:5], 0x30
	s_load_dwordx4 s[16:19], s[4:5], 0x20
	s_load_dwordx2 s[24:25], s[4:5], 0x10
	v_lshl_add_u32 v2, v1, 4, v0
	v_and_b32_e32 v8, 7, v0
	s_load_dwordx2 s[26:27], s[4:5], 0x38
	v_lshlrev_b32_e32 v12, 3, v0
	v_lshl_add_u32 v13, v1, 6, 0x800
	v_and_b32_e32 v3, 31, v2
	v_lshrrev_b32_e32 v9, 5, v2
	v_lshrrev_b32_e32 v4, 3, v2
	v_lshlrev_b32_e32 v5, 3, v8
	v_mov_b32_e32 v19, 0
	v_or_b32_e32 v6, s8, v3
	v_lshlrev_b32_e32 v7, 3, v3
	v_add_nc_u32_e32 v2, s23, v4
	v_lshl_or_b32 v11, v4, 6, v5
	v_mov_b32_e32 v18, 0
	v_cmp_gt_i32_e32 vcc_lo, s12, v6
	v_add_nc_u32_e32 v6, s8, v3
	s_waitcnt lgkmcnt(0)
	v_mad_i64_i32 v[4:5], null, v9, s6, 0
	s_ashr_i32 s7, s6, 31
	s_ashr_i32 s21, s20, 31
	s_add_u32 s18, s18, s0
	s_addc_u32 s19, s19, s1
	s_add_u32 s0, s24, s0
	s_addc_u32 s1, s25, s1
	s_load_dwordx2 s[18:19], s[18:19], 0x0
	s_load_dwordx2 s[24:25], s[0:1], 0x0
	v_lshlrev_b64 v[4:5], 3, v[4:5]
	v_mad_i64_i32 v[14:15], null, s20, v8, 0
	v_lshl_or_b32 v10, v9, 8, v7
	v_ashrrev_i32_e32 v7, 31, v6
	s_lshl_b64 s[16:17], s[16:17], 3
	v_ashrrev_i32_e32 v3, 31, v2
	v_add_co_u32 v16, s1, v4, s16
	v_lshlrev_b64 v[6:7], 3, v[6:7]
	v_add_co_ci_u32_e64 v17, null, s17, v5, s1
	v_lshlrev_b64 v[4:5], 3, v[14:15]
	s_lshl_b64 s[16:17], s[26:27], 3
	v_cmp_gt_i32_e64 s0, s12, v2
	v_add_co_u32 v6, s1, v16, v6
	v_add_co_ci_u32_e64 v7, null, v17, v7, s1
	v_add_co_u32 v14, s1, v4, s16
	v_add_co_ci_u32_e64 v15, null, s17, v5, s1
	v_lshlrev_b64 v[4:5], 3, v[2:3]
	s_waitcnt lgkmcnt(0)
	v_add_co_u32 v2, s1, s24, v6
	v_add_co_ci_u32_e64 v3, null, s25, v7, s1
	v_add_nc_u32_e32 v11, 0x800, v11
	v_add_co_u32 v4, s1, v14, v4
	v_add_co_ci_u32_e64 v5, null, v15, v5, s1
	v_mov_b32_e32 v6, 0
	v_add_co_u32 v4, s1, s18, v4
	v_add_co_ci_u32_e64 v5, null, s19, v5, s1
	v_mov_b32_e32 v15, 0
	v_mov_b32_e32 v14, 0
	;; [unrolled: 1-line block ×6, first 2 shown]
	s_lshl_b64 s[6:7], s[6:7], 6
	s_lshl_b64 s[16:17], s[20:21], 6
	s_xor_b32 s1, vcc_lo, -1
	s_xor_b32 s0, s0, -1
	s_branch .LBB379_8
.LBB379_7:                              ;   in Loop: Header=BB379_8 Depth=1
	s_or_b32 exec_lo, exec_lo, s18
	s_waitcnt lgkmcnt(0)
	s_barrier
	buffer_gl0_inv
	ds_read_b128 v[22:25], v13
	ds_read2_b64 v[26:29], v12 offset1:16
	ds_read_b128 v[30:33], v13 offset:1024
	ds_read_b128 v[34:37], v13 offset:16
	;; [unrolled: 1-line block ×4, first 2 shown]
	ds_read2_b64 v[46:49], v12 offset0:32 offset1:48
	ds_read_b128 v[50:53], v13 offset:1040
	v_add_co_u32 v2, vcc_lo, v2, s6
	v_add_co_ci_u32_e64 v3, null, s7, v3, vcc_lo
	v_add_co_u32 v4, vcc_lo, v4, s16
	v_add_co_ci_u32_e64 v5, null, s17, v5, vcc_lo
	s_add_i32 s9, s9, 8
	s_cmp_lt_i32 s9, s13
	s_waitcnt lgkmcnt(6)
	v_mul_f32_e32 v7, v23, v27
	v_mul_f32_e32 v54, v22, v27
	;; [unrolled: 1-line block ×4, first 2 shown]
	s_waitcnt lgkmcnt(5)
	v_mul_f32_e32 v57, v31, v27
	v_mul_f32_e32 v27, v30, v27
	;; [unrolled: 1-line block ×3, first 2 shown]
	v_fma_f32 v7, v22, v26, -v7
	v_fmac_f32_e32 v54, v23, v26
	v_fma_f32 v22, v22, v28, -v55
	v_fmac_f32_e32 v56, v23, v28
	;; [unrolled: 2-line block ×3, first 2 shown]
	v_mul_f32_e32 v29, v30, v29
	v_fma_f32 v26, v30, v28, -v58
	v_add_f32_e32 v7, v20, v7
	v_add_f32_e32 v20, v21, v54
	;; [unrolled: 1-line block ×6, first 2 shown]
	s_waitcnt lgkmcnt(1)
	v_mul_f32_e32 v30, v25, v47
	ds_read2_b64 v[16:19], v12 offset0:64 offset1:80
	v_fmac_f32_e32 v29, v31, v28
	v_add_f32_e32 v14, v14, v26
	v_mul_f32_e32 v26, v24, v47
	v_fma_f32 v28, v24, v46, -v30
	v_mul_f32_e32 v30, v25, v49
	v_add_f32_e32 v15, v15, v29
	v_mul_f32_e32 v29, v24, v49
	v_fmac_f32_e32 v26, v25, v46
	v_add_f32_e32 v7, v7, v28
	v_fma_f32 v24, v24, v48, -v30
	v_mul_f32_e32 v28, v33, v47
	v_fmac_f32_e32 v29, v25, v48
	v_add_f32_e32 v26, v20, v26
	v_mul_f32_e32 v20, v32, v47
	v_add_f32_e32 v24, v21, v24
	v_fma_f32 v21, v32, v46, -v28
	v_mul_f32_e32 v25, v33, v49
	v_add_f32_e32 v28, v22, v29
	v_fmac_f32_e32 v20, v33, v46
	v_mul_f32_e32 v29, v32, v49
	v_add_f32_e32 v30, v23, v21
	v_fma_f32 v21, v32, v48, -v25
	s_waitcnt lgkmcnt(0)
	v_mul_f32_e32 v22, v35, v17
	v_add_f32_e32 v25, v27, v20
	v_fmac_f32_e32 v29, v33, v48
	v_mul_f32_e32 v27, v34, v17
	v_add_f32_e32 v14, v14, v21
	v_fma_f32 v31, v34, v16, -v22
	v_mul_f32_e32 v32, v35, v19
	ds_read2_b64 v[20:23], v12 offset0:96 offset1:112
	v_fmac_f32_e32 v27, v35, v16
	v_add_f32_e32 v29, v15, v29
	v_add_f32_e32 v7, v7, v31
	v_mul_f32_e32 v15, v34, v19
	v_fma_f32 v31, v34, v18, -v32
	v_add_f32_e32 v26, v26, v27
	v_mul_f32_e32 v27, v51, v17
	v_mul_f32_e32 v17, v50, v17
	v_fmac_f32_e32 v15, v35, v18
	v_add_f32_e32 v24, v24, v31
	v_mul_f32_e32 v31, v51, v19
	v_mul_f32_e32 v19, v50, v19
	v_fmac_f32_e32 v17, v51, v16
	v_add_f32_e32 v28, v28, v15
	v_fma_f32 v27, v50, v16, -v27
	v_fma_f32 v15, v50, v18, -v31
	v_fmac_f32_e32 v19, v51, v18
	v_add_f32_e32 v31, v25, v17
	s_waitcnt lgkmcnt(0)
	v_mul_f32_e32 v18, v37, v21
	v_add_f32_e32 v32, v14, v15
	ds_read2_b64 v[14:17], v12 offset0:128 offset1:144
	v_add_f32_e32 v30, v30, v27
	v_mul_f32_e32 v25, v36, v21
	v_fma_f32 v18, v36, v20, -v18
	v_mul_f32_e32 v27, v37, v23
	v_add_f32_e32 v29, v29, v19
	v_mul_f32_e32 v19, v36, v23
	v_fmac_f32_e32 v25, v37, v20
	v_add_f32_e32 v7, v7, v18
	v_mul_f32_e32 v18, v53, v21
	v_fma_f32 v27, v36, v22, -v27
	v_fmac_f32_e32 v19, v37, v22
	v_mul_f32_e32 v21, v52, v21
	v_mul_f32_e32 v35, v53, v23
	v_fma_f32 v18, v52, v20, -v18
	v_add_f32_e32 v33, v26, v25
	v_add_f32_e32 v34, v24, v27
	ds_read_b128 v[24:27], v13 offset:1056
	v_add_f32_e32 v36, v28, v19
	v_fmac_f32_e32 v21, v53, v20
	v_mul_f32_e32 v23, v52, v23
	v_fma_f32 v19, v52, v22, -v35
	v_add_f32_e32 v35, v30, v18
	s_waitcnt lgkmcnt(1)
	v_mul_f32_e32 v18, v39, v15
	v_add_f32_e32 v37, v31, v21
	v_fmac_f32_e32 v23, v53, v22
	v_add_f32_e32 v22, v32, v19
	v_mul_f32_e32 v32, v38, v15
	v_fma_f32 v28, v38, v14, -v18
	ds_read2_b64 v[18:21], v12 offset0:160 offset1:176
	v_mul_f32_e32 v30, v39, v17
	v_mul_f32_e32 v46, v38, v17
	v_fmac_f32_e32 v32, v39, v14
	v_add_f32_e32 v23, v29, v23
	v_add_f32_e32 v7, v7, v28
	v_fma_f32 v38, v38, v16, -v30
	ds_read_b128 v[28:31], v13 offset:1072
	s_waitcnt lgkmcnt(2)
	v_mul_f32_e32 v47, v25, v15
	v_add_f32_e32 v32, v33, v32
	v_mul_f32_e32 v15, v24, v15
	v_add_f32_e32 v33, v34, v38
	v_mul_f32_e32 v38, v25, v17
	v_fmac_f32_e32 v46, v39, v16
	v_fma_f32 v34, v24, v14, -v47
	v_fmac_f32_e32 v15, v25, v14
	v_mul_f32_e32 v39, v24, v17
	v_fma_f32 v14, v24, v16, -v38
	v_add_f32_e32 v36, v36, v46
	v_add_f32_e32 v34, v35, v34
	s_waitcnt lgkmcnt(1)
	v_mul_f32_e32 v17, v41, v19
	v_add_f32_e32 v24, v37, v15
	v_fmac_f32_e32 v39, v25, v16
	v_mul_f32_e32 v25, v40, v19
	v_add_f32_e32 v22, v22, v14
	v_fma_f32 v35, v40, v18, -v17
	ds_read2_b64 v[14:17], v12 offset0:192 offset1:208
	v_mul_f32_e32 v37, v41, v21
	v_fmac_f32_e32 v25, v41, v18
	v_add_f32_e32 v38, v23, v39
	v_add_f32_e32 v7, v7, v35
	v_mul_f32_e32 v23, v40, v21
	v_fma_f32 v35, v40, v20, -v37
	v_add_f32_e32 v32, v32, v25
	v_mul_f32_e32 v25, v27, v19
	v_mul_f32_e32 v19, v26, v19
	v_fmac_f32_e32 v23, v41, v20
	v_add_f32_e32 v33, v33, v35
	v_mul_f32_e32 v35, v27, v21
	v_fma_f32 v25, v26, v18, -v25
	v_fmac_f32_e32 v19, v27, v18
	v_add_f32_e32 v18, v36, v23
	v_mul_f32_e32 v21, v26, v21
	v_fma_f32 v23, v26, v20, -v35
	v_add_f32_e32 v26, v34, v25
	v_add_f32_e32 v19, v24, v19
	s_waitcnt lgkmcnt(0)
	v_mul_f32_e32 v34, v43, v15
	v_fmac_f32_e32 v21, v27, v20
	v_add_f32_e32 v20, v22, v23
	ds_read2_b64 v[22:25], v12 offset0:224 offset1:240
	v_mul_f32_e32 v27, v42, v15
	v_fma_f32 v34, v42, v14, -v34
	v_mul_f32_e32 v35, v43, v17
	v_mul_f32_e32 v36, v42, v17
	v_add_f32_e32 v21, v38, v21
	v_fmac_f32_e32 v27, v43, v14
	v_add_f32_e32 v7, v7, v34
	v_mul_f32_e32 v34, v29, v15
	v_fma_f32 v35, v42, v16, -v35
	v_fmac_f32_e32 v36, v43, v16
	v_add_f32_e32 v27, v32, v27
	v_mul_f32_e32 v15, v28, v15
	v_fma_f32 v32, v28, v14, -v34
	v_mul_f32_e32 v34, v29, v17
	v_add_f32_e32 v33, v33, v35
	v_add_f32_e32 v35, v18, v36
	v_fmac_f32_e32 v15, v29, v14
	v_add_f32_e32 v14, v26, v32
	v_mul_f32_e32 v17, v28, v17
	v_fma_f32 v18, v28, v16, -v34
	s_waitcnt lgkmcnt(0)
	v_mul_f32_e32 v26, v45, v23
	v_mul_f32_e32 v28, v44, v23
	v_add_f32_e32 v15, v19, v15
	v_fmac_f32_e32 v17, v29, v16
	v_add_f32_e32 v29, v20, v18
	v_fma_f32 v16, v44, v22, -v26
	v_mul_f32_e32 v18, v45, v25
	v_mul_f32_e32 v19, v44, v25
	v_add_f32_e32 v26, v21, v17
	v_mul_f32_e32 v17, v30, v23
	v_add_f32_e32 v20, v7, v16
	v_fma_f32 v7, v44, v24, -v18
	v_mul_f32_e32 v16, v31, v23
	v_mul_f32_e32 v23, v31, v25
	;; [unrolled: 1-line block ×3, first 2 shown]
	v_fmac_f32_e32 v28, v45, v22
	v_fmac_f32_e32 v19, v45, v24
	v_add_f32_e32 v18, v33, v7
	v_fma_f32 v7, v30, v22, -v16
	v_fmac_f32_e32 v17, v31, v22
	v_fma_f32 v22, v30, v24, -v23
	v_fmac_f32_e32 v25, v31, v24
	v_add_f32_e32 v21, v27, v28
	v_add_f32_e32 v19, v35, v19
	;; [unrolled: 1-line block ×6, first 2 shown]
	s_barrier
	buffer_gl0_inv
	s_cbranch_scc0 .LBB379_16
.LBB379_8:                              ; =>This Inner Loop Header: Depth=1
	v_add_nc_u32_e32 v7, s9, v9
	v_cmp_le_i32_e32 vcc_lo, s13, v7
	s_or_b32 s18, s1, vcc_lo
	s_and_saveexec_b32 s19, s18
	s_xor_b32 s18, exec_lo, s19
; %bb.9:                                ;   in Loop: Header=BB379_8 Depth=1
	v_mov_b32_e32 v7, v6
	ds_write_b64 v10, v[6:7]
; %bb.10:                               ;   in Loop: Header=BB379_8 Depth=1
	s_andn2_saveexec_b32 s18, s18
	s_cbranch_execz .LBB379_12
; %bb.11:                               ;   in Loop: Header=BB379_8 Depth=1
	flat_load_dwordx2 v[22:23], v[2:3]
	s_waitcnt vmcnt(0) lgkmcnt(0)
	ds_write_b64 v10, v[22:23]
.LBB379_12:                             ;   in Loop: Header=BB379_8 Depth=1
	s_or_b32 exec_lo, exec_lo, s18
	v_add_nc_u32_e32 v7, s9, v8
	v_cmp_le_i32_e32 vcc_lo, s13, v7
	s_or_b32 s18, vcc_lo, s0
	s_and_saveexec_b32 s19, s18
	s_xor_b32 s18, exec_lo, s19
; %bb.13:                               ;   in Loop: Header=BB379_8 Depth=1
	v_mov_b32_e32 v7, v6
	ds_write_b64 v11, v[6:7]
; %bb.14:                               ;   in Loop: Header=BB379_8 Depth=1
	s_andn2_saveexec_b32 s18, s18
	s_cbranch_execz .LBB379_7
; %bb.15:                               ;   in Loop: Header=BB379_8 Depth=1
	flat_load_dwordx2 v[22:23], v[4:5]
	s_waitcnt vmcnt(0) lgkmcnt(0)
	ds_write_b64 v11, v[22:23]
	s_branch .LBB379_7
.LBB379_16:
	s_clause 0x1
	s_load_dword s6, s[4:5], 0x50
	s_load_dwordx2 s[4:5], s[4:5], 0x58
	v_add_nc_u32_e32 v9, s23, v1
	v_add_nc_u32_e32 v0, s8, v0
	v_cmp_neq_f32_e64 s7, s2, 0
	v_cmp_gt_i32_e64 s0, s12, v9
	v_cmp_le_i32_e32 vcc_lo, v0, v9
	s_waitcnt lgkmcnt(0)
	v_mad_i64_i32 v[1:2], null, v9, s6, 0
	s_lshl_b64 s[4:5], s[4:5], 3
	s_add_u32 s4, s10, s4
	s_addc_u32 s5, s11, s5
	s_xor_b32 s8, s22, -1
	s_or_b32 s7, s7, s8
	v_lshlrev_b64 v[2:3], 3, v[1:2]
	v_ashrrev_i32_e32 v1, 31, v0
	v_cndmask_b32_e64 v8, 0, 1, s7
	s_and_b32 s8, s0, vcc_lo
	v_add_co_u32 v6, s1, s4, v2
	v_add_co_ci_u32_e64 v7, null, s5, v3, s1
	s_and_saveexec_b32 s1, s8
	s_cbranch_execz .LBB379_20
; %bb.17:
	v_lshlrev_b64 v[4:5], 3, v[0:1]
	v_mul_f32_e32 v2, s15, v21
	v_mul_f32_e32 v3, s14, v21
	v_fma_f32 v2, v20, s14, -v2
	v_add_co_u32 v4, vcc_lo, v6, v4
	v_fmac_f32_e32 v3, s15, v20
	v_add_co_ci_u32_e64 v5, null, v7, v5, vcc_lo
	s_andn2_b32 vcc_lo, exec_lo, s7
	s_cbranch_vccnz .LBB379_19
; %bb.18:
	flat_load_dwordx2 v[10:11], v[4:5]
	s_waitcnt vmcnt(0) lgkmcnt(0)
	v_mul_f32_e32 v12, s3, v11
	v_mul_f32_e32 v11, s2, v11
	v_fma_f32 v12, v10, s2, -v12
	v_fmac_f32_e32 v11, s3, v10
	v_add_f32_e32 v2, v2, v12
	v_add_f32_e32 v3, v3, v11
.LBB379_19:
	flat_store_dwordx2 v[4:5], v[2:3]
.LBB379_20:
	s_or_b32 exec_lo, exec_lo, s1
	v_add_nc_u32_e32 v2, 16, v0
	v_cmp_le_i32_e32 vcc_lo, v2, v9
	v_ashrrev_i32_e32 v3, 31, v2
	s_and_b32 s0, s0, vcc_lo
	s_and_saveexec_b32 s1, s0
	s_cbranch_execz .LBB379_24
; %bb.21:
	v_lshlrev_b64 v[10:11], 3, v[2:3]
	v_mul_f32_e32 v4, s15, v19
	v_mul_f32_e32 v5, s14, v19
	v_cmp_ne_u32_e32 vcc_lo, 1, v8
	v_fma_f32 v4, v18, s14, -v4
	v_add_co_u32 v6, s0, v6, v10
	v_fmac_f32_e32 v5, s15, v18
	v_add_co_ci_u32_e64 v7, null, v7, v11, s0
	s_cbranch_vccnz .LBB379_23
; %bb.22:
	flat_load_dwordx2 v[10:11], v[6:7]
	s_waitcnt vmcnt(0) lgkmcnt(0)
	v_mul_f32_e32 v12, s3, v11
	v_mul_f32_e32 v11, s2, v11
	v_fma_f32 v12, v10, s2, -v12
	v_fmac_f32_e32 v11, s3, v10
	v_add_f32_e32 v4, v4, v12
	v_add_f32_e32 v5, v5, v11
.LBB379_23:
	flat_store_dwordx2 v[6:7], v[4:5]
.LBB379_24:
	s_or_b32 exec_lo, exec_lo, s1
	v_add_nc_u32_e32 v9, 16, v9
	v_mad_i64_i32 v[4:5], null, v9, s6, 0
	v_cmp_gt_i32_e64 s0, s12, v9
	v_cmp_le_i32_e32 vcc_lo, v0, v9
	v_lshlrev_b64 v[4:5], 3, v[4:5]
	v_add_co_u32 v6, s1, s4, v4
	v_add_co_ci_u32_e64 v7, null, s5, v5, s1
	s_and_b32 s1, s0, vcc_lo
	s_and_saveexec_b32 s4, s1
	s_cbranch_execz .LBB379_28
; %bb.25:
	v_lshlrev_b64 v[0:1], 3, v[0:1]
	v_mul_f32_e32 v4, s15, v17
	v_mul_f32_e32 v5, s14, v17
	v_cmp_ne_u32_e32 vcc_lo, 1, v8
	v_fma_f32 v4, v16, s14, -v4
	v_add_co_u32 v0, s1, v6, v0
	v_fmac_f32_e32 v5, s15, v16
	v_add_co_ci_u32_e64 v1, null, v7, v1, s1
	s_cbranch_vccnz .LBB379_27
; %bb.26:
	flat_load_dwordx2 v[10:11], v[0:1]
	s_waitcnt vmcnt(0) lgkmcnt(0)
	v_mul_f32_e32 v12, s3, v11
	v_mul_f32_e32 v11, s2, v11
	v_fma_f32 v12, v10, s2, -v12
	v_fmac_f32_e32 v11, s3, v10
	v_add_f32_e32 v4, v4, v12
	v_add_f32_e32 v5, v5, v11
.LBB379_27:
	flat_store_dwordx2 v[0:1], v[4:5]
.LBB379_28:
	s_or_b32 exec_lo, exec_lo, s4
	v_cmp_le_i32_e32 vcc_lo, v2, v9
	s_and_b32 s0, s0, vcc_lo
	s_and_saveexec_b32 s1, s0
	s_cbranch_execz .LBB379_32
; %bb.29:
	v_lshlrev_b64 v[2:3], 3, v[2:3]
	v_mul_f32_e32 v0, s15, v15
	v_mul_f32_e32 v1, s14, v15
	v_cmp_ne_u32_e32 vcc_lo, 1, v8
	v_fma_f32 v0, v14, s14, -v0
	v_add_co_u32 v2, s0, v6, v2
	v_fmac_f32_e32 v1, s15, v14
	v_add_co_ci_u32_e64 v3, null, v7, v3, s0
	s_cbranch_vccnz .LBB379_31
; %bb.30:
	flat_load_dwordx2 v[4:5], v[2:3]
	s_waitcnt vmcnt(0) lgkmcnt(0)
	v_mul_f32_e32 v6, s3, v5
	v_mul_f32_e32 v5, s2, v5
	v_fma_f32 v6, v4, s2, -v6
	v_fmac_f32_e32 v5, s3, v4
	v_add_f32_e32 v0, v0, v6
	v_add_f32_e32 v1, v1, v5
.LBB379_31:
	flat_store_dwordx2 v[2:3], v[0:1]
.LBB379_32:
	s_endpgm
	.section	.rodata,"a",@progbits
	.p2align	6, 0x0
	.amdhsa_kernel _ZL29rocblas_internal_gemmt_kernelIiLi16ELi32ELi8ELc78ELc84ELc85ELb0ELb0E19rocblas_complex_numIfES1_PKPKS1_PKPS1_EviT_T9_T10_S9_lSB_S9_lSA_T11_S9_li
		.amdhsa_group_segment_fixed_size 4096
		.amdhsa_private_segment_fixed_size 0
		.amdhsa_kernarg_size 100
		.amdhsa_user_sgpr_count 6
		.amdhsa_user_sgpr_private_segment_buffer 1
		.amdhsa_user_sgpr_dispatch_ptr 0
		.amdhsa_user_sgpr_queue_ptr 0
		.amdhsa_user_sgpr_kernarg_segment_ptr 1
		.amdhsa_user_sgpr_dispatch_id 0
		.amdhsa_user_sgpr_flat_scratch_init 0
		.amdhsa_user_sgpr_private_segment_size 0
		.amdhsa_wavefront_size32 1
		.amdhsa_uses_dynamic_stack 0
		.amdhsa_system_sgpr_private_segment_wavefront_offset 0
		.amdhsa_system_sgpr_workgroup_id_x 1
		.amdhsa_system_sgpr_workgroup_id_y 1
		.amdhsa_system_sgpr_workgroup_id_z 1
		.amdhsa_system_sgpr_workgroup_info 0
		.amdhsa_system_vgpr_workitem_id 1
		.amdhsa_next_free_vgpr 59
		.amdhsa_next_free_sgpr 28
		.amdhsa_reserve_vcc 1
		.amdhsa_reserve_flat_scratch 0
		.amdhsa_float_round_mode_32 0
		.amdhsa_float_round_mode_16_64 0
		.amdhsa_float_denorm_mode_32 3
		.amdhsa_float_denorm_mode_16_64 3
		.amdhsa_dx10_clamp 1
		.amdhsa_ieee_mode 1
		.amdhsa_fp16_overflow 0
		.amdhsa_workgroup_processor_mode 1
		.amdhsa_memory_ordered 1
		.amdhsa_forward_progress 1
		.amdhsa_shared_vgpr_count 0
		.amdhsa_exception_fp_ieee_invalid_op 0
		.amdhsa_exception_fp_denorm_src 0
		.amdhsa_exception_fp_ieee_div_zero 0
		.amdhsa_exception_fp_ieee_overflow 0
		.amdhsa_exception_fp_ieee_underflow 0
		.amdhsa_exception_fp_ieee_inexact 0
		.amdhsa_exception_int_div_zero 0
	.end_amdhsa_kernel
	.section	.text._ZL29rocblas_internal_gemmt_kernelIiLi16ELi32ELi8ELc78ELc84ELc85ELb0ELb0E19rocblas_complex_numIfES1_PKPKS1_PKPS1_EviT_T9_T10_S9_lSB_S9_lSA_T11_S9_li,"axG",@progbits,_ZL29rocblas_internal_gemmt_kernelIiLi16ELi32ELi8ELc78ELc84ELc85ELb0ELb0E19rocblas_complex_numIfES1_PKPKS1_PKPS1_EviT_T9_T10_S9_lSB_S9_lSA_T11_S9_li,comdat
.Lfunc_end379:
	.size	_ZL29rocblas_internal_gemmt_kernelIiLi16ELi32ELi8ELc78ELc84ELc85ELb0ELb0E19rocblas_complex_numIfES1_PKPKS1_PKPS1_EviT_T9_T10_S9_lSB_S9_lSA_T11_S9_li, .Lfunc_end379-_ZL29rocblas_internal_gemmt_kernelIiLi16ELi32ELi8ELc78ELc84ELc85ELb0ELb0E19rocblas_complex_numIfES1_PKPKS1_PKPS1_EviT_T9_T10_S9_lSB_S9_lSA_T11_S9_li
                                        ; -- End function
	.set _ZL29rocblas_internal_gemmt_kernelIiLi16ELi32ELi8ELc78ELc84ELc85ELb0ELb0E19rocblas_complex_numIfES1_PKPKS1_PKPS1_EviT_T9_T10_S9_lSB_S9_lSA_T11_S9_li.num_vgpr, 59
	.set _ZL29rocblas_internal_gemmt_kernelIiLi16ELi32ELi8ELc78ELc84ELc85ELb0ELb0E19rocblas_complex_numIfES1_PKPKS1_PKPS1_EviT_T9_T10_S9_lSB_S9_lSA_T11_S9_li.num_agpr, 0
	.set _ZL29rocblas_internal_gemmt_kernelIiLi16ELi32ELi8ELc78ELc84ELc85ELb0ELb0E19rocblas_complex_numIfES1_PKPKS1_PKPS1_EviT_T9_T10_S9_lSB_S9_lSA_T11_S9_li.numbered_sgpr, 28
	.set _ZL29rocblas_internal_gemmt_kernelIiLi16ELi32ELi8ELc78ELc84ELc85ELb0ELb0E19rocblas_complex_numIfES1_PKPKS1_PKPS1_EviT_T9_T10_S9_lSB_S9_lSA_T11_S9_li.num_named_barrier, 0
	.set _ZL29rocblas_internal_gemmt_kernelIiLi16ELi32ELi8ELc78ELc84ELc85ELb0ELb0E19rocblas_complex_numIfES1_PKPKS1_PKPS1_EviT_T9_T10_S9_lSB_S9_lSA_T11_S9_li.private_seg_size, 0
	.set _ZL29rocblas_internal_gemmt_kernelIiLi16ELi32ELi8ELc78ELc84ELc85ELb0ELb0E19rocblas_complex_numIfES1_PKPKS1_PKPS1_EviT_T9_T10_S9_lSB_S9_lSA_T11_S9_li.uses_vcc, 1
	.set _ZL29rocblas_internal_gemmt_kernelIiLi16ELi32ELi8ELc78ELc84ELc85ELb0ELb0E19rocblas_complex_numIfES1_PKPKS1_PKPS1_EviT_T9_T10_S9_lSB_S9_lSA_T11_S9_li.uses_flat_scratch, 0
	.set _ZL29rocblas_internal_gemmt_kernelIiLi16ELi32ELi8ELc78ELc84ELc85ELb0ELb0E19rocblas_complex_numIfES1_PKPKS1_PKPS1_EviT_T9_T10_S9_lSB_S9_lSA_T11_S9_li.has_dyn_sized_stack, 0
	.set _ZL29rocblas_internal_gemmt_kernelIiLi16ELi32ELi8ELc78ELc84ELc85ELb0ELb0E19rocblas_complex_numIfES1_PKPKS1_PKPS1_EviT_T9_T10_S9_lSB_S9_lSA_T11_S9_li.has_recursion, 0
	.set _ZL29rocblas_internal_gemmt_kernelIiLi16ELi32ELi8ELc78ELc84ELc85ELb0ELb0E19rocblas_complex_numIfES1_PKPKS1_PKPS1_EviT_T9_T10_S9_lSB_S9_lSA_T11_S9_li.has_indirect_call, 0
	.section	.AMDGPU.csdata,"",@progbits
; Kernel info:
; codeLenInByte = 2540
; TotalNumSgprs: 30
; NumVgprs: 59
; ScratchSize: 0
; MemoryBound: 1
; FloatMode: 240
; IeeeMode: 1
; LDSByteSize: 4096 bytes/workgroup (compile time only)
; SGPRBlocks: 0
; VGPRBlocks: 7
; NumSGPRsForWavesPerEU: 30
; NumVGPRsForWavesPerEU: 59
; Occupancy: 16
; WaveLimiterHint : 1
; COMPUTE_PGM_RSRC2:SCRATCH_EN: 0
; COMPUTE_PGM_RSRC2:USER_SGPR: 6
; COMPUTE_PGM_RSRC2:TRAP_HANDLER: 0
; COMPUTE_PGM_RSRC2:TGID_X_EN: 1
; COMPUTE_PGM_RSRC2:TGID_Y_EN: 1
; COMPUTE_PGM_RSRC2:TGID_Z_EN: 1
; COMPUTE_PGM_RSRC2:TIDIG_COMP_CNT: 1
	.section	.text._ZL29rocblas_internal_gemmt_kernelIiLi16ELi32ELi8ELc78ELc67ELc85ELb0ELb1E19rocblas_complex_numIfES1_PKPKS1_PKPS1_EviT_T9_T10_S9_lSB_S9_lSA_T11_S9_li,"axG",@progbits,_ZL29rocblas_internal_gemmt_kernelIiLi16ELi32ELi8ELc78ELc67ELc85ELb0ELb1E19rocblas_complex_numIfES1_PKPKS1_PKPS1_EviT_T9_T10_S9_lSB_S9_lSA_T11_S9_li,comdat
	.globl	_ZL29rocblas_internal_gemmt_kernelIiLi16ELi32ELi8ELc78ELc67ELc85ELb0ELb1E19rocblas_complex_numIfES1_PKPKS1_PKPS1_EviT_T9_T10_S9_lSB_S9_lSA_T11_S9_li ; -- Begin function _ZL29rocblas_internal_gemmt_kernelIiLi16ELi32ELi8ELc78ELc67ELc85ELb0ELb1E19rocblas_complex_numIfES1_PKPKS1_PKPS1_EviT_T9_T10_S9_lSB_S9_lSA_T11_S9_li
	.p2align	8
	.type	_ZL29rocblas_internal_gemmt_kernelIiLi16ELi32ELi8ELc78ELc67ELc85ELb0ELb1E19rocblas_complex_numIfES1_PKPKS1_PKPS1_EviT_T9_T10_S9_lSB_S9_lSA_T11_S9_li,@function
_ZL29rocblas_internal_gemmt_kernelIiLi16ELi32ELi8ELc78ELc67ELc85ELb0ELb1E19rocblas_complex_numIfES1_PKPKS1_PKPS1_EviT_T9_T10_S9_lSB_S9_lSA_T11_S9_li: ; @_ZL29rocblas_internal_gemmt_kernelIiLi16ELi32ELi8ELc78ELc67ELc85ELb0ELb1E19rocblas_complex_numIfES1_PKPKS1_PKPS1_EviT_T9_T10_S9_lSB_S9_lSA_T11_S9_li
; %bb.0:
	s_clause 0x1
	s_load_dwordx2 s[2:3], s[4:5], 0x40
	s_load_dwordx4 s[12:15], s[4:5], 0x0
	s_waitcnt lgkmcnt(0)
	s_and_b32 s0, s3, 0x7fffffff
	v_cmp_eq_f32_e64 s1, s2, 1.0
	s_cmp_eq_u32 s0, 0
	s_mov_b32 s0, 0
	s_cselect_b32 s22, -1, 0
	s_and_b32 s1, s1, s22
	s_andn2_b32 vcc_lo, exec_lo, s1
	s_mov_b32 s1, -1
	s_cbranch_vccnz .LBB380_4
; %bb.1:
	s_cmp_lg_u32 s13, 0
	s_cbranch_scc0 .LBB380_3
; %bb.2:
	v_cmp_neq_f32_e64 s0, s14, 0
	v_cmp_neq_f32_e64 s1, s15, 0
	s_or_b32 s0, s0, s1
.LBB380_3:
	s_mov_b32 s1, s0
.LBB380_4:
	s_and_b32 vcc_lo, exec_lo, s1
	s_cbranch_vccz .LBB380_32
; %bb.5:
	s_load_dwordx2 s[10:11], s[4:5], 0x48
	s_mov_b32 s9, 0
	v_cmp_eq_f32_e64 s16, s14, 0
	s_lshl_b64 s[0:1], s[8:9], 3
	v_cmp_eq_f32_e64 s17, s15, 0
	v_mov_b32_e32 v20, 0
	v_mov_b32_e32 v21, 0
	;; [unrolled: 1-line block ×8, first 2 shown]
	s_waitcnt lgkmcnt(0)
	s_add_u32 s10, s10, s0
	s_addc_u32 s11, s11, s1
	s_lshl_b32 s8, s6, 5
	s_load_dwordx2 s[10:11], s[10:11], 0x0
	s_lshl_b32 s23, s7, 5
	s_and_b32 s6, s16, s17
	s_cmp_lt_i32 s13, 1
	s_cselect_b32 s7, -1, 0
	s_or_b32 s6, s6, s7
	s_and_b32 vcc_lo, exec_lo, s6
	s_cbranch_vccnz .LBB380_16
; %bb.6:
	s_clause 0x3
	s_load_dword s6, s[4:5], 0x18
	s_load_dword s20, s[4:5], 0x30
	s_load_dwordx4 s[16:19], s[4:5], 0x20
	s_load_dwordx2 s[24:25], s[4:5], 0x10
	v_lshl_add_u32 v2, v1, 4, v0
	v_and_b32_e32 v8, 7, v0
	s_load_dwordx2 s[26:27], s[4:5], 0x38
	v_lshlrev_b32_e32 v12, 3, v0
	v_lshl_add_u32 v13, v1, 6, 0x800
	v_and_b32_e32 v3, 31, v2
	v_lshrrev_b32_e32 v9, 5, v2
	v_lshrrev_b32_e32 v4, 3, v2
	v_lshlrev_b32_e32 v5, 3, v8
	v_mov_b32_e32 v19, 0
	v_or_b32_e32 v6, s8, v3
	v_lshlrev_b32_e32 v7, 3, v3
	v_add_nc_u32_e32 v2, s23, v4
	v_lshl_or_b32 v11, v4, 6, v5
	v_mov_b32_e32 v18, 0
	v_cmp_gt_i32_e32 vcc_lo, s12, v6
	v_add_nc_u32_e32 v6, s8, v3
	s_waitcnt lgkmcnt(0)
	v_mad_i64_i32 v[4:5], null, v9, s6, 0
	s_ashr_i32 s7, s6, 31
	s_ashr_i32 s21, s20, 31
	s_add_u32 s18, s18, s0
	s_addc_u32 s19, s19, s1
	s_add_u32 s0, s24, s0
	s_addc_u32 s1, s25, s1
	s_load_dwordx2 s[18:19], s[18:19], 0x0
	s_load_dwordx2 s[24:25], s[0:1], 0x0
	v_lshlrev_b64 v[4:5], 3, v[4:5]
	v_mad_i64_i32 v[14:15], null, s20, v8, 0
	v_lshl_or_b32 v10, v9, 8, v7
	v_ashrrev_i32_e32 v7, 31, v6
	s_lshl_b64 s[16:17], s[16:17], 3
	v_ashrrev_i32_e32 v3, 31, v2
	v_add_co_u32 v16, s1, v4, s16
	v_lshlrev_b64 v[6:7], 3, v[6:7]
	v_add_co_ci_u32_e64 v17, null, s17, v5, s1
	v_lshlrev_b64 v[4:5], 3, v[14:15]
	s_lshl_b64 s[16:17], s[26:27], 3
	v_cmp_gt_i32_e64 s0, s12, v2
	v_add_co_u32 v6, s1, v16, v6
	v_add_co_ci_u32_e64 v7, null, v17, v7, s1
	v_add_co_u32 v14, s1, v4, s16
	v_add_co_ci_u32_e64 v15, null, s17, v5, s1
	v_lshlrev_b64 v[4:5], 3, v[2:3]
	s_waitcnt lgkmcnt(0)
	v_add_co_u32 v2, s1, s24, v6
	v_add_co_ci_u32_e64 v3, null, s25, v7, s1
	v_add_nc_u32_e32 v11, 0x800, v11
	v_add_co_u32 v4, s1, v14, v4
	v_add_co_ci_u32_e64 v5, null, v15, v5, s1
	v_mov_b32_e32 v6, 0
	v_add_co_u32 v4, s1, s18, v4
	v_add_co_ci_u32_e64 v5, null, s19, v5, s1
	v_mov_b32_e32 v15, 0
	v_mov_b32_e32 v14, 0
	;; [unrolled: 1-line block ×6, first 2 shown]
	s_lshl_b64 s[6:7], s[6:7], 6
	s_lshl_b64 s[16:17], s[20:21], 6
	s_xor_b32 s1, vcc_lo, -1
	s_xor_b32 s0, s0, -1
	s_branch .LBB380_8
.LBB380_7:                              ;   in Loop: Header=BB380_8 Depth=1
	s_or_b32 exec_lo, exec_lo, s18
	ds_write_b32 v11, v7 offset:4
	s_waitcnt lgkmcnt(0)
	s_barrier
	buffer_gl0_inv
	ds_read_b128 v[22:25], v13
	ds_read2_b64 v[26:29], v12 offset1:16
	ds_read_b128 v[30:33], v13 offset:1024
	ds_read_b128 v[34:37], v13 offset:16
	;; [unrolled: 1-line block ×4, first 2 shown]
	ds_read2_b64 v[46:49], v12 offset0:32 offset1:48
	ds_read_b128 v[50:53], v13 offset:1040
	v_add_co_u32 v2, vcc_lo, v2, s6
	v_add_co_ci_u32_e64 v3, null, s7, v3, vcc_lo
	v_add_co_u32 v4, vcc_lo, v4, s16
	v_add_co_ci_u32_e64 v5, null, s17, v5, vcc_lo
	s_add_i32 s9, s9, 8
	s_cmp_lt_i32 s9, s13
	s_waitcnt lgkmcnt(6)
	v_mul_f32_e32 v7, v23, v27
	v_mul_f32_e32 v54, v22, v27
	;; [unrolled: 1-line block ×4, first 2 shown]
	s_waitcnt lgkmcnt(5)
	v_mul_f32_e32 v57, v31, v27
	v_mul_f32_e32 v27, v30, v27
	;; [unrolled: 1-line block ×3, first 2 shown]
	v_fma_f32 v7, v22, v26, -v7
	v_fmac_f32_e32 v54, v23, v26
	v_fma_f32 v22, v22, v28, -v55
	v_fmac_f32_e32 v56, v23, v28
	;; [unrolled: 2-line block ×3, first 2 shown]
	v_mul_f32_e32 v29, v30, v29
	v_fma_f32 v26, v30, v28, -v58
	v_add_f32_e32 v7, v20, v7
	v_add_f32_e32 v20, v21, v54
	;; [unrolled: 1-line block ×6, first 2 shown]
	s_waitcnt lgkmcnt(1)
	v_mul_f32_e32 v30, v25, v47
	ds_read2_b64 v[16:19], v12 offset0:64 offset1:80
	v_fmac_f32_e32 v29, v31, v28
	v_add_f32_e32 v14, v14, v26
	v_mul_f32_e32 v26, v24, v47
	v_fma_f32 v28, v24, v46, -v30
	v_mul_f32_e32 v30, v25, v49
	v_add_f32_e32 v15, v15, v29
	v_mul_f32_e32 v29, v24, v49
	v_fmac_f32_e32 v26, v25, v46
	v_add_f32_e32 v7, v7, v28
	v_fma_f32 v24, v24, v48, -v30
	v_mul_f32_e32 v28, v33, v47
	v_fmac_f32_e32 v29, v25, v48
	v_add_f32_e32 v26, v20, v26
	v_mul_f32_e32 v20, v32, v47
	v_add_f32_e32 v24, v21, v24
	v_fma_f32 v21, v32, v46, -v28
	v_mul_f32_e32 v25, v33, v49
	v_add_f32_e32 v28, v22, v29
	v_fmac_f32_e32 v20, v33, v46
	v_mul_f32_e32 v29, v32, v49
	v_add_f32_e32 v30, v23, v21
	v_fma_f32 v21, v32, v48, -v25
	s_waitcnt lgkmcnt(0)
	v_mul_f32_e32 v22, v35, v17
	v_add_f32_e32 v25, v27, v20
	v_fmac_f32_e32 v29, v33, v48
	v_mul_f32_e32 v27, v34, v17
	v_add_f32_e32 v14, v14, v21
	v_fma_f32 v31, v34, v16, -v22
	v_mul_f32_e32 v32, v35, v19
	ds_read2_b64 v[20:23], v12 offset0:96 offset1:112
	v_fmac_f32_e32 v27, v35, v16
	v_add_f32_e32 v29, v15, v29
	v_add_f32_e32 v7, v7, v31
	v_mul_f32_e32 v15, v34, v19
	v_fma_f32 v31, v34, v18, -v32
	v_add_f32_e32 v26, v26, v27
	v_mul_f32_e32 v27, v51, v17
	v_mul_f32_e32 v17, v50, v17
	v_fmac_f32_e32 v15, v35, v18
	v_add_f32_e32 v24, v24, v31
	v_mul_f32_e32 v31, v51, v19
	v_mul_f32_e32 v19, v50, v19
	v_fmac_f32_e32 v17, v51, v16
	v_add_f32_e32 v28, v28, v15
	v_fma_f32 v27, v50, v16, -v27
	v_fma_f32 v15, v50, v18, -v31
	v_fmac_f32_e32 v19, v51, v18
	v_add_f32_e32 v31, v25, v17
	s_waitcnt lgkmcnt(0)
	v_mul_f32_e32 v18, v37, v21
	v_add_f32_e32 v32, v14, v15
	ds_read2_b64 v[14:17], v12 offset0:128 offset1:144
	v_add_f32_e32 v30, v30, v27
	v_mul_f32_e32 v25, v36, v21
	v_fma_f32 v18, v36, v20, -v18
	v_mul_f32_e32 v27, v37, v23
	v_add_f32_e32 v29, v29, v19
	v_mul_f32_e32 v19, v36, v23
	v_fmac_f32_e32 v25, v37, v20
	v_add_f32_e32 v7, v7, v18
	v_mul_f32_e32 v18, v53, v21
	v_fma_f32 v27, v36, v22, -v27
	v_fmac_f32_e32 v19, v37, v22
	v_mul_f32_e32 v21, v52, v21
	v_mul_f32_e32 v35, v53, v23
	v_fma_f32 v18, v52, v20, -v18
	v_add_f32_e32 v33, v26, v25
	v_add_f32_e32 v34, v24, v27
	ds_read_b128 v[24:27], v13 offset:1056
	v_add_f32_e32 v36, v28, v19
	v_fmac_f32_e32 v21, v53, v20
	v_mul_f32_e32 v23, v52, v23
	v_fma_f32 v19, v52, v22, -v35
	v_add_f32_e32 v35, v30, v18
	s_waitcnt lgkmcnt(1)
	v_mul_f32_e32 v18, v39, v15
	v_add_f32_e32 v37, v31, v21
	v_fmac_f32_e32 v23, v53, v22
	v_add_f32_e32 v22, v32, v19
	v_mul_f32_e32 v32, v38, v15
	v_fma_f32 v28, v38, v14, -v18
	ds_read2_b64 v[18:21], v12 offset0:160 offset1:176
	v_mul_f32_e32 v30, v39, v17
	v_mul_f32_e32 v46, v38, v17
	v_fmac_f32_e32 v32, v39, v14
	v_add_f32_e32 v23, v29, v23
	v_add_f32_e32 v7, v7, v28
	v_fma_f32 v38, v38, v16, -v30
	ds_read_b128 v[28:31], v13 offset:1072
	s_waitcnt lgkmcnt(2)
	v_mul_f32_e32 v47, v25, v15
	v_add_f32_e32 v32, v33, v32
	v_mul_f32_e32 v15, v24, v15
	v_add_f32_e32 v33, v34, v38
	v_mul_f32_e32 v38, v25, v17
	v_fmac_f32_e32 v46, v39, v16
	v_fma_f32 v34, v24, v14, -v47
	v_fmac_f32_e32 v15, v25, v14
	v_mul_f32_e32 v39, v24, v17
	v_fma_f32 v14, v24, v16, -v38
	v_add_f32_e32 v36, v36, v46
	v_add_f32_e32 v34, v35, v34
	s_waitcnt lgkmcnt(1)
	v_mul_f32_e32 v17, v41, v19
	v_add_f32_e32 v24, v37, v15
	v_fmac_f32_e32 v39, v25, v16
	v_mul_f32_e32 v25, v40, v19
	v_add_f32_e32 v22, v22, v14
	v_fma_f32 v35, v40, v18, -v17
	ds_read2_b64 v[14:17], v12 offset0:192 offset1:208
	v_mul_f32_e32 v37, v41, v21
	v_fmac_f32_e32 v25, v41, v18
	v_add_f32_e32 v38, v23, v39
	v_add_f32_e32 v7, v7, v35
	v_mul_f32_e32 v23, v40, v21
	v_fma_f32 v35, v40, v20, -v37
	v_add_f32_e32 v32, v32, v25
	v_mul_f32_e32 v25, v27, v19
	v_mul_f32_e32 v19, v26, v19
	v_fmac_f32_e32 v23, v41, v20
	v_add_f32_e32 v33, v33, v35
	v_mul_f32_e32 v35, v27, v21
	v_fma_f32 v25, v26, v18, -v25
	v_fmac_f32_e32 v19, v27, v18
	v_add_f32_e32 v18, v36, v23
	v_mul_f32_e32 v21, v26, v21
	v_fma_f32 v23, v26, v20, -v35
	v_add_f32_e32 v26, v34, v25
	v_add_f32_e32 v19, v24, v19
	s_waitcnt lgkmcnt(0)
	v_mul_f32_e32 v34, v43, v15
	v_fmac_f32_e32 v21, v27, v20
	v_add_f32_e32 v20, v22, v23
	ds_read2_b64 v[22:25], v12 offset0:224 offset1:240
	v_mul_f32_e32 v27, v42, v15
	v_fma_f32 v34, v42, v14, -v34
	v_mul_f32_e32 v35, v43, v17
	v_mul_f32_e32 v36, v42, v17
	v_add_f32_e32 v21, v38, v21
	v_fmac_f32_e32 v27, v43, v14
	v_add_f32_e32 v7, v7, v34
	v_mul_f32_e32 v34, v29, v15
	v_fma_f32 v35, v42, v16, -v35
	v_fmac_f32_e32 v36, v43, v16
	v_add_f32_e32 v27, v32, v27
	v_mul_f32_e32 v15, v28, v15
	v_fma_f32 v32, v28, v14, -v34
	v_mul_f32_e32 v34, v29, v17
	v_add_f32_e32 v33, v33, v35
	v_add_f32_e32 v35, v18, v36
	v_fmac_f32_e32 v15, v29, v14
	v_add_f32_e32 v14, v26, v32
	v_mul_f32_e32 v17, v28, v17
	v_fma_f32 v18, v28, v16, -v34
	s_waitcnt lgkmcnt(0)
	v_mul_f32_e32 v26, v45, v23
	v_mul_f32_e32 v28, v44, v23
	v_add_f32_e32 v15, v19, v15
	v_fmac_f32_e32 v17, v29, v16
	v_add_f32_e32 v29, v20, v18
	v_fma_f32 v16, v44, v22, -v26
	v_mul_f32_e32 v18, v45, v25
	v_mul_f32_e32 v19, v44, v25
	v_add_f32_e32 v26, v21, v17
	v_mul_f32_e32 v17, v30, v23
	v_add_f32_e32 v20, v7, v16
	v_fma_f32 v7, v44, v24, -v18
	v_mul_f32_e32 v16, v31, v23
	v_mul_f32_e32 v23, v31, v25
	;; [unrolled: 1-line block ×3, first 2 shown]
	v_fmac_f32_e32 v28, v45, v22
	v_fmac_f32_e32 v19, v45, v24
	v_add_f32_e32 v18, v33, v7
	v_fma_f32 v7, v30, v22, -v16
	v_fmac_f32_e32 v17, v31, v22
	v_fma_f32 v22, v30, v24, -v23
	v_fmac_f32_e32 v25, v31, v24
	v_add_f32_e32 v21, v27, v28
	v_add_f32_e32 v19, v35, v19
	;; [unrolled: 1-line block ×6, first 2 shown]
	s_barrier
	buffer_gl0_inv
	s_cbranch_scc0 .LBB380_16
.LBB380_8:                              ; =>This Inner Loop Header: Depth=1
	v_add_nc_u32_e32 v7, s9, v9
	v_cmp_le_i32_e32 vcc_lo, s13, v7
	s_or_b32 s18, s1, vcc_lo
	s_and_saveexec_b32 s19, s18
	s_xor_b32 s18, exec_lo, s19
; %bb.9:                                ;   in Loop: Header=BB380_8 Depth=1
	v_mov_b32_e32 v7, v6
	ds_write_b64 v10, v[6:7]
; %bb.10:                               ;   in Loop: Header=BB380_8 Depth=1
	s_andn2_saveexec_b32 s18, s18
	s_cbranch_execz .LBB380_12
; %bb.11:                               ;   in Loop: Header=BB380_8 Depth=1
	flat_load_dwordx2 v[22:23], v[2:3]
	s_waitcnt vmcnt(0) lgkmcnt(0)
	ds_write_b64 v10, v[22:23]
.LBB380_12:                             ;   in Loop: Header=BB380_8 Depth=1
	s_or_b32 exec_lo, exec_lo, s18
	v_add_nc_u32_e32 v7, s9, v8
	v_cmp_le_i32_e32 vcc_lo, s13, v7
	s_or_b32 s18, vcc_lo, s0
	s_and_saveexec_b32 s19, s18
	s_xor_b32 s18, exec_lo, s19
; %bb.13:                               ;   in Loop: Header=BB380_8 Depth=1
	ds_write_b32 v11, v6
; %bb.14:                               ;   in Loop: Header=BB380_8 Depth=1
	s_or_saveexec_b32 s18, s18
	v_mov_b32_e32 v7, 0
	s_xor_b32 exec_lo, exec_lo, s18
	s_cbranch_execz .LBB380_7
; %bb.15:                               ;   in Loop: Header=BB380_8 Depth=1
	flat_load_dwordx2 v[22:23], v[4:5]
	s_waitcnt vmcnt(0) lgkmcnt(0)
	v_xor_b32_e32 v7, 0x80000000, v23
	ds_write_b32 v11, v22
	s_branch .LBB380_7
.LBB380_16:
	s_clause 0x1
	s_load_dword s6, s[4:5], 0x50
	s_load_dwordx2 s[4:5], s[4:5], 0x58
	v_add_nc_u32_e32 v9, s23, v1
	v_add_nc_u32_e32 v0, s8, v0
	v_cmp_neq_f32_e64 s7, s2, 0
	v_cmp_gt_i32_e64 s0, s12, v9
	v_cmp_le_i32_e32 vcc_lo, v0, v9
	s_waitcnt lgkmcnt(0)
	v_mad_i64_i32 v[1:2], null, v9, s6, 0
	s_lshl_b64 s[4:5], s[4:5], 3
	s_add_u32 s4, s10, s4
	s_addc_u32 s5, s11, s5
	s_xor_b32 s8, s22, -1
	s_or_b32 s7, s7, s8
	v_lshlrev_b64 v[2:3], 3, v[1:2]
	v_ashrrev_i32_e32 v1, 31, v0
	v_cndmask_b32_e64 v8, 0, 1, s7
	s_and_b32 s8, s0, vcc_lo
	v_add_co_u32 v6, s1, s4, v2
	v_add_co_ci_u32_e64 v7, null, s5, v3, s1
	s_and_saveexec_b32 s1, s8
	s_cbranch_execz .LBB380_20
; %bb.17:
	v_lshlrev_b64 v[4:5], 3, v[0:1]
	v_mul_f32_e32 v2, s15, v21
	v_mul_f32_e32 v3, s14, v21
	v_fma_f32 v2, v20, s14, -v2
	v_add_co_u32 v4, vcc_lo, v6, v4
	v_fmac_f32_e32 v3, s15, v20
	v_add_co_ci_u32_e64 v5, null, v7, v5, vcc_lo
	s_andn2_b32 vcc_lo, exec_lo, s7
	s_cbranch_vccnz .LBB380_19
; %bb.18:
	flat_load_dwordx2 v[10:11], v[4:5]
	s_waitcnt vmcnt(0) lgkmcnt(0)
	v_mul_f32_e32 v12, s3, v11
	v_mul_f32_e32 v11, s2, v11
	v_fma_f32 v12, v10, s2, -v12
	v_fmac_f32_e32 v11, s3, v10
	v_add_f32_e32 v2, v2, v12
	v_add_f32_e32 v3, v3, v11
.LBB380_19:
	flat_store_dwordx2 v[4:5], v[2:3]
.LBB380_20:
	s_or_b32 exec_lo, exec_lo, s1
	v_add_nc_u32_e32 v2, 16, v0
	v_cmp_le_i32_e32 vcc_lo, v2, v9
	v_ashrrev_i32_e32 v3, 31, v2
	s_and_b32 s0, s0, vcc_lo
	s_and_saveexec_b32 s1, s0
	s_cbranch_execz .LBB380_24
; %bb.21:
	v_lshlrev_b64 v[10:11], 3, v[2:3]
	v_mul_f32_e32 v4, s15, v19
	v_mul_f32_e32 v5, s14, v19
	v_cmp_ne_u32_e32 vcc_lo, 1, v8
	v_fma_f32 v4, v18, s14, -v4
	v_add_co_u32 v6, s0, v6, v10
	v_fmac_f32_e32 v5, s15, v18
	v_add_co_ci_u32_e64 v7, null, v7, v11, s0
	s_cbranch_vccnz .LBB380_23
; %bb.22:
	flat_load_dwordx2 v[10:11], v[6:7]
	s_waitcnt vmcnt(0) lgkmcnt(0)
	v_mul_f32_e32 v12, s3, v11
	v_mul_f32_e32 v11, s2, v11
	v_fma_f32 v12, v10, s2, -v12
	v_fmac_f32_e32 v11, s3, v10
	v_add_f32_e32 v4, v4, v12
	v_add_f32_e32 v5, v5, v11
.LBB380_23:
	flat_store_dwordx2 v[6:7], v[4:5]
.LBB380_24:
	s_or_b32 exec_lo, exec_lo, s1
	v_add_nc_u32_e32 v9, 16, v9
	v_mad_i64_i32 v[4:5], null, v9, s6, 0
	v_cmp_gt_i32_e64 s0, s12, v9
	v_cmp_le_i32_e32 vcc_lo, v0, v9
	v_lshlrev_b64 v[4:5], 3, v[4:5]
	v_add_co_u32 v6, s1, s4, v4
	v_add_co_ci_u32_e64 v7, null, s5, v5, s1
	s_and_b32 s1, s0, vcc_lo
	s_and_saveexec_b32 s4, s1
	s_cbranch_execz .LBB380_28
; %bb.25:
	v_lshlrev_b64 v[0:1], 3, v[0:1]
	v_mul_f32_e32 v4, s15, v17
	v_mul_f32_e32 v5, s14, v17
	v_cmp_ne_u32_e32 vcc_lo, 1, v8
	v_fma_f32 v4, v16, s14, -v4
	v_add_co_u32 v0, s1, v6, v0
	v_fmac_f32_e32 v5, s15, v16
	v_add_co_ci_u32_e64 v1, null, v7, v1, s1
	s_cbranch_vccnz .LBB380_27
; %bb.26:
	flat_load_dwordx2 v[10:11], v[0:1]
	s_waitcnt vmcnt(0) lgkmcnt(0)
	v_mul_f32_e32 v12, s3, v11
	v_mul_f32_e32 v11, s2, v11
	v_fma_f32 v12, v10, s2, -v12
	v_fmac_f32_e32 v11, s3, v10
	v_add_f32_e32 v4, v4, v12
	v_add_f32_e32 v5, v5, v11
.LBB380_27:
	flat_store_dwordx2 v[0:1], v[4:5]
.LBB380_28:
	s_or_b32 exec_lo, exec_lo, s4
	v_cmp_le_i32_e32 vcc_lo, v2, v9
	s_and_b32 s0, s0, vcc_lo
	s_and_saveexec_b32 s1, s0
	s_cbranch_execz .LBB380_32
; %bb.29:
	v_lshlrev_b64 v[2:3], 3, v[2:3]
	v_mul_f32_e32 v0, s15, v15
	v_mul_f32_e32 v1, s14, v15
	v_cmp_ne_u32_e32 vcc_lo, 1, v8
	v_fma_f32 v0, v14, s14, -v0
	v_add_co_u32 v2, s0, v6, v2
	v_fmac_f32_e32 v1, s15, v14
	v_add_co_ci_u32_e64 v3, null, v7, v3, s0
	s_cbranch_vccnz .LBB380_31
; %bb.30:
	flat_load_dwordx2 v[4:5], v[2:3]
	s_waitcnt vmcnt(0) lgkmcnt(0)
	v_mul_f32_e32 v6, s3, v5
	v_mul_f32_e32 v5, s2, v5
	v_fma_f32 v6, v4, s2, -v6
	v_fmac_f32_e32 v5, s3, v4
	v_add_f32_e32 v0, v0, v6
	v_add_f32_e32 v1, v1, v5
.LBB380_31:
	flat_store_dwordx2 v[2:3], v[0:1]
.LBB380_32:
	s_endpgm
	.section	.rodata,"a",@progbits
	.p2align	6, 0x0
	.amdhsa_kernel _ZL29rocblas_internal_gemmt_kernelIiLi16ELi32ELi8ELc78ELc67ELc85ELb0ELb1E19rocblas_complex_numIfES1_PKPKS1_PKPS1_EviT_T9_T10_S9_lSB_S9_lSA_T11_S9_li
		.amdhsa_group_segment_fixed_size 4096
		.amdhsa_private_segment_fixed_size 0
		.amdhsa_kernarg_size 100
		.amdhsa_user_sgpr_count 6
		.amdhsa_user_sgpr_private_segment_buffer 1
		.amdhsa_user_sgpr_dispatch_ptr 0
		.amdhsa_user_sgpr_queue_ptr 0
		.amdhsa_user_sgpr_kernarg_segment_ptr 1
		.amdhsa_user_sgpr_dispatch_id 0
		.amdhsa_user_sgpr_flat_scratch_init 0
		.amdhsa_user_sgpr_private_segment_size 0
		.amdhsa_wavefront_size32 1
		.amdhsa_uses_dynamic_stack 0
		.amdhsa_system_sgpr_private_segment_wavefront_offset 0
		.amdhsa_system_sgpr_workgroup_id_x 1
		.amdhsa_system_sgpr_workgroup_id_y 1
		.amdhsa_system_sgpr_workgroup_id_z 1
		.amdhsa_system_sgpr_workgroup_info 0
		.amdhsa_system_vgpr_workitem_id 1
		.amdhsa_next_free_vgpr 59
		.amdhsa_next_free_sgpr 28
		.amdhsa_reserve_vcc 1
		.amdhsa_reserve_flat_scratch 0
		.amdhsa_float_round_mode_32 0
		.amdhsa_float_round_mode_16_64 0
		.amdhsa_float_denorm_mode_32 3
		.amdhsa_float_denorm_mode_16_64 3
		.amdhsa_dx10_clamp 1
		.amdhsa_ieee_mode 1
		.amdhsa_fp16_overflow 0
		.amdhsa_workgroup_processor_mode 1
		.amdhsa_memory_ordered 1
		.amdhsa_forward_progress 1
		.amdhsa_shared_vgpr_count 0
		.amdhsa_exception_fp_ieee_invalid_op 0
		.amdhsa_exception_fp_denorm_src 0
		.amdhsa_exception_fp_ieee_div_zero 0
		.amdhsa_exception_fp_ieee_overflow 0
		.amdhsa_exception_fp_ieee_underflow 0
		.amdhsa_exception_fp_ieee_inexact 0
		.amdhsa_exception_int_div_zero 0
	.end_amdhsa_kernel
	.section	.text._ZL29rocblas_internal_gemmt_kernelIiLi16ELi32ELi8ELc78ELc67ELc85ELb0ELb1E19rocblas_complex_numIfES1_PKPKS1_PKPS1_EviT_T9_T10_S9_lSB_S9_lSA_T11_S9_li,"axG",@progbits,_ZL29rocblas_internal_gemmt_kernelIiLi16ELi32ELi8ELc78ELc67ELc85ELb0ELb1E19rocblas_complex_numIfES1_PKPKS1_PKPS1_EviT_T9_T10_S9_lSB_S9_lSA_T11_S9_li,comdat
.Lfunc_end380:
	.size	_ZL29rocblas_internal_gemmt_kernelIiLi16ELi32ELi8ELc78ELc67ELc85ELb0ELb1E19rocblas_complex_numIfES1_PKPKS1_PKPS1_EviT_T9_T10_S9_lSB_S9_lSA_T11_S9_li, .Lfunc_end380-_ZL29rocblas_internal_gemmt_kernelIiLi16ELi32ELi8ELc78ELc67ELc85ELb0ELb1E19rocblas_complex_numIfES1_PKPKS1_PKPS1_EviT_T9_T10_S9_lSB_S9_lSA_T11_S9_li
                                        ; -- End function
	.set _ZL29rocblas_internal_gemmt_kernelIiLi16ELi32ELi8ELc78ELc67ELc85ELb0ELb1E19rocblas_complex_numIfES1_PKPKS1_PKPS1_EviT_T9_T10_S9_lSB_S9_lSA_T11_S9_li.num_vgpr, 59
	.set _ZL29rocblas_internal_gemmt_kernelIiLi16ELi32ELi8ELc78ELc67ELc85ELb0ELb1E19rocblas_complex_numIfES1_PKPKS1_PKPS1_EviT_T9_T10_S9_lSB_S9_lSA_T11_S9_li.num_agpr, 0
	.set _ZL29rocblas_internal_gemmt_kernelIiLi16ELi32ELi8ELc78ELc67ELc85ELb0ELb1E19rocblas_complex_numIfES1_PKPKS1_PKPS1_EviT_T9_T10_S9_lSB_S9_lSA_T11_S9_li.numbered_sgpr, 28
	.set _ZL29rocblas_internal_gemmt_kernelIiLi16ELi32ELi8ELc78ELc67ELc85ELb0ELb1E19rocblas_complex_numIfES1_PKPKS1_PKPS1_EviT_T9_T10_S9_lSB_S9_lSA_T11_S9_li.num_named_barrier, 0
	.set _ZL29rocblas_internal_gemmt_kernelIiLi16ELi32ELi8ELc78ELc67ELc85ELb0ELb1E19rocblas_complex_numIfES1_PKPKS1_PKPS1_EviT_T9_T10_S9_lSB_S9_lSA_T11_S9_li.private_seg_size, 0
	.set _ZL29rocblas_internal_gemmt_kernelIiLi16ELi32ELi8ELc78ELc67ELc85ELb0ELb1E19rocblas_complex_numIfES1_PKPKS1_PKPS1_EviT_T9_T10_S9_lSB_S9_lSA_T11_S9_li.uses_vcc, 1
	.set _ZL29rocblas_internal_gemmt_kernelIiLi16ELi32ELi8ELc78ELc67ELc85ELb0ELb1E19rocblas_complex_numIfES1_PKPKS1_PKPS1_EviT_T9_T10_S9_lSB_S9_lSA_T11_S9_li.uses_flat_scratch, 0
	.set _ZL29rocblas_internal_gemmt_kernelIiLi16ELi32ELi8ELc78ELc67ELc85ELb0ELb1E19rocblas_complex_numIfES1_PKPKS1_PKPS1_EviT_T9_T10_S9_lSB_S9_lSA_T11_S9_li.has_dyn_sized_stack, 0
	.set _ZL29rocblas_internal_gemmt_kernelIiLi16ELi32ELi8ELc78ELc67ELc85ELb0ELb1E19rocblas_complex_numIfES1_PKPKS1_PKPS1_EviT_T9_T10_S9_lSB_S9_lSA_T11_S9_li.has_recursion, 0
	.set _ZL29rocblas_internal_gemmt_kernelIiLi16ELi32ELi8ELc78ELc67ELc85ELb0ELb1E19rocblas_complex_numIfES1_PKPKS1_PKPS1_EviT_T9_T10_S9_lSB_S9_lSA_T11_S9_li.has_indirect_call, 0
	.section	.AMDGPU.csdata,"",@progbits
; Kernel info:
; codeLenInByte = 2560
; TotalNumSgprs: 30
; NumVgprs: 59
; ScratchSize: 0
; MemoryBound: 1
; FloatMode: 240
; IeeeMode: 1
; LDSByteSize: 4096 bytes/workgroup (compile time only)
; SGPRBlocks: 0
; VGPRBlocks: 7
; NumSGPRsForWavesPerEU: 30
; NumVGPRsForWavesPerEU: 59
; Occupancy: 16
; WaveLimiterHint : 1
; COMPUTE_PGM_RSRC2:SCRATCH_EN: 0
; COMPUTE_PGM_RSRC2:USER_SGPR: 6
; COMPUTE_PGM_RSRC2:TRAP_HANDLER: 0
; COMPUTE_PGM_RSRC2:TGID_X_EN: 1
; COMPUTE_PGM_RSRC2:TGID_Y_EN: 1
; COMPUTE_PGM_RSRC2:TGID_Z_EN: 1
; COMPUTE_PGM_RSRC2:TIDIG_COMP_CNT: 1
	.section	.text._ZL29rocblas_internal_gemmt_kernelIiLi16ELi32ELi8ELc84ELc78ELc85ELb0ELb0E19rocblas_complex_numIfES1_PKPKS1_PKPS1_EviT_T9_T10_S9_lSB_S9_lSA_T11_S9_li,"axG",@progbits,_ZL29rocblas_internal_gemmt_kernelIiLi16ELi32ELi8ELc84ELc78ELc85ELb0ELb0E19rocblas_complex_numIfES1_PKPKS1_PKPS1_EviT_T9_T10_S9_lSB_S9_lSA_T11_S9_li,comdat
	.globl	_ZL29rocblas_internal_gemmt_kernelIiLi16ELi32ELi8ELc84ELc78ELc85ELb0ELb0E19rocblas_complex_numIfES1_PKPKS1_PKPS1_EviT_T9_T10_S9_lSB_S9_lSA_T11_S9_li ; -- Begin function _ZL29rocblas_internal_gemmt_kernelIiLi16ELi32ELi8ELc84ELc78ELc85ELb0ELb0E19rocblas_complex_numIfES1_PKPKS1_PKPS1_EviT_T9_T10_S9_lSB_S9_lSA_T11_S9_li
	.p2align	8
	.type	_ZL29rocblas_internal_gemmt_kernelIiLi16ELi32ELi8ELc84ELc78ELc85ELb0ELb0E19rocblas_complex_numIfES1_PKPKS1_PKPS1_EviT_T9_T10_S9_lSB_S9_lSA_T11_S9_li,@function
_ZL29rocblas_internal_gemmt_kernelIiLi16ELi32ELi8ELc84ELc78ELc85ELb0ELb0E19rocblas_complex_numIfES1_PKPKS1_PKPS1_EviT_T9_T10_S9_lSB_S9_lSA_T11_S9_li: ; @_ZL29rocblas_internal_gemmt_kernelIiLi16ELi32ELi8ELc84ELc78ELc85ELb0ELb0E19rocblas_complex_numIfES1_PKPKS1_PKPS1_EviT_T9_T10_S9_lSB_S9_lSA_T11_S9_li
; %bb.0:
	s_clause 0x1
	s_load_dwordx2 s[2:3], s[4:5], 0x40
	s_load_dwordx4 s[12:15], s[4:5], 0x0
	s_waitcnt lgkmcnt(0)
	s_and_b32 s0, s3, 0x7fffffff
	v_cmp_eq_f32_e64 s1, s2, 1.0
	s_cmp_eq_u32 s0, 0
	s_mov_b32 s0, 0
	s_cselect_b32 s20, -1, 0
	s_and_b32 s1, s1, s20
	s_andn2_b32 vcc_lo, exec_lo, s1
	s_mov_b32 s1, -1
	s_cbranch_vccnz .LBB381_4
; %bb.1:
	s_cmp_lg_u32 s13, 0
	s_cbranch_scc0 .LBB381_3
; %bb.2:
	v_cmp_neq_f32_e64 s0, s14, 0
	v_cmp_neq_f32_e64 s1, s15, 0
	s_or_b32 s0, s0, s1
.LBB381_3:
	s_mov_b32 s1, s0
.LBB381_4:
	s_and_b32 vcc_lo, exec_lo, s1
	s_cbranch_vccz .LBB381_32
; %bb.5:
	s_load_dwordx2 s[10:11], s[4:5], 0x48
	s_mov_b32 s9, 0
	v_cmp_eq_f32_e64 s16, s14, 0
	s_lshl_b64 s[0:1], s[8:9], 3
	v_cmp_eq_f32_e64 s8, s15, 0
	v_mov_b32_e32 v20, 0
	v_mov_b32_e32 v21, 0
	;; [unrolled: 1-line block ×8, first 2 shown]
	s_waitcnt lgkmcnt(0)
	s_add_u32 s10, s10, s0
	s_addc_u32 s11, s11, s1
	s_lshl_b32 s6, s6, 5
	s_load_dwordx2 s[10:11], s[10:11], 0x0
	s_lshl_b32 s7, s7, 5
	s_and_b32 s8, s16, s8
	s_cmp_lt_i32 s13, 1
	s_cselect_b32 s16, -1, 0
	s_or_b32 s8, s8, s16
	s_and_b32 vcc_lo, exec_lo, s8
	s_cbranch_vccnz .LBB381_16
; %bb.6:
	s_clause 0x4
	s_load_dwordx4 s[16:19], s[4:5], 0x20
	s_load_dword s8, s[4:5], 0x18
	s_load_dwordx2 s[22:23], s[4:5], 0x10
	s_load_dword s21, s[4:5], 0x30
	s_load_dwordx2 s[24:25], s[4:5], 0x38
	v_lshl_add_u32 v2, v1, 4, v0
	v_and_b32_e32 v8, 7, v0
	v_lshlrev_b32_e32 v12, 3, v0
	v_lshl_add_u32 v13, v1, 6, 0x800
	v_mov_b32_e32 v15, 0
	v_and_b32_e32 v3, 31, v2
	v_lshrrev_b32_e32 v4, 3, v2
	v_lshrrev_b32_e32 v9, 5, v2
	v_lshlrev_b32_e32 v6, 3, v8
	v_mov_b32_e32 v17, 0
	v_or_b32_e32 v2, s6, v3
	v_lshlrev_b32_e32 v10, 3, v3
	v_add_nc_u32_e32 v3, s6, v3
	v_add_nc_u32_e32 v7, s7, v4
	v_lshl_or_b32 v11, v4, 6, v6
	v_cmp_gt_i32_e32 vcc_lo, s12, v2
	s_waitcnt lgkmcnt(0)
	s_add_u32 s18, s18, s0
	v_mad_i64_i32 v[2:3], null, s8, v3, 0
	s_addc_u32 s19, s19, s1
	s_add_u32 s0, s22, s0
	v_mad_i64_i32 v[4:5], null, s21, v7, 0
	s_addc_u32 s1, s23, s1
	s_load_dwordx2 s[18:19], s[18:19], 0x0
	s_load_dwordx2 s[22:23], s[0:1], 0x0
	v_lshlrev_b64 v[2:3], 3, v[2:3]
	s_lshl_b64 s[16:17], s[16:17], 3
	v_cmp_gt_i32_e64 s0, s12, v7
	v_lshlrev_b32_e32 v14, 3, v9
	v_lshlrev_b64 v[4:5], 3, v[4:5]
	v_lshl_or_b32 v10, v9, 8, v10
	v_add_co_u32 v7, s1, v2, s16
	v_add_co_ci_u32_e64 v3, null, s17, v3, s1
	s_lshl_b64 s[16:17], s[24:25], 3
	v_add_nc_u32_e32 v11, 0x800, v11
	v_add_co_u32 v4, s1, v4, s16
	v_add_co_ci_u32_e64 v5, null, s17, v5, s1
	v_add_co_u32 v7, s1, v7, v14
	v_add_co_ci_u32_e64 v3, null, 0, v3, s1
	;; [unrolled: 2-line block ×3, first 2 shown]
	s_waitcnt lgkmcnt(0)
	v_add_co_u32 v4, s1, s22, v7
	v_add_co_ci_u32_e64 v5, null, s23, v3, s1
	v_add_co_u32 v6, s1, s18, v6
	v_mov_b32_e32 v2, 0
	v_add_co_ci_u32_e64 v7, null, s19, v14, s1
	v_mov_b32_e32 v14, 0
	v_mov_b32_e32 v16, 0
	;; [unrolled: 1-line block ×6, first 2 shown]
	s_xor_b32 s1, vcc_lo, -1
	s_xor_b32 s0, s0, -1
	s_branch .LBB381_8
.LBB381_7:                              ;   in Loop: Header=BB381_8 Depth=1
	s_or_b32 exec_lo, exec_lo, s8
	s_waitcnt lgkmcnt(0)
	s_barrier
	buffer_gl0_inv
	ds_read_b128 v[22:25], v13
	ds_read2_b64 v[26:29], v12 offset1:16
	ds_read_b128 v[30:33], v13 offset:1024
	ds_read_b128 v[34:37], v13 offset:16
	;; [unrolled: 1-line block ×4, first 2 shown]
	ds_read2_b64 v[46:49], v12 offset0:32 offset1:48
	ds_read_b128 v[50:53], v13 offset:1040
	v_add_co_u32 v4, vcc_lo, v4, 64
	v_add_co_ci_u32_e64 v5, null, 0, v5, vcc_lo
	v_add_co_u32 v6, vcc_lo, v6, 64
	v_add_co_ci_u32_e64 v7, null, 0, v7, vcc_lo
	s_add_i32 s9, s9, 8
	s_cmp_lt_i32 s9, s13
	s_waitcnt lgkmcnt(6)
	v_mul_f32_e32 v3, v23, v27
	v_mul_f32_e32 v54, v22, v27
	;; [unrolled: 1-line block ×4, first 2 shown]
	s_waitcnt lgkmcnt(5)
	v_mul_f32_e32 v57, v31, v27
	v_mul_f32_e32 v27, v30, v27
	v_mul_f32_e32 v58, v31, v29
	v_fma_f32 v3, v22, v26, -v3
	v_fmac_f32_e32 v54, v23, v26
	v_fma_f32 v22, v22, v28, -v55
	v_fmac_f32_e32 v56, v23, v28
	;; [unrolled: 2-line block ×3, first 2 shown]
	v_mul_f32_e32 v29, v30, v29
	v_fma_f32 v26, v30, v28, -v58
	v_add_f32_e32 v3, v20, v3
	v_add_f32_e32 v20, v21, v54
	;; [unrolled: 1-line block ×6, first 2 shown]
	s_waitcnt lgkmcnt(1)
	v_mul_f32_e32 v30, v25, v47
	ds_read2_b64 v[16:19], v12 offset0:64 offset1:80
	v_fmac_f32_e32 v29, v31, v28
	v_add_f32_e32 v14, v14, v26
	v_mul_f32_e32 v26, v24, v47
	v_fma_f32 v28, v24, v46, -v30
	v_mul_f32_e32 v30, v25, v49
	v_add_f32_e32 v15, v15, v29
	v_mul_f32_e32 v29, v24, v49
	v_fmac_f32_e32 v26, v25, v46
	v_add_f32_e32 v3, v3, v28
	v_fma_f32 v24, v24, v48, -v30
	v_mul_f32_e32 v28, v33, v47
	v_fmac_f32_e32 v29, v25, v48
	v_add_f32_e32 v26, v20, v26
	v_mul_f32_e32 v20, v32, v47
	v_add_f32_e32 v24, v21, v24
	v_fma_f32 v21, v32, v46, -v28
	v_mul_f32_e32 v25, v33, v49
	v_add_f32_e32 v28, v22, v29
	v_fmac_f32_e32 v20, v33, v46
	v_mul_f32_e32 v29, v32, v49
	v_add_f32_e32 v30, v23, v21
	v_fma_f32 v21, v32, v48, -v25
	s_waitcnt lgkmcnt(0)
	v_mul_f32_e32 v22, v35, v17
	v_add_f32_e32 v25, v27, v20
	v_fmac_f32_e32 v29, v33, v48
	v_mul_f32_e32 v27, v34, v17
	v_add_f32_e32 v14, v14, v21
	v_fma_f32 v31, v34, v16, -v22
	v_mul_f32_e32 v32, v35, v19
	ds_read2_b64 v[20:23], v12 offset0:96 offset1:112
	v_fmac_f32_e32 v27, v35, v16
	v_add_f32_e32 v29, v15, v29
	v_add_f32_e32 v3, v3, v31
	v_mul_f32_e32 v15, v34, v19
	v_fma_f32 v31, v34, v18, -v32
	v_add_f32_e32 v26, v26, v27
	v_mul_f32_e32 v27, v51, v17
	v_mul_f32_e32 v17, v50, v17
	v_fmac_f32_e32 v15, v35, v18
	v_add_f32_e32 v24, v24, v31
	v_mul_f32_e32 v31, v51, v19
	v_mul_f32_e32 v19, v50, v19
	v_fmac_f32_e32 v17, v51, v16
	v_add_f32_e32 v28, v28, v15
	v_fma_f32 v27, v50, v16, -v27
	v_fma_f32 v15, v50, v18, -v31
	v_fmac_f32_e32 v19, v51, v18
	v_add_f32_e32 v31, v25, v17
	s_waitcnt lgkmcnt(0)
	v_mul_f32_e32 v18, v37, v21
	v_add_f32_e32 v32, v14, v15
	ds_read2_b64 v[14:17], v12 offset0:128 offset1:144
	v_add_f32_e32 v30, v30, v27
	v_mul_f32_e32 v25, v36, v21
	v_fma_f32 v18, v36, v20, -v18
	v_mul_f32_e32 v27, v37, v23
	v_add_f32_e32 v29, v29, v19
	v_mul_f32_e32 v19, v36, v23
	v_fmac_f32_e32 v25, v37, v20
	v_add_f32_e32 v3, v3, v18
	v_mul_f32_e32 v18, v53, v21
	v_fma_f32 v27, v36, v22, -v27
	v_fmac_f32_e32 v19, v37, v22
	v_mul_f32_e32 v21, v52, v21
	v_mul_f32_e32 v35, v53, v23
	v_fma_f32 v18, v52, v20, -v18
	v_add_f32_e32 v33, v26, v25
	v_add_f32_e32 v34, v24, v27
	ds_read_b128 v[24:27], v13 offset:1056
	v_add_f32_e32 v36, v28, v19
	v_fmac_f32_e32 v21, v53, v20
	v_mul_f32_e32 v23, v52, v23
	v_fma_f32 v19, v52, v22, -v35
	v_add_f32_e32 v35, v30, v18
	s_waitcnt lgkmcnt(1)
	v_mul_f32_e32 v18, v39, v15
	v_add_f32_e32 v37, v31, v21
	v_fmac_f32_e32 v23, v53, v22
	v_add_f32_e32 v22, v32, v19
	v_mul_f32_e32 v32, v38, v15
	v_fma_f32 v28, v38, v14, -v18
	ds_read2_b64 v[18:21], v12 offset0:160 offset1:176
	v_mul_f32_e32 v30, v39, v17
	v_mul_f32_e32 v46, v38, v17
	v_fmac_f32_e32 v32, v39, v14
	v_add_f32_e32 v23, v29, v23
	v_add_f32_e32 v3, v3, v28
	v_fma_f32 v38, v38, v16, -v30
	ds_read_b128 v[28:31], v13 offset:1072
	s_waitcnt lgkmcnt(2)
	v_mul_f32_e32 v47, v25, v15
	v_add_f32_e32 v32, v33, v32
	v_mul_f32_e32 v15, v24, v15
	v_add_f32_e32 v33, v34, v38
	v_mul_f32_e32 v38, v25, v17
	v_fmac_f32_e32 v46, v39, v16
	v_fma_f32 v34, v24, v14, -v47
	v_fmac_f32_e32 v15, v25, v14
	v_mul_f32_e32 v39, v24, v17
	v_fma_f32 v14, v24, v16, -v38
	v_add_f32_e32 v36, v36, v46
	v_add_f32_e32 v34, v35, v34
	s_waitcnt lgkmcnt(1)
	v_mul_f32_e32 v17, v41, v19
	v_add_f32_e32 v24, v37, v15
	v_fmac_f32_e32 v39, v25, v16
	v_mul_f32_e32 v25, v40, v19
	v_add_f32_e32 v22, v22, v14
	v_fma_f32 v35, v40, v18, -v17
	ds_read2_b64 v[14:17], v12 offset0:192 offset1:208
	v_mul_f32_e32 v37, v41, v21
	v_fmac_f32_e32 v25, v41, v18
	v_add_f32_e32 v38, v23, v39
	v_add_f32_e32 v3, v3, v35
	v_mul_f32_e32 v23, v40, v21
	v_fma_f32 v35, v40, v20, -v37
	v_add_f32_e32 v32, v32, v25
	v_mul_f32_e32 v25, v27, v19
	v_mul_f32_e32 v19, v26, v19
	v_fmac_f32_e32 v23, v41, v20
	v_add_f32_e32 v33, v33, v35
	v_mul_f32_e32 v35, v27, v21
	v_fma_f32 v25, v26, v18, -v25
	v_fmac_f32_e32 v19, v27, v18
	v_add_f32_e32 v18, v36, v23
	v_mul_f32_e32 v21, v26, v21
	v_fma_f32 v23, v26, v20, -v35
	v_add_f32_e32 v26, v34, v25
	v_add_f32_e32 v19, v24, v19
	s_waitcnt lgkmcnt(0)
	v_mul_f32_e32 v34, v43, v15
	v_fmac_f32_e32 v21, v27, v20
	v_add_f32_e32 v20, v22, v23
	ds_read2_b64 v[22:25], v12 offset0:224 offset1:240
	v_mul_f32_e32 v27, v42, v15
	v_fma_f32 v34, v42, v14, -v34
	v_mul_f32_e32 v35, v43, v17
	v_mul_f32_e32 v36, v42, v17
	v_add_f32_e32 v21, v38, v21
	v_fmac_f32_e32 v27, v43, v14
	v_add_f32_e32 v3, v3, v34
	v_mul_f32_e32 v34, v29, v15
	v_fma_f32 v35, v42, v16, -v35
	v_fmac_f32_e32 v36, v43, v16
	v_add_f32_e32 v27, v32, v27
	v_mul_f32_e32 v15, v28, v15
	v_fma_f32 v32, v28, v14, -v34
	v_mul_f32_e32 v34, v29, v17
	v_add_f32_e32 v33, v33, v35
	v_add_f32_e32 v35, v18, v36
	v_fmac_f32_e32 v15, v29, v14
	v_add_f32_e32 v14, v26, v32
	v_mul_f32_e32 v17, v28, v17
	v_fma_f32 v18, v28, v16, -v34
	s_waitcnt lgkmcnt(0)
	v_mul_f32_e32 v26, v45, v23
	v_mul_f32_e32 v28, v44, v23
	v_add_f32_e32 v15, v19, v15
	v_fmac_f32_e32 v17, v29, v16
	v_add_f32_e32 v29, v20, v18
	v_fma_f32 v16, v44, v22, -v26
	v_mul_f32_e32 v18, v45, v25
	v_mul_f32_e32 v19, v44, v25
	v_add_f32_e32 v26, v21, v17
	v_mul_f32_e32 v17, v30, v23
	v_add_f32_e32 v20, v3, v16
	v_fma_f32 v3, v44, v24, -v18
	v_mul_f32_e32 v16, v31, v23
	v_mul_f32_e32 v23, v31, v25
	;; [unrolled: 1-line block ×3, first 2 shown]
	v_fmac_f32_e32 v28, v45, v22
	v_fmac_f32_e32 v19, v45, v24
	v_add_f32_e32 v18, v33, v3
	v_fma_f32 v3, v30, v22, -v16
	v_fmac_f32_e32 v17, v31, v22
	v_fma_f32 v22, v30, v24, -v23
	v_fmac_f32_e32 v25, v31, v24
	v_add_f32_e32 v21, v27, v28
	v_add_f32_e32 v19, v35, v19
	;; [unrolled: 1-line block ×6, first 2 shown]
	s_barrier
	buffer_gl0_inv
	s_cbranch_scc0 .LBB381_16
.LBB381_8:                              ; =>This Inner Loop Header: Depth=1
	v_add_nc_u32_e32 v3, s9, v9
	v_cmp_le_i32_e32 vcc_lo, s13, v3
	s_or_b32 s8, s1, vcc_lo
	s_and_saveexec_b32 s16, s8
	s_xor_b32 s8, exec_lo, s16
; %bb.9:                                ;   in Loop: Header=BB381_8 Depth=1
	v_mov_b32_e32 v3, v2
	ds_write_b64 v10, v[2:3]
; %bb.10:                               ;   in Loop: Header=BB381_8 Depth=1
	s_andn2_saveexec_b32 s8, s8
	s_cbranch_execz .LBB381_12
; %bb.11:                               ;   in Loop: Header=BB381_8 Depth=1
	flat_load_dwordx2 v[22:23], v[4:5]
	s_waitcnt vmcnt(0) lgkmcnt(0)
	ds_write_b64 v10, v[22:23]
.LBB381_12:                             ;   in Loop: Header=BB381_8 Depth=1
	s_or_b32 exec_lo, exec_lo, s8
	v_add_nc_u32_e32 v3, s9, v8
	v_cmp_le_i32_e32 vcc_lo, s13, v3
	s_or_b32 s8, vcc_lo, s0
	s_and_saveexec_b32 s16, s8
	s_xor_b32 s8, exec_lo, s16
; %bb.13:                               ;   in Loop: Header=BB381_8 Depth=1
	v_mov_b32_e32 v3, v2
	ds_write_b64 v11, v[2:3]
; %bb.14:                               ;   in Loop: Header=BB381_8 Depth=1
	s_andn2_saveexec_b32 s8, s8
	s_cbranch_execz .LBB381_7
; %bb.15:                               ;   in Loop: Header=BB381_8 Depth=1
	flat_load_dwordx2 v[22:23], v[6:7]
	s_waitcnt vmcnt(0) lgkmcnt(0)
	ds_write_b64 v11, v[22:23]
	s_branch .LBB381_7
.LBB381_16:
	s_clause 0x1
	s_load_dword s8, s[4:5], 0x50
	s_load_dwordx2 s[4:5], s[4:5], 0x58
	v_add_nc_u32_e32 v9, s7, v1
	v_add_nc_u32_e32 v0, s6, v0
	v_cmp_neq_f32_e64 s6, s2, 0
	v_cmp_gt_i32_e64 s0, s12, v9
	v_cmp_le_i32_e32 vcc_lo, v0, v9
	s_waitcnt lgkmcnt(0)
	v_mad_i64_i32 v[1:2], null, v9, s8, 0
	s_lshl_b64 s[4:5], s[4:5], 3
	s_add_u32 s4, s10, s4
	s_addc_u32 s5, s11, s5
	s_xor_b32 s7, s20, -1
	s_or_b32 s6, s6, s7
	v_lshlrev_b64 v[2:3], 3, v[1:2]
	v_ashrrev_i32_e32 v1, 31, v0
	v_cndmask_b32_e64 v8, 0, 1, s6
	s_and_b32 s7, s0, vcc_lo
	v_add_co_u32 v6, s1, s4, v2
	v_add_co_ci_u32_e64 v7, null, s5, v3, s1
	s_and_saveexec_b32 s1, s7
	s_cbranch_execz .LBB381_20
; %bb.17:
	v_lshlrev_b64 v[4:5], 3, v[0:1]
	v_mul_f32_e32 v2, s15, v21
	v_mul_f32_e32 v3, s14, v21
	v_fma_f32 v2, v20, s14, -v2
	v_add_co_u32 v4, vcc_lo, v6, v4
	v_fmac_f32_e32 v3, s15, v20
	v_add_co_ci_u32_e64 v5, null, v7, v5, vcc_lo
	s_andn2_b32 vcc_lo, exec_lo, s6
	s_cbranch_vccnz .LBB381_19
; %bb.18:
	flat_load_dwordx2 v[10:11], v[4:5]
	s_waitcnt vmcnt(0) lgkmcnt(0)
	v_mul_f32_e32 v12, s3, v11
	v_mul_f32_e32 v11, s2, v11
	v_fma_f32 v12, v10, s2, -v12
	v_fmac_f32_e32 v11, s3, v10
	v_add_f32_e32 v2, v2, v12
	v_add_f32_e32 v3, v3, v11
.LBB381_19:
	flat_store_dwordx2 v[4:5], v[2:3]
.LBB381_20:
	s_or_b32 exec_lo, exec_lo, s1
	v_add_nc_u32_e32 v2, 16, v0
	v_cmp_le_i32_e32 vcc_lo, v2, v9
	v_ashrrev_i32_e32 v3, 31, v2
	s_and_b32 s0, s0, vcc_lo
	s_and_saveexec_b32 s1, s0
	s_cbranch_execz .LBB381_24
; %bb.21:
	v_lshlrev_b64 v[10:11], 3, v[2:3]
	v_mul_f32_e32 v4, s15, v19
	v_mul_f32_e32 v5, s14, v19
	v_cmp_ne_u32_e32 vcc_lo, 1, v8
	v_fma_f32 v4, v18, s14, -v4
	v_add_co_u32 v6, s0, v6, v10
	v_fmac_f32_e32 v5, s15, v18
	v_add_co_ci_u32_e64 v7, null, v7, v11, s0
	s_cbranch_vccnz .LBB381_23
; %bb.22:
	flat_load_dwordx2 v[10:11], v[6:7]
	s_waitcnt vmcnt(0) lgkmcnt(0)
	v_mul_f32_e32 v12, s3, v11
	v_mul_f32_e32 v11, s2, v11
	v_fma_f32 v12, v10, s2, -v12
	v_fmac_f32_e32 v11, s3, v10
	v_add_f32_e32 v4, v4, v12
	v_add_f32_e32 v5, v5, v11
.LBB381_23:
	flat_store_dwordx2 v[6:7], v[4:5]
.LBB381_24:
	s_or_b32 exec_lo, exec_lo, s1
	v_add_nc_u32_e32 v9, 16, v9
	v_mad_i64_i32 v[4:5], null, v9, s8, 0
	v_cmp_gt_i32_e64 s0, s12, v9
	v_cmp_le_i32_e32 vcc_lo, v0, v9
	v_lshlrev_b64 v[4:5], 3, v[4:5]
	v_add_co_u32 v6, s1, s4, v4
	v_add_co_ci_u32_e64 v7, null, s5, v5, s1
	s_and_b32 s1, s0, vcc_lo
	s_and_saveexec_b32 s4, s1
	s_cbranch_execz .LBB381_28
; %bb.25:
	v_lshlrev_b64 v[0:1], 3, v[0:1]
	v_mul_f32_e32 v4, s15, v17
	v_mul_f32_e32 v5, s14, v17
	v_cmp_ne_u32_e32 vcc_lo, 1, v8
	v_fma_f32 v4, v16, s14, -v4
	v_add_co_u32 v0, s1, v6, v0
	v_fmac_f32_e32 v5, s15, v16
	v_add_co_ci_u32_e64 v1, null, v7, v1, s1
	s_cbranch_vccnz .LBB381_27
; %bb.26:
	flat_load_dwordx2 v[10:11], v[0:1]
	s_waitcnt vmcnt(0) lgkmcnt(0)
	v_mul_f32_e32 v12, s3, v11
	v_mul_f32_e32 v11, s2, v11
	v_fma_f32 v12, v10, s2, -v12
	v_fmac_f32_e32 v11, s3, v10
	v_add_f32_e32 v4, v4, v12
	v_add_f32_e32 v5, v5, v11
.LBB381_27:
	flat_store_dwordx2 v[0:1], v[4:5]
.LBB381_28:
	s_or_b32 exec_lo, exec_lo, s4
	v_cmp_le_i32_e32 vcc_lo, v2, v9
	s_and_b32 s0, s0, vcc_lo
	s_and_saveexec_b32 s1, s0
	s_cbranch_execz .LBB381_32
; %bb.29:
	v_lshlrev_b64 v[2:3], 3, v[2:3]
	v_mul_f32_e32 v0, s15, v15
	v_mul_f32_e32 v1, s14, v15
	v_cmp_ne_u32_e32 vcc_lo, 1, v8
	v_fma_f32 v0, v14, s14, -v0
	v_add_co_u32 v2, s0, v6, v2
	v_fmac_f32_e32 v1, s15, v14
	v_add_co_ci_u32_e64 v3, null, v7, v3, s0
	s_cbranch_vccnz .LBB381_31
; %bb.30:
	flat_load_dwordx2 v[4:5], v[2:3]
	s_waitcnt vmcnt(0) lgkmcnt(0)
	v_mul_f32_e32 v6, s3, v5
	v_mul_f32_e32 v5, s2, v5
	v_fma_f32 v6, v4, s2, -v6
	v_fmac_f32_e32 v5, s3, v4
	v_add_f32_e32 v0, v0, v6
	v_add_f32_e32 v1, v1, v5
.LBB381_31:
	flat_store_dwordx2 v[2:3], v[0:1]
.LBB381_32:
	s_endpgm
	.section	.rodata,"a",@progbits
	.p2align	6, 0x0
	.amdhsa_kernel _ZL29rocblas_internal_gemmt_kernelIiLi16ELi32ELi8ELc84ELc78ELc85ELb0ELb0E19rocblas_complex_numIfES1_PKPKS1_PKPS1_EviT_T9_T10_S9_lSB_S9_lSA_T11_S9_li
		.amdhsa_group_segment_fixed_size 4096
		.amdhsa_private_segment_fixed_size 0
		.amdhsa_kernarg_size 100
		.amdhsa_user_sgpr_count 6
		.amdhsa_user_sgpr_private_segment_buffer 1
		.amdhsa_user_sgpr_dispatch_ptr 0
		.amdhsa_user_sgpr_queue_ptr 0
		.amdhsa_user_sgpr_kernarg_segment_ptr 1
		.amdhsa_user_sgpr_dispatch_id 0
		.amdhsa_user_sgpr_flat_scratch_init 0
		.amdhsa_user_sgpr_private_segment_size 0
		.amdhsa_wavefront_size32 1
		.amdhsa_uses_dynamic_stack 0
		.amdhsa_system_sgpr_private_segment_wavefront_offset 0
		.amdhsa_system_sgpr_workgroup_id_x 1
		.amdhsa_system_sgpr_workgroup_id_y 1
		.amdhsa_system_sgpr_workgroup_id_z 1
		.amdhsa_system_sgpr_workgroup_info 0
		.amdhsa_system_vgpr_workitem_id 1
		.amdhsa_next_free_vgpr 59
		.amdhsa_next_free_sgpr 26
		.amdhsa_reserve_vcc 1
		.amdhsa_reserve_flat_scratch 0
		.amdhsa_float_round_mode_32 0
		.amdhsa_float_round_mode_16_64 0
		.amdhsa_float_denorm_mode_32 3
		.amdhsa_float_denorm_mode_16_64 3
		.amdhsa_dx10_clamp 1
		.amdhsa_ieee_mode 1
		.amdhsa_fp16_overflow 0
		.amdhsa_workgroup_processor_mode 1
		.amdhsa_memory_ordered 1
		.amdhsa_forward_progress 1
		.amdhsa_shared_vgpr_count 0
		.amdhsa_exception_fp_ieee_invalid_op 0
		.amdhsa_exception_fp_denorm_src 0
		.amdhsa_exception_fp_ieee_div_zero 0
		.amdhsa_exception_fp_ieee_overflow 0
		.amdhsa_exception_fp_ieee_underflow 0
		.amdhsa_exception_fp_ieee_inexact 0
		.amdhsa_exception_int_div_zero 0
	.end_amdhsa_kernel
	.section	.text._ZL29rocblas_internal_gemmt_kernelIiLi16ELi32ELi8ELc84ELc78ELc85ELb0ELb0E19rocblas_complex_numIfES1_PKPKS1_PKPS1_EviT_T9_T10_S9_lSB_S9_lSA_T11_S9_li,"axG",@progbits,_ZL29rocblas_internal_gemmt_kernelIiLi16ELi32ELi8ELc84ELc78ELc85ELb0ELb0E19rocblas_complex_numIfES1_PKPKS1_PKPS1_EviT_T9_T10_S9_lSB_S9_lSA_T11_S9_li,comdat
.Lfunc_end381:
	.size	_ZL29rocblas_internal_gemmt_kernelIiLi16ELi32ELi8ELc84ELc78ELc85ELb0ELb0E19rocblas_complex_numIfES1_PKPKS1_PKPS1_EviT_T9_T10_S9_lSB_S9_lSA_T11_S9_li, .Lfunc_end381-_ZL29rocblas_internal_gemmt_kernelIiLi16ELi32ELi8ELc84ELc78ELc85ELb0ELb0E19rocblas_complex_numIfES1_PKPKS1_PKPS1_EviT_T9_T10_S9_lSB_S9_lSA_T11_S9_li
                                        ; -- End function
	.set _ZL29rocblas_internal_gemmt_kernelIiLi16ELi32ELi8ELc84ELc78ELc85ELb0ELb0E19rocblas_complex_numIfES1_PKPKS1_PKPS1_EviT_T9_T10_S9_lSB_S9_lSA_T11_S9_li.num_vgpr, 59
	.set _ZL29rocblas_internal_gemmt_kernelIiLi16ELi32ELi8ELc84ELc78ELc85ELb0ELb0E19rocblas_complex_numIfES1_PKPKS1_PKPS1_EviT_T9_T10_S9_lSB_S9_lSA_T11_S9_li.num_agpr, 0
	.set _ZL29rocblas_internal_gemmt_kernelIiLi16ELi32ELi8ELc84ELc78ELc85ELb0ELb0E19rocblas_complex_numIfES1_PKPKS1_PKPS1_EviT_T9_T10_S9_lSB_S9_lSA_T11_S9_li.numbered_sgpr, 26
	.set _ZL29rocblas_internal_gemmt_kernelIiLi16ELi32ELi8ELc84ELc78ELc85ELb0ELb0E19rocblas_complex_numIfES1_PKPKS1_PKPS1_EviT_T9_T10_S9_lSB_S9_lSA_T11_S9_li.num_named_barrier, 0
	.set _ZL29rocblas_internal_gemmt_kernelIiLi16ELi32ELi8ELc84ELc78ELc85ELb0ELb0E19rocblas_complex_numIfES1_PKPKS1_PKPS1_EviT_T9_T10_S9_lSB_S9_lSA_T11_S9_li.private_seg_size, 0
	.set _ZL29rocblas_internal_gemmt_kernelIiLi16ELi32ELi8ELc84ELc78ELc85ELb0ELb0E19rocblas_complex_numIfES1_PKPKS1_PKPS1_EviT_T9_T10_S9_lSB_S9_lSA_T11_S9_li.uses_vcc, 1
	.set _ZL29rocblas_internal_gemmt_kernelIiLi16ELi32ELi8ELc84ELc78ELc85ELb0ELb0E19rocblas_complex_numIfES1_PKPKS1_PKPS1_EviT_T9_T10_S9_lSB_S9_lSA_T11_S9_li.uses_flat_scratch, 0
	.set _ZL29rocblas_internal_gemmt_kernelIiLi16ELi32ELi8ELc84ELc78ELc85ELb0ELb0E19rocblas_complex_numIfES1_PKPKS1_PKPS1_EviT_T9_T10_S9_lSB_S9_lSA_T11_S9_li.has_dyn_sized_stack, 0
	.set _ZL29rocblas_internal_gemmt_kernelIiLi16ELi32ELi8ELc84ELc78ELc85ELb0ELb0E19rocblas_complex_numIfES1_PKPKS1_PKPS1_EviT_T9_T10_S9_lSB_S9_lSA_T11_S9_li.has_recursion, 0
	.set _ZL29rocblas_internal_gemmt_kernelIiLi16ELi32ELi8ELc84ELc78ELc85ELb0ELb0E19rocblas_complex_numIfES1_PKPKS1_PKPS1_EviT_T9_T10_S9_lSB_S9_lSA_T11_S9_li.has_indirect_call, 0
	.section	.AMDGPU.csdata,"",@progbits
; Kernel info:
; codeLenInByte = 2504
; TotalNumSgprs: 28
; NumVgprs: 59
; ScratchSize: 0
; MemoryBound: 1
; FloatMode: 240
; IeeeMode: 1
; LDSByteSize: 4096 bytes/workgroup (compile time only)
; SGPRBlocks: 0
; VGPRBlocks: 7
; NumSGPRsForWavesPerEU: 28
; NumVGPRsForWavesPerEU: 59
; Occupancy: 16
; WaveLimiterHint : 1
; COMPUTE_PGM_RSRC2:SCRATCH_EN: 0
; COMPUTE_PGM_RSRC2:USER_SGPR: 6
; COMPUTE_PGM_RSRC2:TRAP_HANDLER: 0
; COMPUTE_PGM_RSRC2:TGID_X_EN: 1
; COMPUTE_PGM_RSRC2:TGID_Y_EN: 1
; COMPUTE_PGM_RSRC2:TGID_Z_EN: 1
; COMPUTE_PGM_RSRC2:TIDIG_COMP_CNT: 1
	.section	.text._ZL29rocblas_internal_gemmt_kernelIiLi16ELi32ELi8ELc84ELc84ELc85ELb0ELb0E19rocblas_complex_numIfES1_PKPKS1_PKPS1_EviT_T9_T10_S9_lSB_S9_lSA_T11_S9_li,"axG",@progbits,_ZL29rocblas_internal_gemmt_kernelIiLi16ELi32ELi8ELc84ELc84ELc85ELb0ELb0E19rocblas_complex_numIfES1_PKPKS1_PKPS1_EviT_T9_T10_S9_lSB_S9_lSA_T11_S9_li,comdat
	.globl	_ZL29rocblas_internal_gemmt_kernelIiLi16ELi32ELi8ELc84ELc84ELc85ELb0ELb0E19rocblas_complex_numIfES1_PKPKS1_PKPS1_EviT_T9_T10_S9_lSB_S9_lSA_T11_S9_li ; -- Begin function _ZL29rocblas_internal_gemmt_kernelIiLi16ELi32ELi8ELc84ELc84ELc85ELb0ELb0E19rocblas_complex_numIfES1_PKPKS1_PKPS1_EviT_T9_T10_S9_lSB_S9_lSA_T11_S9_li
	.p2align	8
	.type	_ZL29rocblas_internal_gemmt_kernelIiLi16ELi32ELi8ELc84ELc84ELc85ELb0ELb0E19rocblas_complex_numIfES1_PKPKS1_PKPS1_EviT_T9_T10_S9_lSB_S9_lSA_T11_S9_li,@function
_ZL29rocblas_internal_gemmt_kernelIiLi16ELi32ELi8ELc84ELc84ELc85ELb0ELb0E19rocblas_complex_numIfES1_PKPKS1_PKPS1_EviT_T9_T10_S9_lSB_S9_lSA_T11_S9_li: ; @_ZL29rocblas_internal_gemmt_kernelIiLi16ELi32ELi8ELc84ELc84ELc85ELb0ELb0E19rocblas_complex_numIfES1_PKPKS1_PKPS1_EviT_T9_T10_S9_lSB_S9_lSA_T11_S9_li
; %bb.0:
	s_clause 0x1
	s_load_dwordx2 s[2:3], s[4:5], 0x40
	s_load_dwordx4 s[12:15], s[4:5], 0x0
	s_waitcnt lgkmcnt(0)
	s_and_b32 s0, s3, 0x7fffffff
	v_cmp_eq_f32_e64 s1, s2, 1.0
	s_cmp_eq_u32 s0, 0
	s_mov_b32 s0, 0
	s_cselect_b32 s20, -1, 0
	s_and_b32 s1, s1, s20
	s_andn2_b32 vcc_lo, exec_lo, s1
	s_mov_b32 s1, -1
	s_cbranch_vccnz .LBB382_4
; %bb.1:
	s_cmp_lg_u32 s13, 0
	s_cbranch_scc0 .LBB382_3
; %bb.2:
	v_cmp_neq_f32_e64 s0, s14, 0
	v_cmp_neq_f32_e64 s1, s15, 0
	s_or_b32 s0, s0, s1
.LBB382_3:
	s_mov_b32 s1, s0
.LBB382_4:
	s_and_b32 vcc_lo, exec_lo, s1
	s_cbranch_vccz .LBB382_32
; %bb.5:
	s_load_dwordx2 s[10:11], s[4:5], 0x48
	s_mov_b32 s9, 0
	v_cmp_eq_f32_e64 s16, s14, 0
	s_lshl_b64 s[0:1], s[8:9], 3
	v_cmp_eq_f32_e64 s17, s15, 0
	v_mov_b32_e32 v20, 0
	v_mov_b32_e32 v21, 0
	;; [unrolled: 1-line block ×8, first 2 shown]
	s_waitcnt lgkmcnt(0)
	s_add_u32 s10, s10, s0
	s_addc_u32 s11, s11, s1
	s_lshl_b32 s8, s6, 5
	s_load_dwordx2 s[10:11], s[10:11], 0x0
	s_lshl_b32 s21, s7, 5
	s_and_b32 s6, s16, s17
	s_cmp_lt_i32 s13, 1
	s_cselect_b32 s7, -1, 0
	s_or_b32 s6, s6, s7
	s_and_b32 vcc_lo, exec_lo, s6
	s_cbranch_vccnz .LBB382_16
; %bb.6:
	s_clause 0x4
	s_load_dword s6, s[4:5], 0x30
	s_load_dwordx4 s[16:19], s[4:5], 0x20
	s_load_dword s26, s[4:5], 0x18
	s_load_dwordx2 s[22:23], s[4:5], 0x10
	s_load_dwordx2 s[24:25], s[4:5], 0x38
	v_lshl_add_u32 v2, v1, 4, v0
	v_and_b32_e32 v8, 7, v0
	v_lshlrev_b32_e32 v12, 3, v0
	v_lshl_add_u32 v13, v1, 6, 0x800
	v_mov_b32_e32 v17, 0
	v_and_b32_e32 v4, 31, v2
	v_lshrrev_b32_e32 v5, 3, v2
	v_lshlrev_b32_e32 v6, 3, v8
	v_lshrrev_b32_e32 v9, 5, v2
	v_mov_b32_e32 v16, 0
	v_or_b32_e32 v2, s8, v4
	v_lshlrev_b32_e32 v7, 3, v4
	v_add_nc_u32_e32 v4, s8, v4
	v_add_nc_u32_e32 v3, s21, v5
	v_lshl_or_b32 v11, v5, 6, v6
	s_waitcnt lgkmcnt(0)
	s_ashr_i32 s7, s6, 31
	s_add_u32 s18, s18, s0
	v_mad_i64_i32 v[5:6], null, s26, v4, 0
	s_addc_u32 s19, s19, s1
	s_add_u32 s0, s22, s0
	v_mad_i64_i32 v[14:15], null, s6, v8, 0
	s_addc_u32 s1, s23, s1
	s_load_dwordx2 s[18:19], s[18:19], 0x0
	s_load_dwordx2 s[22:23], s[0:1], 0x0
	v_lshlrev_b64 v[5:6], 3, v[5:6]
	v_ashrrev_i32_e32 v4, 31, v3
	s_lshl_b64 s[16:17], s[16:17], 3
	v_lshl_or_b32 v10, v9, 8, v7
	v_lshlrev_b64 v[14:15], 3, v[14:15]
	v_lshlrev_b32_e32 v7, 3, v9
	v_add_co_u32 v5, s1, v5, s16
	v_add_co_ci_u32_e64 v6, null, s17, v6, s1
	s_lshl_b64 s[16:17], s[24:25], 3
	v_cmp_gt_i32_e64 s0, s12, v3
	v_lshlrev_b64 v[3:4], 3, v[3:4]
	v_add_co_u32 v14, s1, v14, s16
	v_add_co_ci_u32_e64 v15, null, s17, v15, s1
	v_add_co_u32 v5, s1, v5, v7
	v_add_co_ci_u32_e64 v6, null, 0, v6, s1
	v_add_co_u32 v3, s1, v14, v3
	v_add_co_ci_u32_e64 v7, null, v15, v4, s1
	s_waitcnt lgkmcnt(0)
	v_add_co_u32 v4, s1, s22, v5
	v_cmp_gt_i32_e32 vcc_lo, s12, v2
	v_add_co_ci_u32_e64 v5, null, s23, v6, s1
	v_add_co_u32 v6, s1, s18, v3
	v_add_nc_u32_e32 v11, 0x800, v11
	v_mov_b32_e32 v2, 0
	v_add_co_ci_u32_e64 v7, null, s19, v7, s1
	v_mov_b32_e32 v15, 0
	v_mov_b32_e32 v14, 0
	;; [unrolled: 1-line block ×6, first 2 shown]
	s_lshl_b64 s[6:7], s[6:7], 6
	s_xor_b32 s1, vcc_lo, -1
	s_xor_b32 s0, s0, -1
	s_branch .LBB382_8
.LBB382_7:                              ;   in Loop: Header=BB382_8 Depth=1
	s_or_b32 exec_lo, exec_lo, s16
	s_waitcnt lgkmcnt(0)
	s_barrier
	buffer_gl0_inv
	ds_read_b128 v[22:25], v13
	ds_read2_b64 v[26:29], v12 offset1:16
	ds_read_b128 v[30:33], v13 offset:1024
	ds_read_b128 v[34:37], v13 offset:16
	;; [unrolled: 1-line block ×4, first 2 shown]
	ds_read2_b64 v[46:49], v12 offset0:32 offset1:48
	ds_read_b128 v[50:53], v13 offset:1040
	v_add_co_u32 v4, vcc_lo, v4, 64
	v_add_co_ci_u32_e64 v5, null, 0, v5, vcc_lo
	v_add_co_u32 v6, vcc_lo, v6, s6
	v_add_co_ci_u32_e64 v7, null, s7, v7, vcc_lo
	s_add_i32 s9, s9, 8
	s_cmp_lt_i32 s9, s13
	s_waitcnt lgkmcnt(6)
	v_mul_f32_e32 v3, v23, v27
	v_mul_f32_e32 v54, v22, v27
	;; [unrolled: 1-line block ×4, first 2 shown]
	s_waitcnt lgkmcnt(5)
	v_mul_f32_e32 v57, v31, v27
	v_mul_f32_e32 v27, v30, v27
	;; [unrolled: 1-line block ×3, first 2 shown]
	v_fma_f32 v3, v22, v26, -v3
	v_fmac_f32_e32 v54, v23, v26
	v_fma_f32 v22, v22, v28, -v55
	v_fmac_f32_e32 v56, v23, v28
	v_fma_f32 v23, v30, v26, -v57
	v_fmac_f32_e32 v27, v31, v26
	v_mul_f32_e32 v29, v30, v29
	v_fma_f32 v26, v30, v28, -v58
	v_add_f32_e32 v3, v20, v3
	v_add_f32_e32 v20, v21, v54
	;; [unrolled: 1-line block ×6, first 2 shown]
	s_waitcnt lgkmcnt(1)
	v_mul_f32_e32 v30, v25, v47
	ds_read2_b64 v[16:19], v12 offset0:64 offset1:80
	v_fmac_f32_e32 v29, v31, v28
	v_add_f32_e32 v14, v14, v26
	v_mul_f32_e32 v26, v24, v47
	v_fma_f32 v28, v24, v46, -v30
	v_mul_f32_e32 v30, v25, v49
	v_add_f32_e32 v15, v15, v29
	v_mul_f32_e32 v29, v24, v49
	v_fmac_f32_e32 v26, v25, v46
	v_add_f32_e32 v3, v3, v28
	v_fma_f32 v24, v24, v48, -v30
	v_mul_f32_e32 v28, v33, v47
	v_fmac_f32_e32 v29, v25, v48
	v_add_f32_e32 v26, v20, v26
	v_mul_f32_e32 v20, v32, v47
	v_add_f32_e32 v24, v21, v24
	v_fma_f32 v21, v32, v46, -v28
	v_mul_f32_e32 v25, v33, v49
	v_add_f32_e32 v28, v22, v29
	v_fmac_f32_e32 v20, v33, v46
	v_mul_f32_e32 v29, v32, v49
	v_add_f32_e32 v30, v23, v21
	v_fma_f32 v21, v32, v48, -v25
	s_waitcnt lgkmcnt(0)
	v_mul_f32_e32 v22, v35, v17
	v_add_f32_e32 v25, v27, v20
	v_fmac_f32_e32 v29, v33, v48
	v_mul_f32_e32 v27, v34, v17
	v_add_f32_e32 v14, v14, v21
	v_fma_f32 v31, v34, v16, -v22
	v_mul_f32_e32 v32, v35, v19
	ds_read2_b64 v[20:23], v12 offset0:96 offset1:112
	v_fmac_f32_e32 v27, v35, v16
	v_add_f32_e32 v29, v15, v29
	v_add_f32_e32 v3, v3, v31
	v_mul_f32_e32 v15, v34, v19
	v_fma_f32 v31, v34, v18, -v32
	v_add_f32_e32 v26, v26, v27
	v_mul_f32_e32 v27, v51, v17
	v_mul_f32_e32 v17, v50, v17
	v_fmac_f32_e32 v15, v35, v18
	v_add_f32_e32 v24, v24, v31
	v_mul_f32_e32 v31, v51, v19
	v_mul_f32_e32 v19, v50, v19
	v_fmac_f32_e32 v17, v51, v16
	v_add_f32_e32 v28, v28, v15
	v_fma_f32 v27, v50, v16, -v27
	v_fma_f32 v15, v50, v18, -v31
	v_fmac_f32_e32 v19, v51, v18
	v_add_f32_e32 v31, v25, v17
	s_waitcnt lgkmcnt(0)
	v_mul_f32_e32 v18, v37, v21
	v_add_f32_e32 v32, v14, v15
	ds_read2_b64 v[14:17], v12 offset0:128 offset1:144
	v_add_f32_e32 v30, v30, v27
	v_mul_f32_e32 v25, v36, v21
	v_fma_f32 v18, v36, v20, -v18
	v_mul_f32_e32 v27, v37, v23
	v_add_f32_e32 v29, v29, v19
	v_mul_f32_e32 v19, v36, v23
	v_fmac_f32_e32 v25, v37, v20
	v_add_f32_e32 v3, v3, v18
	v_mul_f32_e32 v18, v53, v21
	v_fma_f32 v27, v36, v22, -v27
	v_fmac_f32_e32 v19, v37, v22
	v_mul_f32_e32 v21, v52, v21
	v_mul_f32_e32 v35, v53, v23
	v_fma_f32 v18, v52, v20, -v18
	v_add_f32_e32 v33, v26, v25
	v_add_f32_e32 v34, v24, v27
	ds_read_b128 v[24:27], v13 offset:1056
	v_add_f32_e32 v36, v28, v19
	v_fmac_f32_e32 v21, v53, v20
	v_mul_f32_e32 v23, v52, v23
	v_fma_f32 v19, v52, v22, -v35
	v_add_f32_e32 v35, v30, v18
	s_waitcnt lgkmcnt(1)
	v_mul_f32_e32 v18, v39, v15
	v_add_f32_e32 v37, v31, v21
	v_fmac_f32_e32 v23, v53, v22
	v_add_f32_e32 v22, v32, v19
	v_mul_f32_e32 v32, v38, v15
	v_fma_f32 v28, v38, v14, -v18
	ds_read2_b64 v[18:21], v12 offset0:160 offset1:176
	v_mul_f32_e32 v30, v39, v17
	v_mul_f32_e32 v46, v38, v17
	v_fmac_f32_e32 v32, v39, v14
	v_add_f32_e32 v23, v29, v23
	v_add_f32_e32 v3, v3, v28
	v_fma_f32 v38, v38, v16, -v30
	ds_read_b128 v[28:31], v13 offset:1072
	s_waitcnt lgkmcnt(2)
	v_mul_f32_e32 v47, v25, v15
	v_add_f32_e32 v32, v33, v32
	v_mul_f32_e32 v15, v24, v15
	v_add_f32_e32 v33, v34, v38
	v_mul_f32_e32 v38, v25, v17
	v_fmac_f32_e32 v46, v39, v16
	v_fma_f32 v34, v24, v14, -v47
	v_fmac_f32_e32 v15, v25, v14
	v_mul_f32_e32 v39, v24, v17
	v_fma_f32 v14, v24, v16, -v38
	v_add_f32_e32 v36, v36, v46
	v_add_f32_e32 v34, v35, v34
	s_waitcnt lgkmcnt(1)
	v_mul_f32_e32 v17, v41, v19
	v_add_f32_e32 v24, v37, v15
	v_fmac_f32_e32 v39, v25, v16
	v_mul_f32_e32 v25, v40, v19
	v_add_f32_e32 v22, v22, v14
	v_fma_f32 v35, v40, v18, -v17
	ds_read2_b64 v[14:17], v12 offset0:192 offset1:208
	v_mul_f32_e32 v37, v41, v21
	v_fmac_f32_e32 v25, v41, v18
	v_add_f32_e32 v38, v23, v39
	v_add_f32_e32 v3, v3, v35
	v_mul_f32_e32 v23, v40, v21
	v_fma_f32 v35, v40, v20, -v37
	v_add_f32_e32 v32, v32, v25
	v_mul_f32_e32 v25, v27, v19
	v_mul_f32_e32 v19, v26, v19
	v_fmac_f32_e32 v23, v41, v20
	v_add_f32_e32 v33, v33, v35
	v_mul_f32_e32 v35, v27, v21
	v_fma_f32 v25, v26, v18, -v25
	v_fmac_f32_e32 v19, v27, v18
	v_add_f32_e32 v18, v36, v23
	v_mul_f32_e32 v21, v26, v21
	v_fma_f32 v23, v26, v20, -v35
	v_add_f32_e32 v26, v34, v25
	v_add_f32_e32 v19, v24, v19
	s_waitcnt lgkmcnt(0)
	v_mul_f32_e32 v34, v43, v15
	v_fmac_f32_e32 v21, v27, v20
	v_add_f32_e32 v20, v22, v23
	ds_read2_b64 v[22:25], v12 offset0:224 offset1:240
	v_mul_f32_e32 v27, v42, v15
	v_fma_f32 v34, v42, v14, -v34
	v_mul_f32_e32 v35, v43, v17
	v_mul_f32_e32 v36, v42, v17
	v_add_f32_e32 v21, v38, v21
	v_fmac_f32_e32 v27, v43, v14
	v_add_f32_e32 v3, v3, v34
	v_mul_f32_e32 v34, v29, v15
	v_fma_f32 v35, v42, v16, -v35
	v_fmac_f32_e32 v36, v43, v16
	v_add_f32_e32 v27, v32, v27
	v_mul_f32_e32 v15, v28, v15
	v_fma_f32 v32, v28, v14, -v34
	v_mul_f32_e32 v34, v29, v17
	v_add_f32_e32 v33, v33, v35
	v_add_f32_e32 v35, v18, v36
	v_fmac_f32_e32 v15, v29, v14
	v_add_f32_e32 v14, v26, v32
	v_mul_f32_e32 v17, v28, v17
	v_fma_f32 v18, v28, v16, -v34
	s_waitcnt lgkmcnt(0)
	v_mul_f32_e32 v26, v45, v23
	v_mul_f32_e32 v28, v44, v23
	v_add_f32_e32 v15, v19, v15
	v_fmac_f32_e32 v17, v29, v16
	v_add_f32_e32 v29, v20, v18
	v_fma_f32 v16, v44, v22, -v26
	v_mul_f32_e32 v18, v45, v25
	v_mul_f32_e32 v19, v44, v25
	v_add_f32_e32 v26, v21, v17
	v_mul_f32_e32 v17, v30, v23
	v_add_f32_e32 v20, v3, v16
	v_fma_f32 v3, v44, v24, -v18
	v_mul_f32_e32 v16, v31, v23
	v_mul_f32_e32 v23, v31, v25
	;; [unrolled: 1-line block ×3, first 2 shown]
	v_fmac_f32_e32 v28, v45, v22
	v_fmac_f32_e32 v19, v45, v24
	v_add_f32_e32 v18, v33, v3
	v_fma_f32 v3, v30, v22, -v16
	v_fmac_f32_e32 v17, v31, v22
	v_fma_f32 v22, v30, v24, -v23
	v_fmac_f32_e32 v25, v31, v24
	v_add_f32_e32 v21, v27, v28
	v_add_f32_e32 v19, v35, v19
	;; [unrolled: 1-line block ×6, first 2 shown]
	s_barrier
	buffer_gl0_inv
	s_cbranch_scc0 .LBB382_16
.LBB382_8:                              ; =>This Inner Loop Header: Depth=1
	v_add_nc_u32_e32 v3, s9, v9
	v_cmp_le_i32_e32 vcc_lo, s13, v3
	s_or_b32 s16, s1, vcc_lo
	s_and_saveexec_b32 s17, s16
	s_xor_b32 s16, exec_lo, s17
; %bb.9:                                ;   in Loop: Header=BB382_8 Depth=1
	v_mov_b32_e32 v3, v2
	ds_write_b64 v10, v[2:3]
; %bb.10:                               ;   in Loop: Header=BB382_8 Depth=1
	s_andn2_saveexec_b32 s16, s16
	s_cbranch_execz .LBB382_12
; %bb.11:                               ;   in Loop: Header=BB382_8 Depth=1
	flat_load_dwordx2 v[22:23], v[4:5]
	s_waitcnt vmcnt(0) lgkmcnt(0)
	ds_write_b64 v10, v[22:23]
.LBB382_12:                             ;   in Loop: Header=BB382_8 Depth=1
	s_or_b32 exec_lo, exec_lo, s16
	v_add_nc_u32_e32 v3, s9, v8
	v_cmp_le_i32_e32 vcc_lo, s13, v3
	s_or_b32 s16, vcc_lo, s0
	s_and_saveexec_b32 s17, s16
	s_xor_b32 s16, exec_lo, s17
; %bb.13:                               ;   in Loop: Header=BB382_8 Depth=1
	v_mov_b32_e32 v3, v2
	ds_write_b64 v11, v[2:3]
; %bb.14:                               ;   in Loop: Header=BB382_8 Depth=1
	s_andn2_saveexec_b32 s16, s16
	s_cbranch_execz .LBB382_7
; %bb.15:                               ;   in Loop: Header=BB382_8 Depth=1
	flat_load_dwordx2 v[22:23], v[6:7]
	s_waitcnt vmcnt(0) lgkmcnt(0)
	ds_write_b64 v11, v[22:23]
	s_branch .LBB382_7
.LBB382_16:
	s_clause 0x1
	s_load_dword s6, s[4:5], 0x50
	s_load_dwordx2 s[4:5], s[4:5], 0x58
	v_add_nc_u32_e32 v9, s21, v1
	v_add_nc_u32_e32 v0, s8, v0
	v_cmp_neq_f32_e64 s7, s2, 0
	v_cmp_gt_i32_e64 s0, s12, v9
	v_cmp_le_i32_e32 vcc_lo, v0, v9
	s_waitcnt lgkmcnt(0)
	v_mad_i64_i32 v[1:2], null, v9, s6, 0
	s_lshl_b64 s[4:5], s[4:5], 3
	s_add_u32 s4, s10, s4
	s_addc_u32 s5, s11, s5
	s_xor_b32 s8, s20, -1
	s_or_b32 s7, s7, s8
	v_lshlrev_b64 v[2:3], 3, v[1:2]
	v_ashrrev_i32_e32 v1, 31, v0
	v_cndmask_b32_e64 v8, 0, 1, s7
	s_and_b32 s8, s0, vcc_lo
	v_add_co_u32 v6, s1, s4, v2
	v_add_co_ci_u32_e64 v7, null, s5, v3, s1
	s_and_saveexec_b32 s1, s8
	s_cbranch_execz .LBB382_20
; %bb.17:
	v_lshlrev_b64 v[4:5], 3, v[0:1]
	v_mul_f32_e32 v2, s15, v21
	v_mul_f32_e32 v3, s14, v21
	v_fma_f32 v2, v20, s14, -v2
	v_add_co_u32 v4, vcc_lo, v6, v4
	v_fmac_f32_e32 v3, s15, v20
	v_add_co_ci_u32_e64 v5, null, v7, v5, vcc_lo
	s_andn2_b32 vcc_lo, exec_lo, s7
	s_cbranch_vccnz .LBB382_19
; %bb.18:
	flat_load_dwordx2 v[10:11], v[4:5]
	s_waitcnt vmcnt(0) lgkmcnt(0)
	v_mul_f32_e32 v12, s3, v11
	v_mul_f32_e32 v11, s2, v11
	v_fma_f32 v12, v10, s2, -v12
	v_fmac_f32_e32 v11, s3, v10
	v_add_f32_e32 v2, v2, v12
	v_add_f32_e32 v3, v3, v11
.LBB382_19:
	flat_store_dwordx2 v[4:5], v[2:3]
.LBB382_20:
	s_or_b32 exec_lo, exec_lo, s1
	v_add_nc_u32_e32 v2, 16, v0
	v_cmp_le_i32_e32 vcc_lo, v2, v9
	v_ashrrev_i32_e32 v3, 31, v2
	s_and_b32 s0, s0, vcc_lo
	s_and_saveexec_b32 s1, s0
	s_cbranch_execz .LBB382_24
; %bb.21:
	v_lshlrev_b64 v[10:11], 3, v[2:3]
	v_mul_f32_e32 v4, s15, v19
	v_mul_f32_e32 v5, s14, v19
	v_cmp_ne_u32_e32 vcc_lo, 1, v8
	v_fma_f32 v4, v18, s14, -v4
	v_add_co_u32 v6, s0, v6, v10
	v_fmac_f32_e32 v5, s15, v18
	v_add_co_ci_u32_e64 v7, null, v7, v11, s0
	s_cbranch_vccnz .LBB382_23
; %bb.22:
	flat_load_dwordx2 v[10:11], v[6:7]
	s_waitcnt vmcnt(0) lgkmcnt(0)
	v_mul_f32_e32 v12, s3, v11
	v_mul_f32_e32 v11, s2, v11
	v_fma_f32 v12, v10, s2, -v12
	v_fmac_f32_e32 v11, s3, v10
	v_add_f32_e32 v4, v4, v12
	v_add_f32_e32 v5, v5, v11
.LBB382_23:
	flat_store_dwordx2 v[6:7], v[4:5]
.LBB382_24:
	s_or_b32 exec_lo, exec_lo, s1
	v_add_nc_u32_e32 v9, 16, v9
	v_mad_i64_i32 v[4:5], null, v9, s6, 0
	v_cmp_gt_i32_e64 s0, s12, v9
	v_cmp_le_i32_e32 vcc_lo, v0, v9
	v_lshlrev_b64 v[4:5], 3, v[4:5]
	v_add_co_u32 v6, s1, s4, v4
	v_add_co_ci_u32_e64 v7, null, s5, v5, s1
	s_and_b32 s1, s0, vcc_lo
	s_and_saveexec_b32 s4, s1
	s_cbranch_execz .LBB382_28
; %bb.25:
	v_lshlrev_b64 v[0:1], 3, v[0:1]
	v_mul_f32_e32 v4, s15, v17
	v_mul_f32_e32 v5, s14, v17
	v_cmp_ne_u32_e32 vcc_lo, 1, v8
	v_fma_f32 v4, v16, s14, -v4
	v_add_co_u32 v0, s1, v6, v0
	v_fmac_f32_e32 v5, s15, v16
	v_add_co_ci_u32_e64 v1, null, v7, v1, s1
	s_cbranch_vccnz .LBB382_27
; %bb.26:
	flat_load_dwordx2 v[10:11], v[0:1]
	s_waitcnt vmcnt(0) lgkmcnt(0)
	v_mul_f32_e32 v12, s3, v11
	v_mul_f32_e32 v11, s2, v11
	v_fma_f32 v12, v10, s2, -v12
	v_fmac_f32_e32 v11, s3, v10
	v_add_f32_e32 v4, v4, v12
	v_add_f32_e32 v5, v5, v11
.LBB382_27:
	flat_store_dwordx2 v[0:1], v[4:5]
.LBB382_28:
	s_or_b32 exec_lo, exec_lo, s4
	v_cmp_le_i32_e32 vcc_lo, v2, v9
	s_and_b32 s0, s0, vcc_lo
	s_and_saveexec_b32 s1, s0
	s_cbranch_execz .LBB382_32
; %bb.29:
	v_lshlrev_b64 v[2:3], 3, v[2:3]
	v_mul_f32_e32 v0, s15, v15
	v_mul_f32_e32 v1, s14, v15
	v_cmp_ne_u32_e32 vcc_lo, 1, v8
	v_fma_f32 v0, v14, s14, -v0
	v_add_co_u32 v2, s0, v6, v2
	v_fmac_f32_e32 v1, s15, v14
	v_add_co_ci_u32_e64 v3, null, v7, v3, s0
	s_cbranch_vccnz .LBB382_31
; %bb.30:
	flat_load_dwordx2 v[4:5], v[2:3]
	s_waitcnt vmcnt(0) lgkmcnt(0)
	v_mul_f32_e32 v6, s3, v5
	v_mul_f32_e32 v5, s2, v5
	v_fma_f32 v6, v4, s2, -v6
	v_fmac_f32_e32 v5, s3, v4
	v_add_f32_e32 v0, v0, v6
	v_add_f32_e32 v1, v1, v5
.LBB382_31:
	flat_store_dwordx2 v[2:3], v[0:1]
.LBB382_32:
	s_endpgm
	.section	.rodata,"a",@progbits
	.p2align	6, 0x0
	.amdhsa_kernel _ZL29rocblas_internal_gemmt_kernelIiLi16ELi32ELi8ELc84ELc84ELc85ELb0ELb0E19rocblas_complex_numIfES1_PKPKS1_PKPS1_EviT_T9_T10_S9_lSB_S9_lSA_T11_S9_li
		.amdhsa_group_segment_fixed_size 4096
		.amdhsa_private_segment_fixed_size 0
		.amdhsa_kernarg_size 100
		.amdhsa_user_sgpr_count 6
		.amdhsa_user_sgpr_private_segment_buffer 1
		.amdhsa_user_sgpr_dispatch_ptr 0
		.amdhsa_user_sgpr_queue_ptr 0
		.amdhsa_user_sgpr_kernarg_segment_ptr 1
		.amdhsa_user_sgpr_dispatch_id 0
		.amdhsa_user_sgpr_flat_scratch_init 0
		.amdhsa_user_sgpr_private_segment_size 0
		.amdhsa_wavefront_size32 1
		.amdhsa_uses_dynamic_stack 0
		.amdhsa_system_sgpr_private_segment_wavefront_offset 0
		.amdhsa_system_sgpr_workgroup_id_x 1
		.amdhsa_system_sgpr_workgroup_id_y 1
		.amdhsa_system_sgpr_workgroup_id_z 1
		.amdhsa_system_sgpr_workgroup_info 0
		.amdhsa_system_vgpr_workitem_id 1
		.amdhsa_next_free_vgpr 59
		.amdhsa_next_free_sgpr 27
		.amdhsa_reserve_vcc 1
		.amdhsa_reserve_flat_scratch 0
		.amdhsa_float_round_mode_32 0
		.amdhsa_float_round_mode_16_64 0
		.amdhsa_float_denorm_mode_32 3
		.amdhsa_float_denorm_mode_16_64 3
		.amdhsa_dx10_clamp 1
		.amdhsa_ieee_mode 1
		.amdhsa_fp16_overflow 0
		.amdhsa_workgroup_processor_mode 1
		.amdhsa_memory_ordered 1
		.amdhsa_forward_progress 1
		.amdhsa_shared_vgpr_count 0
		.amdhsa_exception_fp_ieee_invalid_op 0
		.amdhsa_exception_fp_denorm_src 0
		.amdhsa_exception_fp_ieee_div_zero 0
		.amdhsa_exception_fp_ieee_overflow 0
		.amdhsa_exception_fp_ieee_underflow 0
		.amdhsa_exception_fp_ieee_inexact 0
		.amdhsa_exception_int_div_zero 0
	.end_amdhsa_kernel
	.section	.text._ZL29rocblas_internal_gemmt_kernelIiLi16ELi32ELi8ELc84ELc84ELc85ELb0ELb0E19rocblas_complex_numIfES1_PKPKS1_PKPS1_EviT_T9_T10_S9_lSB_S9_lSA_T11_S9_li,"axG",@progbits,_ZL29rocblas_internal_gemmt_kernelIiLi16ELi32ELi8ELc84ELc84ELc85ELb0ELb0E19rocblas_complex_numIfES1_PKPKS1_PKPS1_EviT_T9_T10_S9_lSB_S9_lSA_T11_S9_li,comdat
.Lfunc_end382:
	.size	_ZL29rocblas_internal_gemmt_kernelIiLi16ELi32ELi8ELc84ELc84ELc85ELb0ELb0E19rocblas_complex_numIfES1_PKPKS1_PKPS1_EviT_T9_T10_S9_lSB_S9_lSA_T11_S9_li, .Lfunc_end382-_ZL29rocblas_internal_gemmt_kernelIiLi16ELi32ELi8ELc84ELc84ELc85ELb0ELb0E19rocblas_complex_numIfES1_PKPKS1_PKPS1_EviT_T9_T10_S9_lSB_S9_lSA_T11_S9_li
                                        ; -- End function
	.set _ZL29rocblas_internal_gemmt_kernelIiLi16ELi32ELi8ELc84ELc84ELc85ELb0ELb0E19rocblas_complex_numIfES1_PKPKS1_PKPS1_EviT_T9_T10_S9_lSB_S9_lSA_T11_S9_li.num_vgpr, 59
	.set _ZL29rocblas_internal_gemmt_kernelIiLi16ELi32ELi8ELc84ELc84ELc85ELb0ELb0E19rocblas_complex_numIfES1_PKPKS1_PKPS1_EviT_T9_T10_S9_lSB_S9_lSA_T11_S9_li.num_agpr, 0
	.set _ZL29rocblas_internal_gemmt_kernelIiLi16ELi32ELi8ELc84ELc84ELc85ELb0ELb0E19rocblas_complex_numIfES1_PKPKS1_PKPS1_EviT_T9_T10_S9_lSB_S9_lSA_T11_S9_li.numbered_sgpr, 27
	.set _ZL29rocblas_internal_gemmt_kernelIiLi16ELi32ELi8ELc84ELc84ELc85ELb0ELb0E19rocblas_complex_numIfES1_PKPKS1_PKPS1_EviT_T9_T10_S9_lSB_S9_lSA_T11_S9_li.num_named_barrier, 0
	.set _ZL29rocblas_internal_gemmt_kernelIiLi16ELi32ELi8ELc84ELc84ELc85ELb0ELb0E19rocblas_complex_numIfES1_PKPKS1_PKPS1_EviT_T9_T10_S9_lSB_S9_lSA_T11_S9_li.private_seg_size, 0
	.set _ZL29rocblas_internal_gemmt_kernelIiLi16ELi32ELi8ELc84ELc84ELc85ELb0ELb0E19rocblas_complex_numIfES1_PKPKS1_PKPS1_EviT_T9_T10_S9_lSB_S9_lSA_T11_S9_li.uses_vcc, 1
	.set _ZL29rocblas_internal_gemmt_kernelIiLi16ELi32ELi8ELc84ELc84ELc85ELb0ELb0E19rocblas_complex_numIfES1_PKPKS1_PKPS1_EviT_T9_T10_S9_lSB_S9_lSA_T11_S9_li.uses_flat_scratch, 0
	.set _ZL29rocblas_internal_gemmt_kernelIiLi16ELi32ELi8ELc84ELc84ELc85ELb0ELb0E19rocblas_complex_numIfES1_PKPKS1_PKPS1_EviT_T9_T10_S9_lSB_S9_lSA_T11_S9_li.has_dyn_sized_stack, 0
	.set _ZL29rocblas_internal_gemmt_kernelIiLi16ELi32ELi8ELc84ELc84ELc85ELb0ELb0E19rocblas_complex_numIfES1_PKPKS1_PKPS1_EviT_T9_T10_S9_lSB_S9_lSA_T11_S9_li.has_recursion, 0
	.set _ZL29rocblas_internal_gemmt_kernelIiLi16ELi32ELi8ELc84ELc84ELc85ELb0ELb0E19rocblas_complex_numIfES1_PKPKS1_PKPS1_EviT_T9_T10_S9_lSB_S9_lSA_T11_S9_li.has_indirect_call, 0
	.section	.AMDGPU.csdata,"",@progbits
; Kernel info:
; codeLenInByte = 2524
; TotalNumSgprs: 29
; NumVgprs: 59
; ScratchSize: 0
; MemoryBound: 1
; FloatMode: 240
; IeeeMode: 1
; LDSByteSize: 4096 bytes/workgroup (compile time only)
; SGPRBlocks: 0
; VGPRBlocks: 7
; NumSGPRsForWavesPerEU: 29
; NumVGPRsForWavesPerEU: 59
; Occupancy: 16
; WaveLimiterHint : 1
; COMPUTE_PGM_RSRC2:SCRATCH_EN: 0
; COMPUTE_PGM_RSRC2:USER_SGPR: 6
; COMPUTE_PGM_RSRC2:TRAP_HANDLER: 0
; COMPUTE_PGM_RSRC2:TGID_X_EN: 1
; COMPUTE_PGM_RSRC2:TGID_Y_EN: 1
; COMPUTE_PGM_RSRC2:TGID_Z_EN: 1
; COMPUTE_PGM_RSRC2:TIDIG_COMP_CNT: 1
	.section	.text._ZL29rocblas_internal_gemmt_kernelIiLi16ELi32ELi8ELc84ELc67ELc85ELb0ELb1E19rocblas_complex_numIfES1_PKPKS1_PKPS1_EviT_T9_T10_S9_lSB_S9_lSA_T11_S9_li,"axG",@progbits,_ZL29rocblas_internal_gemmt_kernelIiLi16ELi32ELi8ELc84ELc67ELc85ELb0ELb1E19rocblas_complex_numIfES1_PKPKS1_PKPS1_EviT_T9_T10_S9_lSB_S9_lSA_T11_S9_li,comdat
	.globl	_ZL29rocblas_internal_gemmt_kernelIiLi16ELi32ELi8ELc84ELc67ELc85ELb0ELb1E19rocblas_complex_numIfES1_PKPKS1_PKPS1_EviT_T9_T10_S9_lSB_S9_lSA_T11_S9_li ; -- Begin function _ZL29rocblas_internal_gemmt_kernelIiLi16ELi32ELi8ELc84ELc67ELc85ELb0ELb1E19rocblas_complex_numIfES1_PKPKS1_PKPS1_EviT_T9_T10_S9_lSB_S9_lSA_T11_S9_li
	.p2align	8
	.type	_ZL29rocblas_internal_gemmt_kernelIiLi16ELi32ELi8ELc84ELc67ELc85ELb0ELb1E19rocblas_complex_numIfES1_PKPKS1_PKPS1_EviT_T9_T10_S9_lSB_S9_lSA_T11_S9_li,@function
_ZL29rocblas_internal_gemmt_kernelIiLi16ELi32ELi8ELc84ELc67ELc85ELb0ELb1E19rocblas_complex_numIfES1_PKPKS1_PKPS1_EviT_T9_T10_S9_lSB_S9_lSA_T11_S9_li: ; @_ZL29rocblas_internal_gemmt_kernelIiLi16ELi32ELi8ELc84ELc67ELc85ELb0ELb1E19rocblas_complex_numIfES1_PKPKS1_PKPS1_EviT_T9_T10_S9_lSB_S9_lSA_T11_S9_li
; %bb.0:
	s_clause 0x1
	s_load_dwordx2 s[2:3], s[4:5], 0x40
	s_load_dwordx4 s[12:15], s[4:5], 0x0
	s_waitcnt lgkmcnt(0)
	s_and_b32 s0, s3, 0x7fffffff
	v_cmp_eq_f32_e64 s1, s2, 1.0
	s_cmp_eq_u32 s0, 0
	s_mov_b32 s0, 0
	s_cselect_b32 s20, -1, 0
	s_and_b32 s1, s1, s20
	s_andn2_b32 vcc_lo, exec_lo, s1
	s_mov_b32 s1, -1
	s_cbranch_vccnz .LBB383_4
; %bb.1:
	s_cmp_lg_u32 s13, 0
	s_cbranch_scc0 .LBB383_3
; %bb.2:
	v_cmp_neq_f32_e64 s0, s14, 0
	v_cmp_neq_f32_e64 s1, s15, 0
	s_or_b32 s0, s0, s1
.LBB383_3:
	s_mov_b32 s1, s0
.LBB383_4:
	s_and_b32 vcc_lo, exec_lo, s1
	s_cbranch_vccz .LBB383_32
; %bb.5:
	s_load_dwordx2 s[10:11], s[4:5], 0x48
	s_mov_b32 s9, 0
	v_cmp_eq_f32_e64 s16, s14, 0
	s_lshl_b64 s[0:1], s[8:9], 3
	v_cmp_eq_f32_e64 s17, s15, 0
	v_mov_b32_e32 v20, 0
	v_mov_b32_e32 v21, 0
	v_mov_b32_e32 v18, 0
	v_mov_b32_e32 v19, 0
	v_mov_b32_e32 v16, 0
	v_mov_b32_e32 v17, 0
	v_mov_b32_e32 v14, 0
	v_mov_b32_e32 v15, 0
	s_waitcnt lgkmcnt(0)
	s_add_u32 s10, s10, s0
	s_addc_u32 s11, s11, s1
	s_lshl_b32 s8, s6, 5
	s_load_dwordx2 s[10:11], s[10:11], 0x0
	s_lshl_b32 s21, s7, 5
	s_and_b32 s6, s16, s17
	s_cmp_lt_i32 s13, 1
	s_cselect_b32 s7, -1, 0
	s_or_b32 s6, s6, s7
	s_and_b32 vcc_lo, exec_lo, s6
	s_cbranch_vccnz .LBB383_16
; %bb.6:
	s_clause 0x4
	s_load_dword s6, s[4:5], 0x30
	s_load_dwordx4 s[16:19], s[4:5], 0x20
	s_load_dword s26, s[4:5], 0x18
	s_load_dwordx2 s[22:23], s[4:5], 0x10
	s_load_dwordx2 s[24:25], s[4:5], 0x38
	v_lshl_add_u32 v2, v1, 4, v0
	v_and_b32_e32 v8, 7, v0
	v_lshlrev_b32_e32 v12, 3, v0
	v_lshl_add_u32 v13, v1, 6, 0x800
	v_mov_b32_e32 v17, 0
	v_and_b32_e32 v4, 31, v2
	v_lshrrev_b32_e32 v5, 3, v2
	v_lshlrev_b32_e32 v6, 3, v8
	v_lshrrev_b32_e32 v9, 5, v2
	v_mov_b32_e32 v16, 0
	v_or_b32_e32 v2, s8, v4
	v_lshlrev_b32_e32 v7, 3, v4
	v_add_nc_u32_e32 v4, s8, v4
	v_add_nc_u32_e32 v3, s21, v5
	v_lshl_or_b32 v11, v5, 6, v6
	s_waitcnt lgkmcnt(0)
	s_ashr_i32 s7, s6, 31
	s_add_u32 s18, s18, s0
	v_mad_i64_i32 v[5:6], null, s26, v4, 0
	s_addc_u32 s19, s19, s1
	s_add_u32 s0, s22, s0
	v_mad_i64_i32 v[14:15], null, s6, v8, 0
	s_addc_u32 s1, s23, s1
	s_load_dwordx2 s[18:19], s[18:19], 0x0
	s_load_dwordx2 s[22:23], s[0:1], 0x0
	v_lshlrev_b64 v[5:6], 3, v[5:6]
	v_ashrrev_i32_e32 v4, 31, v3
	s_lshl_b64 s[16:17], s[16:17], 3
	v_lshl_or_b32 v10, v9, 8, v7
	v_lshlrev_b64 v[14:15], 3, v[14:15]
	v_lshlrev_b32_e32 v7, 3, v9
	v_add_co_u32 v5, s1, v5, s16
	v_add_co_ci_u32_e64 v6, null, s17, v6, s1
	s_lshl_b64 s[16:17], s[24:25], 3
	v_cmp_gt_i32_e64 s0, s12, v3
	v_lshlrev_b64 v[3:4], 3, v[3:4]
	v_add_co_u32 v14, s1, v14, s16
	v_add_co_ci_u32_e64 v15, null, s17, v15, s1
	v_add_co_u32 v5, s1, v5, v7
	v_add_co_ci_u32_e64 v6, null, 0, v6, s1
	;; [unrolled: 2-line block ×3, first 2 shown]
	s_waitcnt lgkmcnt(0)
	v_add_co_u32 v4, s1, s22, v5
	v_cmp_gt_i32_e32 vcc_lo, s12, v2
	v_add_co_ci_u32_e64 v5, null, s23, v6, s1
	v_add_co_u32 v6, s1, s18, v3
	v_add_nc_u32_e32 v11, 0x800, v11
	v_mov_b32_e32 v2, 0
	v_add_co_ci_u32_e64 v7, null, s19, v7, s1
	v_mov_b32_e32 v15, 0
	v_mov_b32_e32 v14, 0
	;; [unrolled: 1-line block ×6, first 2 shown]
	s_lshl_b64 s[6:7], s[6:7], 6
	s_xor_b32 s1, vcc_lo, -1
	s_xor_b32 s0, s0, -1
	s_branch .LBB383_8
.LBB383_7:                              ;   in Loop: Header=BB383_8 Depth=1
	s_or_b32 exec_lo, exec_lo, s16
	ds_write_b32 v11, v3 offset:4
	s_waitcnt lgkmcnt(0)
	s_barrier
	buffer_gl0_inv
	ds_read_b128 v[22:25], v13
	ds_read2_b64 v[26:29], v12 offset1:16
	ds_read_b128 v[30:33], v13 offset:1024
	ds_read_b128 v[34:37], v13 offset:16
	;; [unrolled: 1-line block ×4, first 2 shown]
	ds_read2_b64 v[46:49], v12 offset0:32 offset1:48
	ds_read_b128 v[50:53], v13 offset:1040
	v_add_co_u32 v4, vcc_lo, v4, 64
	v_add_co_ci_u32_e64 v5, null, 0, v5, vcc_lo
	v_add_co_u32 v6, vcc_lo, v6, s6
	v_add_co_ci_u32_e64 v7, null, s7, v7, vcc_lo
	s_add_i32 s9, s9, 8
	s_cmp_lt_i32 s9, s13
	s_waitcnt lgkmcnt(6)
	v_mul_f32_e32 v3, v23, v27
	v_mul_f32_e32 v54, v22, v27
	;; [unrolled: 1-line block ×4, first 2 shown]
	s_waitcnt lgkmcnt(5)
	v_mul_f32_e32 v57, v31, v27
	v_mul_f32_e32 v27, v30, v27
	;; [unrolled: 1-line block ×3, first 2 shown]
	v_fma_f32 v3, v22, v26, -v3
	v_fmac_f32_e32 v54, v23, v26
	v_fma_f32 v22, v22, v28, -v55
	v_fmac_f32_e32 v56, v23, v28
	;; [unrolled: 2-line block ×3, first 2 shown]
	v_mul_f32_e32 v29, v30, v29
	v_fma_f32 v26, v30, v28, -v58
	v_add_f32_e32 v3, v20, v3
	v_add_f32_e32 v20, v21, v54
	;; [unrolled: 1-line block ×6, first 2 shown]
	s_waitcnt lgkmcnt(1)
	v_mul_f32_e32 v30, v25, v47
	ds_read2_b64 v[16:19], v12 offset0:64 offset1:80
	v_fmac_f32_e32 v29, v31, v28
	v_add_f32_e32 v14, v14, v26
	v_mul_f32_e32 v26, v24, v47
	v_fma_f32 v28, v24, v46, -v30
	v_mul_f32_e32 v30, v25, v49
	v_add_f32_e32 v15, v15, v29
	v_mul_f32_e32 v29, v24, v49
	v_fmac_f32_e32 v26, v25, v46
	v_add_f32_e32 v3, v3, v28
	v_fma_f32 v24, v24, v48, -v30
	v_mul_f32_e32 v28, v33, v47
	v_fmac_f32_e32 v29, v25, v48
	v_add_f32_e32 v26, v20, v26
	v_mul_f32_e32 v20, v32, v47
	v_add_f32_e32 v24, v21, v24
	v_fma_f32 v21, v32, v46, -v28
	v_mul_f32_e32 v25, v33, v49
	v_add_f32_e32 v28, v22, v29
	v_fmac_f32_e32 v20, v33, v46
	v_mul_f32_e32 v29, v32, v49
	v_add_f32_e32 v30, v23, v21
	v_fma_f32 v21, v32, v48, -v25
	s_waitcnt lgkmcnt(0)
	v_mul_f32_e32 v22, v35, v17
	v_add_f32_e32 v25, v27, v20
	v_fmac_f32_e32 v29, v33, v48
	v_mul_f32_e32 v27, v34, v17
	v_add_f32_e32 v14, v14, v21
	v_fma_f32 v31, v34, v16, -v22
	v_mul_f32_e32 v32, v35, v19
	ds_read2_b64 v[20:23], v12 offset0:96 offset1:112
	v_fmac_f32_e32 v27, v35, v16
	v_add_f32_e32 v29, v15, v29
	v_add_f32_e32 v3, v3, v31
	v_mul_f32_e32 v15, v34, v19
	v_fma_f32 v31, v34, v18, -v32
	v_add_f32_e32 v26, v26, v27
	v_mul_f32_e32 v27, v51, v17
	v_mul_f32_e32 v17, v50, v17
	v_fmac_f32_e32 v15, v35, v18
	v_add_f32_e32 v24, v24, v31
	v_mul_f32_e32 v31, v51, v19
	v_mul_f32_e32 v19, v50, v19
	v_fmac_f32_e32 v17, v51, v16
	v_add_f32_e32 v28, v28, v15
	v_fma_f32 v27, v50, v16, -v27
	v_fma_f32 v15, v50, v18, -v31
	v_fmac_f32_e32 v19, v51, v18
	v_add_f32_e32 v31, v25, v17
	s_waitcnt lgkmcnt(0)
	v_mul_f32_e32 v18, v37, v21
	v_add_f32_e32 v32, v14, v15
	ds_read2_b64 v[14:17], v12 offset0:128 offset1:144
	v_add_f32_e32 v30, v30, v27
	v_mul_f32_e32 v25, v36, v21
	v_fma_f32 v18, v36, v20, -v18
	v_mul_f32_e32 v27, v37, v23
	v_add_f32_e32 v29, v29, v19
	v_mul_f32_e32 v19, v36, v23
	v_fmac_f32_e32 v25, v37, v20
	v_add_f32_e32 v3, v3, v18
	v_mul_f32_e32 v18, v53, v21
	v_fma_f32 v27, v36, v22, -v27
	v_fmac_f32_e32 v19, v37, v22
	v_mul_f32_e32 v21, v52, v21
	v_mul_f32_e32 v35, v53, v23
	v_fma_f32 v18, v52, v20, -v18
	v_add_f32_e32 v33, v26, v25
	v_add_f32_e32 v34, v24, v27
	ds_read_b128 v[24:27], v13 offset:1056
	v_add_f32_e32 v36, v28, v19
	v_fmac_f32_e32 v21, v53, v20
	v_mul_f32_e32 v23, v52, v23
	v_fma_f32 v19, v52, v22, -v35
	v_add_f32_e32 v35, v30, v18
	s_waitcnt lgkmcnt(1)
	v_mul_f32_e32 v18, v39, v15
	v_add_f32_e32 v37, v31, v21
	v_fmac_f32_e32 v23, v53, v22
	v_add_f32_e32 v22, v32, v19
	v_mul_f32_e32 v32, v38, v15
	v_fma_f32 v28, v38, v14, -v18
	ds_read2_b64 v[18:21], v12 offset0:160 offset1:176
	v_mul_f32_e32 v30, v39, v17
	v_mul_f32_e32 v46, v38, v17
	v_fmac_f32_e32 v32, v39, v14
	v_add_f32_e32 v23, v29, v23
	v_add_f32_e32 v3, v3, v28
	v_fma_f32 v38, v38, v16, -v30
	ds_read_b128 v[28:31], v13 offset:1072
	s_waitcnt lgkmcnt(2)
	v_mul_f32_e32 v47, v25, v15
	v_add_f32_e32 v32, v33, v32
	v_mul_f32_e32 v15, v24, v15
	v_add_f32_e32 v33, v34, v38
	v_mul_f32_e32 v38, v25, v17
	v_fmac_f32_e32 v46, v39, v16
	v_fma_f32 v34, v24, v14, -v47
	v_fmac_f32_e32 v15, v25, v14
	v_mul_f32_e32 v39, v24, v17
	v_fma_f32 v14, v24, v16, -v38
	v_add_f32_e32 v36, v36, v46
	v_add_f32_e32 v34, v35, v34
	s_waitcnt lgkmcnt(1)
	v_mul_f32_e32 v17, v41, v19
	v_add_f32_e32 v24, v37, v15
	v_fmac_f32_e32 v39, v25, v16
	v_mul_f32_e32 v25, v40, v19
	v_add_f32_e32 v22, v22, v14
	v_fma_f32 v35, v40, v18, -v17
	ds_read2_b64 v[14:17], v12 offset0:192 offset1:208
	v_mul_f32_e32 v37, v41, v21
	v_fmac_f32_e32 v25, v41, v18
	v_add_f32_e32 v38, v23, v39
	v_add_f32_e32 v3, v3, v35
	v_mul_f32_e32 v23, v40, v21
	v_fma_f32 v35, v40, v20, -v37
	v_add_f32_e32 v32, v32, v25
	v_mul_f32_e32 v25, v27, v19
	v_mul_f32_e32 v19, v26, v19
	v_fmac_f32_e32 v23, v41, v20
	v_add_f32_e32 v33, v33, v35
	v_mul_f32_e32 v35, v27, v21
	v_fma_f32 v25, v26, v18, -v25
	v_fmac_f32_e32 v19, v27, v18
	v_add_f32_e32 v18, v36, v23
	v_mul_f32_e32 v21, v26, v21
	v_fma_f32 v23, v26, v20, -v35
	v_add_f32_e32 v26, v34, v25
	v_add_f32_e32 v19, v24, v19
	s_waitcnt lgkmcnt(0)
	v_mul_f32_e32 v34, v43, v15
	v_fmac_f32_e32 v21, v27, v20
	v_add_f32_e32 v20, v22, v23
	ds_read2_b64 v[22:25], v12 offset0:224 offset1:240
	v_mul_f32_e32 v27, v42, v15
	v_fma_f32 v34, v42, v14, -v34
	v_mul_f32_e32 v35, v43, v17
	v_mul_f32_e32 v36, v42, v17
	v_add_f32_e32 v21, v38, v21
	v_fmac_f32_e32 v27, v43, v14
	v_add_f32_e32 v3, v3, v34
	v_mul_f32_e32 v34, v29, v15
	v_fma_f32 v35, v42, v16, -v35
	v_fmac_f32_e32 v36, v43, v16
	v_add_f32_e32 v27, v32, v27
	v_mul_f32_e32 v15, v28, v15
	v_fma_f32 v32, v28, v14, -v34
	v_mul_f32_e32 v34, v29, v17
	v_add_f32_e32 v33, v33, v35
	v_add_f32_e32 v35, v18, v36
	v_fmac_f32_e32 v15, v29, v14
	v_add_f32_e32 v14, v26, v32
	v_mul_f32_e32 v17, v28, v17
	v_fma_f32 v18, v28, v16, -v34
	s_waitcnt lgkmcnt(0)
	v_mul_f32_e32 v26, v45, v23
	v_mul_f32_e32 v28, v44, v23
	v_add_f32_e32 v15, v19, v15
	v_fmac_f32_e32 v17, v29, v16
	v_add_f32_e32 v29, v20, v18
	v_fma_f32 v16, v44, v22, -v26
	v_mul_f32_e32 v18, v45, v25
	v_mul_f32_e32 v19, v44, v25
	v_add_f32_e32 v26, v21, v17
	v_mul_f32_e32 v17, v30, v23
	v_add_f32_e32 v20, v3, v16
	v_fma_f32 v3, v44, v24, -v18
	v_mul_f32_e32 v16, v31, v23
	v_mul_f32_e32 v23, v31, v25
	;; [unrolled: 1-line block ×3, first 2 shown]
	v_fmac_f32_e32 v28, v45, v22
	v_fmac_f32_e32 v19, v45, v24
	v_add_f32_e32 v18, v33, v3
	v_fma_f32 v3, v30, v22, -v16
	v_fmac_f32_e32 v17, v31, v22
	v_fma_f32 v22, v30, v24, -v23
	v_fmac_f32_e32 v25, v31, v24
	v_add_f32_e32 v21, v27, v28
	v_add_f32_e32 v19, v35, v19
	;; [unrolled: 1-line block ×6, first 2 shown]
	s_barrier
	buffer_gl0_inv
	s_cbranch_scc0 .LBB383_16
.LBB383_8:                              ; =>This Inner Loop Header: Depth=1
	v_add_nc_u32_e32 v3, s9, v9
	v_cmp_le_i32_e32 vcc_lo, s13, v3
	s_or_b32 s16, s1, vcc_lo
	s_and_saveexec_b32 s17, s16
	s_xor_b32 s16, exec_lo, s17
; %bb.9:                                ;   in Loop: Header=BB383_8 Depth=1
	v_mov_b32_e32 v3, v2
	ds_write_b64 v10, v[2:3]
; %bb.10:                               ;   in Loop: Header=BB383_8 Depth=1
	s_andn2_saveexec_b32 s16, s16
	s_cbranch_execz .LBB383_12
; %bb.11:                               ;   in Loop: Header=BB383_8 Depth=1
	flat_load_dwordx2 v[22:23], v[4:5]
	s_waitcnt vmcnt(0) lgkmcnt(0)
	ds_write_b64 v10, v[22:23]
.LBB383_12:                             ;   in Loop: Header=BB383_8 Depth=1
	s_or_b32 exec_lo, exec_lo, s16
	v_add_nc_u32_e32 v3, s9, v8
	v_cmp_le_i32_e32 vcc_lo, s13, v3
	s_or_b32 s16, vcc_lo, s0
	s_and_saveexec_b32 s17, s16
	s_xor_b32 s16, exec_lo, s17
; %bb.13:                               ;   in Loop: Header=BB383_8 Depth=1
	ds_write_b32 v11, v2
; %bb.14:                               ;   in Loop: Header=BB383_8 Depth=1
	s_or_saveexec_b32 s16, s16
	v_mov_b32_e32 v3, 0
	s_xor_b32 exec_lo, exec_lo, s16
	s_cbranch_execz .LBB383_7
; %bb.15:                               ;   in Loop: Header=BB383_8 Depth=1
	flat_load_dwordx2 v[22:23], v[6:7]
	s_waitcnt vmcnt(0) lgkmcnt(0)
	v_xor_b32_e32 v3, 0x80000000, v23
	ds_write_b32 v11, v22
	s_branch .LBB383_7
.LBB383_16:
	s_clause 0x1
	s_load_dword s6, s[4:5], 0x50
	s_load_dwordx2 s[4:5], s[4:5], 0x58
	v_add_nc_u32_e32 v9, s21, v1
	v_add_nc_u32_e32 v0, s8, v0
	v_cmp_neq_f32_e64 s7, s2, 0
	v_cmp_gt_i32_e64 s0, s12, v9
	v_cmp_le_i32_e32 vcc_lo, v0, v9
	s_waitcnt lgkmcnt(0)
	v_mad_i64_i32 v[1:2], null, v9, s6, 0
	s_lshl_b64 s[4:5], s[4:5], 3
	s_add_u32 s4, s10, s4
	s_addc_u32 s5, s11, s5
	s_xor_b32 s8, s20, -1
	s_or_b32 s7, s7, s8
	v_lshlrev_b64 v[2:3], 3, v[1:2]
	v_ashrrev_i32_e32 v1, 31, v0
	v_cndmask_b32_e64 v8, 0, 1, s7
	s_and_b32 s8, s0, vcc_lo
	v_add_co_u32 v6, s1, s4, v2
	v_add_co_ci_u32_e64 v7, null, s5, v3, s1
	s_and_saveexec_b32 s1, s8
	s_cbranch_execz .LBB383_20
; %bb.17:
	v_lshlrev_b64 v[4:5], 3, v[0:1]
	v_mul_f32_e32 v2, s15, v21
	v_mul_f32_e32 v3, s14, v21
	v_fma_f32 v2, v20, s14, -v2
	v_add_co_u32 v4, vcc_lo, v6, v4
	v_fmac_f32_e32 v3, s15, v20
	v_add_co_ci_u32_e64 v5, null, v7, v5, vcc_lo
	s_andn2_b32 vcc_lo, exec_lo, s7
	s_cbranch_vccnz .LBB383_19
; %bb.18:
	flat_load_dwordx2 v[10:11], v[4:5]
	s_waitcnt vmcnt(0) lgkmcnt(0)
	v_mul_f32_e32 v12, s3, v11
	v_mul_f32_e32 v11, s2, v11
	v_fma_f32 v12, v10, s2, -v12
	v_fmac_f32_e32 v11, s3, v10
	v_add_f32_e32 v2, v2, v12
	v_add_f32_e32 v3, v3, v11
.LBB383_19:
	flat_store_dwordx2 v[4:5], v[2:3]
.LBB383_20:
	s_or_b32 exec_lo, exec_lo, s1
	v_add_nc_u32_e32 v2, 16, v0
	v_cmp_le_i32_e32 vcc_lo, v2, v9
	v_ashrrev_i32_e32 v3, 31, v2
	s_and_b32 s0, s0, vcc_lo
	s_and_saveexec_b32 s1, s0
	s_cbranch_execz .LBB383_24
; %bb.21:
	v_lshlrev_b64 v[10:11], 3, v[2:3]
	v_mul_f32_e32 v4, s15, v19
	v_mul_f32_e32 v5, s14, v19
	v_cmp_ne_u32_e32 vcc_lo, 1, v8
	v_fma_f32 v4, v18, s14, -v4
	v_add_co_u32 v6, s0, v6, v10
	v_fmac_f32_e32 v5, s15, v18
	v_add_co_ci_u32_e64 v7, null, v7, v11, s0
	s_cbranch_vccnz .LBB383_23
; %bb.22:
	flat_load_dwordx2 v[10:11], v[6:7]
	s_waitcnt vmcnt(0) lgkmcnt(0)
	v_mul_f32_e32 v12, s3, v11
	v_mul_f32_e32 v11, s2, v11
	v_fma_f32 v12, v10, s2, -v12
	v_fmac_f32_e32 v11, s3, v10
	v_add_f32_e32 v4, v4, v12
	v_add_f32_e32 v5, v5, v11
.LBB383_23:
	flat_store_dwordx2 v[6:7], v[4:5]
.LBB383_24:
	s_or_b32 exec_lo, exec_lo, s1
	v_add_nc_u32_e32 v9, 16, v9
	v_mad_i64_i32 v[4:5], null, v9, s6, 0
	v_cmp_gt_i32_e64 s0, s12, v9
	v_cmp_le_i32_e32 vcc_lo, v0, v9
	v_lshlrev_b64 v[4:5], 3, v[4:5]
	v_add_co_u32 v6, s1, s4, v4
	v_add_co_ci_u32_e64 v7, null, s5, v5, s1
	s_and_b32 s1, s0, vcc_lo
	s_and_saveexec_b32 s4, s1
	s_cbranch_execz .LBB383_28
; %bb.25:
	v_lshlrev_b64 v[0:1], 3, v[0:1]
	v_mul_f32_e32 v4, s15, v17
	v_mul_f32_e32 v5, s14, v17
	v_cmp_ne_u32_e32 vcc_lo, 1, v8
	v_fma_f32 v4, v16, s14, -v4
	v_add_co_u32 v0, s1, v6, v0
	v_fmac_f32_e32 v5, s15, v16
	v_add_co_ci_u32_e64 v1, null, v7, v1, s1
	s_cbranch_vccnz .LBB383_27
; %bb.26:
	flat_load_dwordx2 v[10:11], v[0:1]
	s_waitcnt vmcnt(0) lgkmcnt(0)
	v_mul_f32_e32 v12, s3, v11
	v_mul_f32_e32 v11, s2, v11
	v_fma_f32 v12, v10, s2, -v12
	v_fmac_f32_e32 v11, s3, v10
	v_add_f32_e32 v4, v4, v12
	v_add_f32_e32 v5, v5, v11
.LBB383_27:
	flat_store_dwordx2 v[0:1], v[4:5]
.LBB383_28:
	s_or_b32 exec_lo, exec_lo, s4
	v_cmp_le_i32_e32 vcc_lo, v2, v9
	s_and_b32 s0, s0, vcc_lo
	s_and_saveexec_b32 s1, s0
	s_cbranch_execz .LBB383_32
; %bb.29:
	v_lshlrev_b64 v[2:3], 3, v[2:3]
	v_mul_f32_e32 v0, s15, v15
	v_mul_f32_e32 v1, s14, v15
	v_cmp_ne_u32_e32 vcc_lo, 1, v8
	v_fma_f32 v0, v14, s14, -v0
	v_add_co_u32 v2, s0, v6, v2
	v_fmac_f32_e32 v1, s15, v14
	v_add_co_ci_u32_e64 v3, null, v7, v3, s0
	s_cbranch_vccnz .LBB383_31
; %bb.30:
	flat_load_dwordx2 v[4:5], v[2:3]
	s_waitcnt vmcnt(0) lgkmcnt(0)
	v_mul_f32_e32 v6, s3, v5
	v_mul_f32_e32 v5, s2, v5
	v_fma_f32 v6, v4, s2, -v6
	v_fmac_f32_e32 v5, s3, v4
	v_add_f32_e32 v0, v0, v6
	v_add_f32_e32 v1, v1, v5
.LBB383_31:
	flat_store_dwordx2 v[2:3], v[0:1]
.LBB383_32:
	s_endpgm
	.section	.rodata,"a",@progbits
	.p2align	6, 0x0
	.amdhsa_kernel _ZL29rocblas_internal_gemmt_kernelIiLi16ELi32ELi8ELc84ELc67ELc85ELb0ELb1E19rocblas_complex_numIfES1_PKPKS1_PKPS1_EviT_T9_T10_S9_lSB_S9_lSA_T11_S9_li
		.amdhsa_group_segment_fixed_size 4096
		.amdhsa_private_segment_fixed_size 0
		.amdhsa_kernarg_size 100
		.amdhsa_user_sgpr_count 6
		.amdhsa_user_sgpr_private_segment_buffer 1
		.amdhsa_user_sgpr_dispatch_ptr 0
		.amdhsa_user_sgpr_queue_ptr 0
		.amdhsa_user_sgpr_kernarg_segment_ptr 1
		.amdhsa_user_sgpr_dispatch_id 0
		.amdhsa_user_sgpr_flat_scratch_init 0
		.amdhsa_user_sgpr_private_segment_size 0
		.amdhsa_wavefront_size32 1
		.amdhsa_uses_dynamic_stack 0
		.amdhsa_system_sgpr_private_segment_wavefront_offset 0
		.amdhsa_system_sgpr_workgroup_id_x 1
		.amdhsa_system_sgpr_workgroup_id_y 1
		.amdhsa_system_sgpr_workgroup_id_z 1
		.amdhsa_system_sgpr_workgroup_info 0
		.amdhsa_system_vgpr_workitem_id 1
		.amdhsa_next_free_vgpr 59
		.amdhsa_next_free_sgpr 27
		.amdhsa_reserve_vcc 1
		.amdhsa_reserve_flat_scratch 0
		.amdhsa_float_round_mode_32 0
		.amdhsa_float_round_mode_16_64 0
		.amdhsa_float_denorm_mode_32 3
		.amdhsa_float_denorm_mode_16_64 3
		.amdhsa_dx10_clamp 1
		.amdhsa_ieee_mode 1
		.amdhsa_fp16_overflow 0
		.amdhsa_workgroup_processor_mode 1
		.amdhsa_memory_ordered 1
		.amdhsa_forward_progress 1
		.amdhsa_shared_vgpr_count 0
		.amdhsa_exception_fp_ieee_invalid_op 0
		.amdhsa_exception_fp_denorm_src 0
		.amdhsa_exception_fp_ieee_div_zero 0
		.amdhsa_exception_fp_ieee_overflow 0
		.amdhsa_exception_fp_ieee_underflow 0
		.amdhsa_exception_fp_ieee_inexact 0
		.amdhsa_exception_int_div_zero 0
	.end_amdhsa_kernel
	.section	.text._ZL29rocblas_internal_gemmt_kernelIiLi16ELi32ELi8ELc84ELc67ELc85ELb0ELb1E19rocblas_complex_numIfES1_PKPKS1_PKPS1_EviT_T9_T10_S9_lSB_S9_lSA_T11_S9_li,"axG",@progbits,_ZL29rocblas_internal_gemmt_kernelIiLi16ELi32ELi8ELc84ELc67ELc85ELb0ELb1E19rocblas_complex_numIfES1_PKPKS1_PKPS1_EviT_T9_T10_S9_lSB_S9_lSA_T11_S9_li,comdat
.Lfunc_end383:
	.size	_ZL29rocblas_internal_gemmt_kernelIiLi16ELi32ELi8ELc84ELc67ELc85ELb0ELb1E19rocblas_complex_numIfES1_PKPKS1_PKPS1_EviT_T9_T10_S9_lSB_S9_lSA_T11_S9_li, .Lfunc_end383-_ZL29rocblas_internal_gemmt_kernelIiLi16ELi32ELi8ELc84ELc67ELc85ELb0ELb1E19rocblas_complex_numIfES1_PKPKS1_PKPS1_EviT_T9_T10_S9_lSB_S9_lSA_T11_S9_li
                                        ; -- End function
	.set _ZL29rocblas_internal_gemmt_kernelIiLi16ELi32ELi8ELc84ELc67ELc85ELb0ELb1E19rocblas_complex_numIfES1_PKPKS1_PKPS1_EviT_T9_T10_S9_lSB_S9_lSA_T11_S9_li.num_vgpr, 59
	.set _ZL29rocblas_internal_gemmt_kernelIiLi16ELi32ELi8ELc84ELc67ELc85ELb0ELb1E19rocblas_complex_numIfES1_PKPKS1_PKPS1_EviT_T9_T10_S9_lSB_S9_lSA_T11_S9_li.num_agpr, 0
	.set _ZL29rocblas_internal_gemmt_kernelIiLi16ELi32ELi8ELc84ELc67ELc85ELb0ELb1E19rocblas_complex_numIfES1_PKPKS1_PKPS1_EviT_T9_T10_S9_lSB_S9_lSA_T11_S9_li.numbered_sgpr, 27
	.set _ZL29rocblas_internal_gemmt_kernelIiLi16ELi32ELi8ELc84ELc67ELc85ELb0ELb1E19rocblas_complex_numIfES1_PKPKS1_PKPS1_EviT_T9_T10_S9_lSB_S9_lSA_T11_S9_li.num_named_barrier, 0
	.set _ZL29rocblas_internal_gemmt_kernelIiLi16ELi32ELi8ELc84ELc67ELc85ELb0ELb1E19rocblas_complex_numIfES1_PKPKS1_PKPS1_EviT_T9_T10_S9_lSB_S9_lSA_T11_S9_li.private_seg_size, 0
	.set _ZL29rocblas_internal_gemmt_kernelIiLi16ELi32ELi8ELc84ELc67ELc85ELb0ELb1E19rocblas_complex_numIfES1_PKPKS1_PKPS1_EviT_T9_T10_S9_lSB_S9_lSA_T11_S9_li.uses_vcc, 1
	.set _ZL29rocblas_internal_gemmt_kernelIiLi16ELi32ELi8ELc84ELc67ELc85ELb0ELb1E19rocblas_complex_numIfES1_PKPKS1_PKPS1_EviT_T9_T10_S9_lSB_S9_lSA_T11_S9_li.uses_flat_scratch, 0
	.set _ZL29rocblas_internal_gemmt_kernelIiLi16ELi32ELi8ELc84ELc67ELc85ELb0ELb1E19rocblas_complex_numIfES1_PKPKS1_PKPS1_EviT_T9_T10_S9_lSB_S9_lSA_T11_S9_li.has_dyn_sized_stack, 0
	.set _ZL29rocblas_internal_gemmt_kernelIiLi16ELi32ELi8ELc84ELc67ELc85ELb0ELb1E19rocblas_complex_numIfES1_PKPKS1_PKPS1_EviT_T9_T10_S9_lSB_S9_lSA_T11_S9_li.has_recursion, 0
	.set _ZL29rocblas_internal_gemmt_kernelIiLi16ELi32ELi8ELc84ELc67ELc85ELb0ELb1E19rocblas_complex_numIfES1_PKPKS1_PKPS1_EviT_T9_T10_S9_lSB_S9_lSA_T11_S9_li.has_indirect_call, 0
	.section	.AMDGPU.csdata,"",@progbits
; Kernel info:
; codeLenInByte = 2544
; TotalNumSgprs: 29
; NumVgprs: 59
; ScratchSize: 0
; MemoryBound: 1
; FloatMode: 240
; IeeeMode: 1
; LDSByteSize: 4096 bytes/workgroup (compile time only)
; SGPRBlocks: 0
; VGPRBlocks: 7
; NumSGPRsForWavesPerEU: 29
; NumVGPRsForWavesPerEU: 59
; Occupancy: 16
; WaveLimiterHint : 1
; COMPUTE_PGM_RSRC2:SCRATCH_EN: 0
; COMPUTE_PGM_RSRC2:USER_SGPR: 6
; COMPUTE_PGM_RSRC2:TRAP_HANDLER: 0
; COMPUTE_PGM_RSRC2:TGID_X_EN: 1
; COMPUTE_PGM_RSRC2:TGID_Y_EN: 1
; COMPUTE_PGM_RSRC2:TGID_Z_EN: 1
; COMPUTE_PGM_RSRC2:TIDIG_COMP_CNT: 1
	.section	.text._ZL29rocblas_internal_gemmt_kernelIiLi16ELi32ELi8ELc67ELc78ELc85ELb1ELb0E19rocblas_complex_numIfES1_PKPKS1_PKPS1_EviT_T9_T10_S9_lSB_S9_lSA_T11_S9_li,"axG",@progbits,_ZL29rocblas_internal_gemmt_kernelIiLi16ELi32ELi8ELc67ELc78ELc85ELb1ELb0E19rocblas_complex_numIfES1_PKPKS1_PKPS1_EviT_T9_T10_S9_lSB_S9_lSA_T11_S9_li,comdat
	.globl	_ZL29rocblas_internal_gemmt_kernelIiLi16ELi32ELi8ELc67ELc78ELc85ELb1ELb0E19rocblas_complex_numIfES1_PKPKS1_PKPS1_EviT_T9_T10_S9_lSB_S9_lSA_T11_S9_li ; -- Begin function _ZL29rocblas_internal_gemmt_kernelIiLi16ELi32ELi8ELc67ELc78ELc85ELb1ELb0E19rocblas_complex_numIfES1_PKPKS1_PKPS1_EviT_T9_T10_S9_lSB_S9_lSA_T11_S9_li
	.p2align	8
	.type	_ZL29rocblas_internal_gemmt_kernelIiLi16ELi32ELi8ELc67ELc78ELc85ELb1ELb0E19rocblas_complex_numIfES1_PKPKS1_PKPS1_EviT_T9_T10_S9_lSB_S9_lSA_T11_S9_li,@function
_ZL29rocblas_internal_gemmt_kernelIiLi16ELi32ELi8ELc67ELc78ELc85ELb1ELb0E19rocblas_complex_numIfES1_PKPKS1_PKPS1_EviT_T9_T10_S9_lSB_S9_lSA_T11_S9_li: ; @_ZL29rocblas_internal_gemmt_kernelIiLi16ELi32ELi8ELc67ELc78ELc85ELb1ELb0E19rocblas_complex_numIfES1_PKPKS1_PKPS1_EviT_T9_T10_S9_lSB_S9_lSA_T11_S9_li
; %bb.0:
	s_clause 0x1
	s_load_dwordx2 s[2:3], s[4:5], 0x40
	s_load_dwordx4 s[12:15], s[4:5], 0x0
	s_waitcnt lgkmcnt(0)
	s_and_b32 s0, s3, 0x7fffffff
	v_cmp_eq_f32_e64 s1, s2, 1.0
	s_cmp_eq_u32 s0, 0
	s_mov_b32 s0, 0
	s_cselect_b32 s20, -1, 0
	s_and_b32 s1, s1, s20
	s_andn2_b32 vcc_lo, exec_lo, s1
	s_mov_b32 s1, -1
	s_cbranch_vccnz .LBB384_4
; %bb.1:
	s_cmp_lg_u32 s13, 0
	s_cbranch_scc0 .LBB384_3
; %bb.2:
	v_cmp_neq_f32_e64 s0, s14, 0
	v_cmp_neq_f32_e64 s1, s15, 0
	s_or_b32 s0, s0, s1
.LBB384_3:
	s_mov_b32 s1, s0
.LBB384_4:
	s_and_b32 vcc_lo, exec_lo, s1
	s_cbranch_vccz .LBB384_32
; %bb.5:
	s_load_dwordx2 s[10:11], s[4:5], 0x48
	s_mov_b32 s9, 0
	v_cmp_eq_f32_e64 s16, s14, 0
	s_lshl_b64 s[0:1], s[8:9], 3
	v_cmp_eq_f32_e64 s8, s15, 0
	v_mov_b32_e32 v20, 0
	v_mov_b32_e32 v21, 0
	;; [unrolled: 1-line block ×8, first 2 shown]
	s_waitcnt lgkmcnt(0)
	s_add_u32 s10, s10, s0
	s_addc_u32 s11, s11, s1
	s_lshl_b32 s6, s6, 5
	s_load_dwordx2 s[10:11], s[10:11], 0x0
	s_lshl_b32 s7, s7, 5
	s_and_b32 s8, s16, s8
	s_cmp_lt_i32 s13, 1
	s_cselect_b32 s16, -1, 0
	s_or_b32 s8, s8, s16
	s_and_b32 vcc_lo, exec_lo, s8
	s_cbranch_vccnz .LBB384_16
; %bb.6:
	s_clause 0x4
	s_load_dwordx4 s[16:19], s[4:5], 0x20
	s_load_dword s8, s[4:5], 0x18
	s_load_dwordx2 s[22:23], s[4:5], 0x10
	s_load_dword s21, s[4:5], 0x30
	s_load_dwordx2 s[24:25], s[4:5], 0x38
	v_lshl_add_u32 v2, v1, 4, v0
	v_and_b32_e32 v8, 7, v0
	v_lshlrev_b32_e32 v12, 3, v0
	v_lshl_add_u32 v13, v1, 6, 0x800
	v_mov_b32_e32 v15, 0
	v_and_b32_e32 v3, 31, v2
	v_lshrrev_b32_e32 v4, 3, v2
	v_lshrrev_b32_e32 v9, 5, v2
	v_lshlrev_b32_e32 v6, 3, v8
	v_mov_b32_e32 v17, 0
	v_or_b32_e32 v2, s6, v3
	v_lshlrev_b32_e32 v10, 3, v3
	v_add_nc_u32_e32 v3, s6, v3
	v_add_nc_u32_e32 v7, s7, v4
	v_lshl_or_b32 v11, v4, 6, v6
	v_cmp_gt_i32_e32 vcc_lo, s12, v2
	s_waitcnt lgkmcnt(0)
	s_add_u32 s18, s18, s0
	v_mad_i64_i32 v[2:3], null, s8, v3, 0
	s_addc_u32 s19, s19, s1
	s_add_u32 s0, s22, s0
	v_mad_i64_i32 v[4:5], null, s21, v7, 0
	s_addc_u32 s1, s23, s1
	s_load_dwordx2 s[18:19], s[18:19], 0x0
	s_load_dwordx2 s[22:23], s[0:1], 0x0
	v_lshlrev_b64 v[2:3], 3, v[2:3]
	s_lshl_b64 s[16:17], s[16:17], 3
	v_cmp_gt_i32_e64 s0, s12, v7
	v_lshlrev_b32_e32 v14, 3, v9
	v_lshlrev_b64 v[4:5], 3, v[4:5]
	v_lshl_or_b32 v10, v9, 8, v10
	v_add_co_u32 v7, s1, v2, s16
	v_add_co_ci_u32_e64 v3, null, s17, v3, s1
	s_lshl_b64 s[16:17], s[24:25], 3
	v_add_nc_u32_e32 v11, 0x800, v11
	v_add_co_u32 v4, s1, v4, s16
	v_add_co_ci_u32_e64 v5, null, s17, v5, s1
	v_add_co_u32 v7, s1, v7, v14
	v_add_co_ci_u32_e64 v3, null, 0, v3, s1
	;; [unrolled: 2-line block ×3, first 2 shown]
	s_waitcnt lgkmcnt(0)
	v_add_co_u32 v4, s1, s22, v7
	v_add_co_ci_u32_e64 v5, null, s23, v3, s1
	v_add_co_u32 v6, s1, s18, v6
	v_mov_b32_e32 v2, 0
	v_add_co_ci_u32_e64 v7, null, s19, v14, s1
	v_mov_b32_e32 v14, 0
	v_mov_b32_e32 v16, 0
	;; [unrolled: 1-line block ×6, first 2 shown]
	s_xor_b32 s1, vcc_lo, -1
	s_xor_b32 s0, s0, -1
	s_branch .LBB384_8
.LBB384_7:                              ;   in Loop: Header=BB384_8 Depth=1
	s_or_b32 exec_lo, exec_lo, s8
	s_waitcnt lgkmcnt(0)
	s_barrier
	buffer_gl0_inv
	ds_read_b128 v[22:25], v13
	ds_read2_b64 v[26:29], v12 offset1:16
	ds_read_b128 v[30:33], v13 offset:1024
	ds_read_b128 v[34:37], v13 offset:16
	;; [unrolled: 1-line block ×4, first 2 shown]
	ds_read2_b64 v[46:49], v12 offset0:32 offset1:48
	ds_read_b128 v[50:53], v13 offset:1040
	v_add_co_u32 v4, vcc_lo, v4, 64
	v_add_co_ci_u32_e64 v5, null, 0, v5, vcc_lo
	v_add_co_u32 v6, vcc_lo, v6, 64
	v_add_co_ci_u32_e64 v7, null, 0, v7, vcc_lo
	s_add_i32 s9, s9, 8
	s_cmp_lt_i32 s9, s13
	s_waitcnt lgkmcnt(6)
	v_mul_f32_e32 v3, v23, v27
	v_mul_f32_e32 v54, v22, v27
	;; [unrolled: 1-line block ×4, first 2 shown]
	s_waitcnt lgkmcnt(5)
	v_mul_f32_e32 v57, v31, v27
	v_mul_f32_e32 v27, v30, v27
	;; [unrolled: 1-line block ×3, first 2 shown]
	v_fma_f32 v3, v22, v26, -v3
	v_fmac_f32_e32 v54, v23, v26
	v_fma_f32 v22, v22, v28, -v55
	v_fmac_f32_e32 v56, v23, v28
	;; [unrolled: 2-line block ×3, first 2 shown]
	v_mul_f32_e32 v29, v30, v29
	v_fma_f32 v26, v30, v28, -v58
	v_add_f32_e32 v3, v20, v3
	v_add_f32_e32 v20, v21, v54
	;; [unrolled: 1-line block ×6, first 2 shown]
	s_waitcnt lgkmcnt(1)
	v_mul_f32_e32 v30, v25, v47
	ds_read2_b64 v[16:19], v12 offset0:64 offset1:80
	v_fmac_f32_e32 v29, v31, v28
	v_add_f32_e32 v14, v14, v26
	v_mul_f32_e32 v26, v24, v47
	v_fma_f32 v28, v24, v46, -v30
	v_mul_f32_e32 v30, v25, v49
	v_add_f32_e32 v15, v15, v29
	v_mul_f32_e32 v29, v24, v49
	v_fmac_f32_e32 v26, v25, v46
	v_add_f32_e32 v3, v3, v28
	v_fma_f32 v24, v24, v48, -v30
	v_mul_f32_e32 v28, v33, v47
	v_fmac_f32_e32 v29, v25, v48
	v_add_f32_e32 v26, v20, v26
	v_mul_f32_e32 v20, v32, v47
	v_add_f32_e32 v24, v21, v24
	v_fma_f32 v21, v32, v46, -v28
	v_mul_f32_e32 v25, v33, v49
	v_add_f32_e32 v28, v22, v29
	v_fmac_f32_e32 v20, v33, v46
	v_mul_f32_e32 v29, v32, v49
	v_add_f32_e32 v30, v23, v21
	v_fma_f32 v21, v32, v48, -v25
	s_waitcnt lgkmcnt(0)
	v_mul_f32_e32 v22, v35, v17
	v_add_f32_e32 v25, v27, v20
	v_fmac_f32_e32 v29, v33, v48
	v_mul_f32_e32 v27, v34, v17
	v_add_f32_e32 v14, v14, v21
	v_fma_f32 v31, v34, v16, -v22
	v_mul_f32_e32 v32, v35, v19
	ds_read2_b64 v[20:23], v12 offset0:96 offset1:112
	v_fmac_f32_e32 v27, v35, v16
	v_add_f32_e32 v29, v15, v29
	v_add_f32_e32 v3, v3, v31
	v_mul_f32_e32 v15, v34, v19
	v_fma_f32 v31, v34, v18, -v32
	v_add_f32_e32 v26, v26, v27
	v_mul_f32_e32 v27, v51, v17
	v_mul_f32_e32 v17, v50, v17
	v_fmac_f32_e32 v15, v35, v18
	v_add_f32_e32 v24, v24, v31
	v_mul_f32_e32 v31, v51, v19
	v_mul_f32_e32 v19, v50, v19
	v_fmac_f32_e32 v17, v51, v16
	v_add_f32_e32 v28, v28, v15
	v_fma_f32 v27, v50, v16, -v27
	v_fma_f32 v15, v50, v18, -v31
	v_fmac_f32_e32 v19, v51, v18
	v_add_f32_e32 v31, v25, v17
	s_waitcnt lgkmcnt(0)
	v_mul_f32_e32 v18, v37, v21
	v_add_f32_e32 v32, v14, v15
	ds_read2_b64 v[14:17], v12 offset0:128 offset1:144
	v_add_f32_e32 v30, v30, v27
	v_mul_f32_e32 v25, v36, v21
	v_fma_f32 v18, v36, v20, -v18
	v_mul_f32_e32 v27, v37, v23
	v_add_f32_e32 v29, v29, v19
	v_mul_f32_e32 v19, v36, v23
	v_fmac_f32_e32 v25, v37, v20
	v_add_f32_e32 v3, v3, v18
	v_mul_f32_e32 v18, v53, v21
	v_fma_f32 v27, v36, v22, -v27
	v_fmac_f32_e32 v19, v37, v22
	v_mul_f32_e32 v21, v52, v21
	v_mul_f32_e32 v35, v53, v23
	v_fma_f32 v18, v52, v20, -v18
	v_add_f32_e32 v33, v26, v25
	v_add_f32_e32 v34, v24, v27
	ds_read_b128 v[24:27], v13 offset:1056
	v_add_f32_e32 v36, v28, v19
	v_fmac_f32_e32 v21, v53, v20
	v_mul_f32_e32 v23, v52, v23
	v_fma_f32 v19, v52, v22, -v35
	v_add_f32_e32 v35, v30, v18
	s_waitcnt lgkmcnt(1)
	v_mul_f32_e32 v18, v39, v15
	v_add_f32_e32 v37, v31, v21
	v_fmac_f32_e32 v23, v53, v22
	v_add_f32_e32 v22, v32, v19
	v_mul_f32_e32 v32, v38, v15
	v_fma_f32 v28, v38, v14, -v18
	ds_read2_b64 v[18:21], v12 offset0:160 offset1:176
	v_mul_f32_e32 v30, v39, v17
	v_mul_f32_e32 v46, v38, v17
	v_fmac_f32_e32 v32, v39, v14
	v_add_f32_e32 v23, v29, v23
	v_add_f32_e32 v3, v3, v28
	v_fma_f32 v38, v38, v16, -v30
	ds_read_b128 v[28:31], v13 offset:1072
	s_waitcnt lgkmcnt(2)
	v_mul_f32_e32 v47, v25, v15
	v_add_f32_e32 v32, v33, v32
	v_mul_f32_e32 v15, v24, v15
	v_add_f32_e32 v33, v34, v38
	v_mul_f32_e32 v38, v25, v17
	v_fmac_f32_e32 v46, v39, v16
	v_fma_f32 v34, v24, v14, -v47
	v_fmac_f32_e32 v15, v25, v14
	v_mul_f32_e32 v39, v24, v17
	v_fma_f32 v14, v24, v16, -v38
	v_add_f32_e32 v36, v36, v46
	v_add_f32_e32 v34, v35, v34
	s_waitcnt lgkmcnt(1)
	v_mul_f32_e32 v17, v41, v19
	v_add_f32_e32 v24, v37, v15
	v_fmac_f32_e32 v39, v25, v16
	v_mul_f32_e32 v25, v40, v19
	v_add_f32_e32 v22, v22, v14
	v_fma_f32 v35, v40, v18, -v17
	ds_read2_b64 v[14:17], v12 offset0:192 offset1:208
	v_mul_f32_e32 v37, v41, v21
	v_fmac_f32_e32 v25, v41, v18
	v_add_f32_e32 v38, v23, v39
	v_add_f32_e32 v3, v3, v35
	v_mul_f32_e32 v23, v40, v21
	v_fma_f32 v35, v40, v20, -v37
	v_add_f32_e32 v32, v32, v25
	v_mul_f32_e32 v25, v27, v19
	v_mul_f32_e32 v19, v26, v19
	v_fmac_f32_e32 v23, v41, v20
	v_add_f32_e32 v33, v33, v35
	v_mul_f32_e32 v35, v27, v21
	v_fma_f32 v25, v26, v18, -v25
	v_fmac_f32_e32 v19, v27, v18
	v_add_f32_e32 v18, v36, v23
	v_mul_f32_e32 v21, v26, v21
	v_fma_f32 v23, v26, v20, -v35
	v_add_f32_e32 v26, v34, v25
	v_add_f32_e32 v19, v24, v19
	s_waitcnt lgkmcnt(0)
	v_mul_f32_e32 v34, v43, v15
	v_fmac_f32_e32 v21, v27, v20
	v_add_f32_e32 v20, v22, v23
	ds_read2_b64 v[22:25], v12 offset0:224 offset1:240
	v_mul_f32_e32 v27, v42, v15
	v_fma_f32 v34, v42, v14, -v34
	v_mul_f32_e32 v35, v43, v17
	v_mul_f32_e32 v36, v42, v17
	v_add_f32_e32 v21, v38, v21
	v_fmac_f32_e32 v27, v43, v14
	v_add_f32_e32 v3, v3, v34
	v_mul_f32_e32 v34, v29, v15
	v_fma_f32 v35, v42, v16, -v35
	v_fmac_f32_e32 v36, v43, v16
	v_add_f32_e32 v27, v32, v27
	v_mul_f32_e32 v15, v28, v15
	v_fma_f32 v32, v28, v14, -v34
	v_mul_f32_e32 v34, v29, v17
	v_add_f32_e32 v33, v33, v35
	v_add_f32_e32 v35, v18, v36
	v_fmac_f32_e32 v15, v29, v14
	v_add_f32_e32 v14, v26, v32
	v_mul_f32_e32 v17, v28, v17
	v_fma_f32 v18, v28, v16, -v34
	s_waitcnt lgkmcnt(0)
	v_mul_f32_e32 v26, v45, v23
	v_mul_f32_e32 v28, v44, v23
	v_add_f32_e32 v15, v19, v15
	v_fmac_f32_e32 v17, v29, v16
	v_add_f32_e32 v29, v20, v18
	v_fma_f32 v16, v44, v22, -v26
	v_mul_f32_e32 v18, v45, v25
	v_mul_f32_e32 v19, v44, v25
	v_add_f32_e32 v26, v21, v17
	v_mul_f32_e32 v17, v30, v23
	v_add_f32_e32 v20, v3, v16
	v_fma_f32 v3, v44, v24, -v18
	v_mul_f32_e32 v16, v31, v23
	v_mul_f32_e32 v23, v31, v25
	;; [unrolled: 1-line block ×3, first 2 shown]
	v_fmac_f32_e32 v28, v45, v22
	v_fmac_f32_e32 v19, v45, v24
	v_add_f32_e32 v18, v33, v3
	v_fma_f32 v3, v30, v22, -v16
	v_fmac_f32_e32 v17, v31, v22
	v_fma_f32 v22, v30, v24, -v23
	v_fmac_f32_e32 v25, v31, v24
	v_add_f32_e32 v21, v27, v28
	v_add_f32_e32 v19, v35, v19
	;; [unrolled: 1-line block ×6, first 2 shown]
	s_barrier
	buffer_gl0_inv
	s_cbranch_scc0 .LBB384_16
.LBB384_8:                              ; =>This Inner Loop Header: Depth=1
	v_add_nc_u32_e32 v3, s9, v9
	v_cmp_le_i32_e32 vcc_lo, s13, v3
	s_or_b32 s8, s1, vcc_lo
	s_and_saveexec_b32 s16, s8
	s_xor_b32 s8, exec_lo, s16
; %bb.9:                                ;   in Loop: Header=BB384_8 Depth=1
	ds_write_b32 v10, v2
; %bb.10:                               ;   in Loop: Header=BB384_8 Depth=1
	s_or_saveexec_b32 s8, s8
	v_mov_b32_e32 v3, 0
	s_xor_b32 exec_lo, exec_lo, s8
	s_cbranch_execz .LBB384_12
; %bb.11:                               ;   in Loop: Header=BB384_8 Depth=1
	flat_load_dwordx2 v[22:23], v[4:5]
	s_waitcnt vmcnt(0) lgkmcnt(0)
	v_xor_b32_e32 v3, 0x80000000, v23
	ds_write_b32 v10, v22
.LBB384_12:                             ;   in Loop: Header=BB384_8 Depth=1
	s_or_b32 exec_lo, exec_lo, s8
	v_add_nc_u32_e32 v22, s9, v8
	ds_write_b32 v10, v3 offset:4
	v_cmp_le_i32_e32 vcc_lo, s13, v22
	s_or_b32 s8, vcc_lo, s0
	s_and_saveexec_b32 s16, s8
	s_xor_b32 s8, exec_lo, s16
; %bb.13:                               ;   in Loop: Header=BB384_8 Depth=1
	v_mov_b32_e32 v3, v2
	ds_write_b64 v11, v[2:3]
; %bb.14:                               ;   in Loop: Header=BB384_8 Depth=1
	s_andn2_saveexec_b32 s8, s8
	s_cbranch_execz .LBB384_7
; %bb.15:                               ;   in Loop: Header=BB384_8 Depth=1
	flat_load_dwordx2 v[22:23], v[6:7]
	s_waitcnt vmcnt(0) lgkmcnt(0)
	ds_write_b64 v11, v[22:23]
	s_branch .LBB384_7
.LBB384_16:
	s_clause 0x1
	s_load_dword s8, s[4:5], 0x50
	s_load_dwordx2 s[4:5], s[4:5], 0x58
	v_add_nc_u32_e32 v9, s7, v1
	v_add_nc_u32_e32 v0, s6, v0
	v_cmp_neq_f32_e64 s6, s2, 0
	v_cmp_gt_i32_e64 s0, s12, v9
	v_cmp_le_i32_e32 vcc_lo, v0, v9
	s_waitcnt lgkmcnt(0)
	v_mad_i64_i32 v[1:2], null, v9, s8, 0
	s_lshl_b64 s[4:5], s[4:5], 3
	s_add_u32 s4, s10, s4
	s_addc_u32 s5, s11, s5
	s_xor_b32 s7, s20, -1
	s_or_b32 s6, s6, s7
	v_lshlrev_b64 v[2:3], 3, v[1:2]
	v_ashrrev_i32_e32 v1, 31, v0
	v_cndmask_b32_e64 v8, 0, 1, s6
	s_and_b32 s7, s0, vcc_lo
	v_add_co_u32 v6, s1, s4, v2
	v_add_co_ci_u32_e64 v7, null, s5, v3, s1
	s_and_saveexec_b32 s1, s7
	s_cbranch_execz .LBB384_20
; %bb.17:
	v_lshlrev_b64 v[4:5], 3, v[0:1]
	v_mul_f32_e32 v2, s15, v21
	v_mul_f32_e32 v3, s14, v21
	v_fma_f32 v2, v20, s14, -v2
	v_add_co_u32 v4, vcc_lo, v6, v4
	v_fmac_f32_e32 v3, s15, v20
	v_add_co_ci_u32_e64 v5, null, v7, v5, vcc_lo
	s_andn2_b32 vcc_lo, exec_lo, s6
	s_cbranch_vccnz .LBB384_19
; %bb.18:
	flat_load_dwordx2 v[10:11], v[4:5]
	s_waitcnt vmcnt(0) lgkmcnt(0)
	v_mul_f32_e32 v12, s3, v11
	v_mul_f32_e32 v11, s2, v11
	v_fma_f32 v12, v10, s2, -v12
	v_fmac_f32_e32 v11, s3, v10
	v_add_f32_e32 v2, v2, v12
	v_add_f32_e32 v3, v3, v11
.LBB384_19:
	flat_store_dwordx2 v[4:5], v[2:3]
.LBB384_20:
	s_or_b32 exec_lo, exec_lo, s1
	v_add_nc_u32_e32 v2, 16, v0
	v_cmp_le_i32_e32 vcc_lo, v2, v9
	v_ashrrev_i32_e32 v3, 31, v2
	s_and_b32 s0, s0, vcc_lo
	s_and_saveexec_b32 s1, s0
	s_cbranch_execz .LBB384_24
; %bb.21:
	v_lshlrev_b64 v[10:11], 3, v[2:3]
	v_mul_f32_e32 v4, s15, v19
	v_mul_f32_e32 v5, s14, v19
	v_cmp_ne_u32_e32 vcc_lo, 1, v8
	v_fma_f32 v4, v18, s14, -v4
	v_add_co_u32 v6, s0, v6, v10
	v_fmac_f32_e32 v5, s15, v18
	v_add_co_ci_u32_e64 v7, null, v7, v11, s0
	s_cbranch_vccnz .LBB384_23
; %bb.22:
	flat_load_dwordx2 v[10:11], v[6:7]
	s_waitcnt vmcnt(0) lgkmcnt(0)
	v_mul_f32_e32 v12, s3, v11
	v_mul_f32_e32 v11, s2, v11
	v_fma_f32 v12, v10, s2, -v12
	v_fmac_f32_e32 v11, s3, v10
	v_add_f32_e32 v4, v4, v12
	v_add_f32_e32 v5, v5, v11
.LBB384_23:
	flat_store_dwordx2 v[6:7], v[4:5]
.LBB384_24:
	s_or_b32 exec_lo, exec_lo, s1
	v_add_nc_u32_e32 v9, 16, v9
	v_mad_i64_i32 v[4:5], null, v9, s8, 0
	v_cmp_gt_i32_e64 s0, s12, v9
	v_cmp_le_i32_e32 vcc_lo, v0, v9
	v_lshlrev_b64 v[4:5], 3, v[4:5]
	v_add_co_u32 v6, s1, s4, v4
	v_add_co_ci_u32_e64 v7, null, s5, v5, s1
	s_and_b32 s1, s0, vcc_lo
	s_and_saveexec_b32 s4, s1
	s_cbranch_execz .LBB384_28
; %bb.25:
	v_lshlrev_b64 v[0:1], 3, v[0:1]
	v_mul_f32_e32 v4, s15, v17
	v_mul_f32_e32 v5, s14, v17
	v_cmp_ne_u32_e32 vcc_lo, 1, v8
	v_fma_f32 v4, v16, s14, -v4
	v_add_co_u32 v0, s1, v6, v0
	v_fmac_f32_e32 v5, s15, v16
	v_add_co_ci_u32_e64 v1, null, v7, v1, s1
	s_cbranch_vccnz .LBB384_27
; %bb.26:
	flat_load_dwordx2 v[10:11], v[0:1]
	s_waitcnt vmcnt(0) lgkmcnt(0)
	v_mul_f32_e32 v12, s3, v11
	v_mul_f32_e32 v11, s2, v11
	v_fma_f32 v12, v10, s2, -v12
	v_fmac_f32_e32 v11, s3, v10
	v_add_f32_e32 v4, v4, v12
	v_add_f32_e32 v5, v5, v11
.LBB384_27:
	flat_store_dwordx2 v[0:1], v[4:5]
.LBB384_28:
	s_or_b32 exec_lo, exec_lo, s4
	v_cmp_le_i32_e32 vcc_lo, v2, v9
	s_and_b32 s0, s0, vcc_lo
	s_and_saveexec_b32 s1, s0
	s_cbranch_execz .LBB384_32
; %bb.29:
	v_lshlrev_b64 v[2:3], 3, v[2:3]
	v_mul_f32_e32 v0, s15, v15
	v_mul_f32_e32 v1, s14, v15
	v_cmp_ne_u32_e32 vcc_lo, 1, v8
	v_fma_f32 v0, v14, s14, -v0
	v_add_co_u32 v2, s0, v6, v2
	v_fmac_f32_e32 v1, s15, v14
	v_add_co_ci_u32_e64 v3, null, v7, v3, s0
	s_cbranch_vccnz .LBB384_31
; %bb.30:
	flat_load_dwordx2 v[4:5], v[2:3]
	s_waitcnt vmcnt(0) lgkmcnt(0)
	v_mul_f32_e32 v6, s3, v5
	v_mul_f32_e32 v5, s2, v5
	v_fma_f32 v6, v4, s2, -v6
	v_fmac_f32_e32 v5, s3, v4
	v_add_f32_e32 v0, v0, v6
	v_add_f32_e32 v1, v1, v5
.LBB384_31:
	flat_store_dwordx2 v[2:3], v[0:1]
.LBB384_32:
	s_endpgm
	.section	.rodata,"a",@progbits
	.p2align	6, 0x0
	.amdhsa_kernel _ZL29rocblas_internal_gemmt_kernelIiLi16ELi32ELi8ELc67ELc78ELc85ELb1ELb0E19rocblas_complex_numIfES1_PKPKS1_PKPS1_EviT_T9_T10_S9_lSB_S9_lSA_T11_S9_li
		.amdhsa_group_segment_fixed_size 4096
		.amdhsa_private_segment_fixed_size 0
		.amdhsa_kernarg_size 100
		.amdhsa_user_sgpr_count 6
		.amdhsa_user_sgpr_private_segment_buffer 1
		.amdhsa_user_sgpr_dispatch_ptr 0
		.amdhsa_user_sgpr_queue_ptr 0
		.amdhsa_user_sgpr_kernarg_segment_ptr 1
		.amdhsa_user_sgpr_dispatch_id 0
		.amdhsa_user_sgpr_flat_scratch_init 0
		.amdhsa_user_sgpr_private_segment_size 0
		.amdhsa_wavefront_size32 1
		.amdhsa_uses_dynamic_stack 0
		.amdhsa_system_sgpr_private_segment_wavefront_offset 0
		.amdhsa_system_sgpr_workgroup_id_x 1
		.amdhsa_system_sgpr_workgroup_id_y 1
		.amdhsa_system_sgpr_workgroup_id_z 1
		.amdhsa_system_sgpr_workgroup_info 0
		.amdhsa_system_vgpr_workitem_id 1
		.amdhsa_next_free_vgpr 59
		.amdhsa_next_free_sgpr 26
		.amdhsa_reserve_vcc 1
		.amdhsa_reserve_flat_scratch 0
		.amdhsa_float_round_mode_32 0
		.amdhsa_float_round_mode_16_64 0
		.amdhsa_float_denorm_mode_32 3
		.amdhsa_float_denorm_mode_16_64 3
		.amdhsa_dx10_clamp 1
		.amdhsa_ieee_mode 1
		.amdhsa_fp16_overflow 0
		.amdhsa_workgroup_processor_mode 1
		.amdhsa_memory_ordered 1
		.amdhsa_forward_progress 1
		.amdhsa_shared_vgpr_count 0
		.amdhsa_exception_fp_ieee_invalid_op 0
		.amdhsa_exception_fp_denorm_src 0
		.amdhsa_exception_fp_ieee_div_zero 0
		.amdhsa_exception_fp_ieee_overflow 0
		.amdhsa_exception_fp_ieee_underflow 0
		.amdhsa_exception_fp_ieee_inexact 0
		.amdhsa_exception_int_div_zero 0
	.end_amdhsa_kernel
	.section	.text._ZL29rocblas_internal_gemmt_kernelIiLi16ELi32ELi8ELc67ELc78ELc85ELb1ELb0E19rocblas_complex_numIfES1_PKPKS1_PKPS1_EviT_T9_T10_S9_lSB_S9_lSA_T11_S9_li,"axG",@progbits,_ZL29rocblas_internal_gemmt_kernelIiLi16ELi32ELi8ELc67ELc78ELc85ELb1ELb0E19rocblas_complex_numIfES1_PKPKS1_PKPS1_EviT_T9_T10_S9_lSB_S9_lSA_T11_S9_li,comdat
.Lfunc_end384:
	.size	_ZL29rocblas_internal_gemmt_kernelIiLi16ELi32ELi8ELc67ELc78ELc85ELb1ELb0E19rocblas_complex_numIfES1_PKPKS1_PKPS1_EviT_T9_T10_S9_lSB_S9_lSA_T11_S9_li, .Lfunc_end384-_ZL29rocblas_internal_gemmt_kernelIiLi16ELi32ELi8ELc67ELc78ELc85ELb1ELb0E19rocblas_complex_numIfES1_PKPKS1_PKPS1_EviT_T9_T10_S9_lSB_S9_lSA_T11_S9_li
                                        ; -- End function
	.set _ZL29rocblas_internal_gemmt_kernelIiLi16ELi32ELi8ELc67ELc78ELc85ELb1ELb0E19rocblas_complex_numIfES1_PKPKS1_PKPS1_EviT_T9_T10_S9_lSB_S9_lSA_T11_S9_li.num_vgpr, 59
	.set _ZL29rocblas_internal_gemmt_kernelIiLi16ELi32ELi8ELc67ELc78ELc85ELb1ELb0E19rocblas_complex_numIfES1_PKPKS1_PKPS1_EviT_T9_T10_S9_lSB_S9_lSA_T11_S9_li.num_agpr, 0
	.set _ZL29rocblas_internal_gemmt_kernelIiLi16ELi32ELi8ELc67ELc78ELc85ELb1ELb0E19rocblas_complex_numIfES1_PKPKS1_PKPS1_EviT_T9_T10_S9_lSB_S9_lSA_T11_S9_li.numbered_sgpr, 26
	.set _ZL29rocblas_internal_gemmt_kernelIiLi16ELi32ELi8ELc67ELc78ELc85ELb1ELb0E19rocblas_complex_numIfES1_PKPKS1_PKPS1_EviT_T9_T10_S9_lSB_S9_lSA_T11_S9_li.num_named_barrier, 0
	.set _ZL29rocblas_internal_gemmt_kernelIiLi16ELi32ELi8ELc67ELc78ELc85ELb1ELb0E19rocblas_complex_numIfES1_PKPKS1_PKPS1_EviT_T9_T10_S9_lSB_S9_lSA_T11_S9_li.private_seg_size, 0
	.set _ZL29rocblas_internal_gemmt_kernelIiLi16ELi32ELi8ELc67ELc78ELc85ELb1ELb0E19rocblas_complex_numIfES1_PKPKS1_PKPS1_EviT_T9_T10_S9_lSB_S9_lSA_T11_S9_li.uses_vcc, 1
	.set _ZL29rocblas_internal_gemmt_kernelIiLi16ELi32ELi8ELc67ELc78ELc85ELb1ELb0E19rocblas_complex_numIfES1_PKPKS1_PKPS1_EviT_T9_T10_S9_lSB_S9_lSA_T11_S9_li.uses_flat_scratch, 0
	.set _ZL29rocblas_internal_gemmt_kernelIiLi16ELi32ELi8ELc67ELc78ELc85ELb1ELb0E19rocblas_complex_numIfES1_PKPKS1_PKPS1_EviT_T9_T10_S9_lSB_S9_lSA_T11_S9_li.has_dyn_sized_stack, 0
	.set _ZL29rocblas_internal_gemmt_kernelIiLi16ELi32ELi8ELc67ELc78ELc85ELb1ELb0E19rocblas_complex_numIfES1_PKPKS1_PKPS1_EviT_T9_T10_S9_lSB_S9_lSA_T11_S9_li.has_recursion, 0
	.set _ZL29rocblas_internal_gemmt_kernelIiLi16ELi32ELi8ELc67ELc78ELc85ELb1ELb0E19rocblas_complex_numIfES1_PKPKS1_PKPS1_EviT_T9_T10_S9_lSB_S9_lSA_T11_S9_li.has_indirect_call, 0
	.section	.AMDGPU.csdata,"",@progbits
; Kernel info:
; codeLenInByte = 2524
; TotalNumSgprs: 28
; NumVgprs: 59
; ScratchSize: 0
; MemoryBound: 1
; FloatMode: 240
; IeeeMode: 1
; LDSByteSize: 4096 bytes/workgroup (compile time only)
; SGPRBlocks: 0
; VGPRBlocks: 7
; NumSGPRsForWavesPerEU: 28
; NumVGPRsForWavesPerEU: 59
; Occupancy: 16
; WaveLimiterHint : 1
; COMPUTE_PGM_RSRC2:SCRATCH_EN: 0
; COMPUTE_PGM_RSRC2:USER_SGPR: 6
; COMPUTE_PGM_RSRC2:TRAP_HANDLER: 0
; COMPUTE_PGM_RSRC2:TGID_X_EN: 1
; COMPUTE_PGM_RSRC2:TGID_Y_EN: 1
; COMPUTE_PGM_RSRC2:TGID_Z_EN: 1
; COMPUTE_PGM_RSRC2:TIDIG_COMP_CNT: 1
	.section	.text._ZL29rocblas_internal_gemmt_kernelIiLi16ELi32ELi8ELc67ELc84ELc85ELb1ELb0E19rocblas_complex_numIfES1_PKPKS1_PKPS1_EviT_T9_T10_S9_lSB_S9_lSA_T11_S9_li,"axG",@progbits,_ZL29rocblas_internal_gemmt_kernelIiLi16ELi32ELi8ELc67ELc84ELc85ELb1ELb0E19rocblas_complex_numIfES1_PKPKS1_PKPS1_EviT_T9_T10_S9_lSB_S9_lSA_T11_S9_li,comdat
	.globl	_ZL29rocblas_internal_gemmt_kernelIiLi16ELi32ELi8ELc67ELc84ELc85ELb1ELb0E19rocblas_complex_numIfES1_PKPKS1_PKPS1_EviT_T9_T10_S9_lSB_S9_lSA_T11_S9_li ; -- Begin function _ZL29rocblas_internal_gemmt_kernelIiLi16ELi32ELi8ELc67ELc84ELc85ELb1ELb0E19rocblas_complex_numIfES1_PKPKS1_PKPS1_EviT_T9_T10_S9_lSB_S9_lSA_T11_S9_li
	.p2align	8
	.type	_ZL29rocblas_internal_gemmt_kernelIiLi16ELi32ELi8ELc67ELc84ELc85ELb1ELb0E19rocblas_complex_numIfES1_PKPKS1_PKPS1_EviT_T9_T10_S9_lSB_S9_lSA_T11_S9_li,@function
_ZL29rocblas_internal_gemmt_kernelIiLi16ELi32ELi8ELc67ELc84ELc85ELb1ELb0E19rocblas_complex_numIfES1_PKPKS1_PKPS1_EviT_T9_T10_S9_lSB_S9_lSA_T11_S9_li: ; @_ZL29rocblas_internal_gemmt_kernelIiLi16ELi32ELi8ELc67ELc84ELc85ELb1ELb0E19rocblas_complex_numIfES1_PKPKS1_PKPS1_EviT_T9_T10_S9_lSB_S9_lSA_T11_S9_li
; %bb.0:
	s_clause 0x1
	s_load_dwordx2 s[2:3], s[4:5], 0x40
	s_load_dwordx4 s[12:15], s[4:5], 0x0
	s_waitcnt lgkmcnt(0)
	s_and_b32 s0, s3, 0x7fffffff
	v_cmp_eq_f32_e64 s1, s2, 1.0
	s_cmp_eq_u32 s0, 0
	s_mov_b32 s0, 0
	s_cselect_b32 s20, -1, 0
	s_and_b32 s1, s1, s20
	s_andn2_b32 vcc_lo, exec_lo, s1
	s_mov_b32 s1, -1
	s_cbranch_vccnz .LBB385_4
; %bb.1:
	s_cmp_lg_u32 s13, 0
	s_cbranch_scc0 .LBB385_3
; %bb.2:
	v_cmp_neq_f32_e64 s0, s14, 0
	v_cmp_neq_f32_e64 s1, s15, 0
	s_or_b32 s0, s0, s1
.LBB385_3:
	s_mov_b32 s1, s0
.LBB385_4:
	s_and_b32 vcc_lo, exec_lo, s1
	s_cbranch_vccz .LBB385_32
; %bb.5:
	s_load_dwordx2 s[10:11], s[4:5], 0x48
	s_mov_b32 s9, 0
	v_cmp_eq_f32_e64 s16, s14, 0
	s_lshl_b64 s[0:1], s[8:9], 3
	v_cmp_eq_f32_e64 s17, s15, 0
	v_mov_b32_e32 v20, 0
	v_mov_b32_e32 v21, 0
	;; [unrolled: 1-line block ×8, first 2 shown]
	s_waitcnt lgkmcnt(0)
	s_add_u32 s10, s10, s0
	s_addc_u32 s11, s11, s1
	s_lshl_b32 s8, s6, 5
	s_load_dwordx2 s[10:11], s[10:11], 0x0
	s_lshl_b32 s21, s7, 5
	s_and_b32 s6, s16, s17
	s_cmp_lt_i32 s13, 1
	s_cselect_b32 s7, -1, 0
	s_or_b32 s6, s6, s7
	s_and_b32 vcc_lo, exec_lo, s6
	s_cbranch_vccnz .LBB385_16
; %bb.6:
	s_clause 0x4
	s_load_dword s6, s[4:5], 0x30
	s_load_dwordx4 s[16:19], s[4:5], 0x20
	s_load_dword s26, s[4:5], 0x18
	s_load_dwordx2 s[22:23], s[4:5], 0x10
	s_load_dwordx2 s[24:25], s[4:5], 0x38
	v_lshl_add_u32 v2, v1, 4, v0
	v_and_b32_e32 v8, 7, v0
	v_lshlrev_b32_e32 v12, 3, v0
	v_lshl_add_u32 v13, v1, 6, 0x800
	v_mov_b32_e32 v17, 0
	v_and_b32_e32 v4, 31, v2
	v_lshrrev_b32_e32 v5, 3, v2
	v_lshlrev_b32_e32 v6, 3, v8
	v_lshrrev_b32_e32 v9, 5, v2
	v_mov_b32_e32 v16, 0
	v_or_b32_e32 v2, s8, v4
	v_lshlrev_b32_e32 v7, 3, v4
	v_add_nc_u32_e32 v4, s8, v4
	v_add_nc_u32_e32 v3, s21, v5
	v_lshl_or_b32 v11, v5, 6, v6
	s_waitcnt lgkmcnt(0)
	s_ashr_i32 s7, s6, 31
	s_add_u32 s18, s18, s0
	v_mad_i64_i32 v[5:6], null, s26, v4, 0
	s_addc_u32 s19, s19, s1
	s_add_u32 s0, s22, s0
	v_mad_i64_i32 v[14:15], null, s6, v8, 0
	s_addc_u32 s1, s23, s1
	s_load_dwordx2 s[18:19], s[18:19], 0x0
	s_load_dwordx2 s[22:23], s[0:1], 0x0
	v_lshlrev_b64 v[5:6], 3, v[5:6]
	v_ashrrev_i32_e32 v4, 31, v3
	s_lshl_b64 s[16:17], s[16:17], 3
	v_lshl_or_b32 v10, v9, 8, v7
	v_lshlrev_b64 v[14:15], 3, v[14:15]
	v_lshlrev_b32_e32 v7, 3, v9
	v_add_co_u32 v5, s1, v5, s16
	v_add_co_ci_u32_e64 v6, null, s17, v6, s1
	s_lshl_b64 s[16:17], s[24:25], 3
	v_cmp_gt_i32_e64 s0, s12, v3
	v_lshlrev_b64 v[3:4], 3, v[3:4]
	v_add_co_u32 v14, s1, v14, s16
	v_add_co_ci_u32_e64 v15, null, s17, v15, s1
	v_add_co_u32 v5, s1, v5, v7
	v_add_co_ci_u32_e64 v6, null, 0, v6, s1
	;; [unrolled: 2-line block ×3, first 2 shown]
	s_waitcnt lgkmcnt(0)
	v_add_co_u32 v4, s1, s22, v5
	v_cmp_gt_i32_e32 vcc_lo, s12, v2
	v_add_co_ci_u32_e64 v5, null, s23, v6, s1
	v_add_co_u32 v6, s1, s18, v3
	v_add_nc_u32_e32 v11, 0x800, v11
	v_mov_b32_e32 v2, 0
	v_add_co_ci_u32_e64 v7, null, s19, v7, s1
	v_mov_b32_e32 v15, 0
	v_mov_b32_e32 v14, 0
	;; [unrolled: 1-line block ×6, first 2 shown]
	s_lshl_b64 s[6:7], s[6:7], 6
	s_xor_b32 s1, vcc_lo, -1
	s_xor_b32 s0, s0, -1
	s_branch .LBB385_8
.LBB385_7:                              ;   in Loop: Header=BB385_8 Depth=1
	s_or_b32 exec_lo, exec_lo, s16
	s_waitcnt lgkmcnt(0)
	s_barrier
	buffer_gl0_inv
	ds_read_b128 v[22:25], v13
	ds_read2_b64 v[26:29], v12 offset1:16
	ds_read_b128 v[30:33], v13 offset:1024
	ds_read_b128 v[34:37], v13 offset:16
	;; [unrolled: 1-line block ×4, first 2 shown]
	ds_read2_b64 v[46:49], v12 offset0:32 offset1:48
	ds_read_b128 v[50:53], v13 offset:1040
	v_add_co_u32 v4, vcc_lo, v4, 64
	v_add_co_ci_u32_e64 v5, null, 0, v5, vcc_lo
	v_add_co_u32 v6, vcc_lo, v6, s6
	v_add_co_ci_u32_e64 v7, null, s7, v7, vcc_lo
	s_add_i32 s9, s9, 8
	s_cmp_lt_i32 s9, s13
	s_waitcnt lgkmcnt(6)
	v_mul_f32_e32 v3, v23, v27
	v_mul_f32_e32 v54, v22, v27
	;; [unrolled: 1-line block ×4, first 2 shown]
	s_waitcnt lgkmcnt(5)
	v_mul_f32_e32 v57, v31, v27
	v_mul_f32_e32 v27, v30, v27
	;; [unrolled: 1-line block ×3, first 2 shown]
	v_fma_f32 v3, v22, v26, -v3
	v_fmac_f32_e32 v54, v23, v26
	v_fma_f32 v22, v22, v28, -v55
	v_fmac_f32_e32 v56, v23, v28
	v_fma_f32 v23, v30, v26, -v57
	v_fmac_f32_e32 v27, v31, v26
	v_mul_f32_e32 v29, v30, v29
	v_fma_f32 v26, v30, v28, -v58
	v_add_f32_e32 v3, v20, v3
	v_add_f32_e32 v20, v21, v54
	;; [unrolled: 1-line block ×6, first 2 shown]
	s_waitcnt lgkmcnt(1)
	v_mul_f32_e32 v30, v25, v47
	ds_read2_b64 v[16:19], v12 offset0:64 offset1:80
	v_fmac_f32_e32 v29, v31, v28
	v_add_f32_e32 v14, v14, v26
	v_mul_f32_e32 v26, v24, v47
	v_fma_f32 v28, v24, v46, -v30
	v_mul_f32_e32 v30, v25, v49
	v_add_f32_e32 v15, v15, v29
	v_mul_f32_e32 v29, v24, v49
	v_fmac_f32_e32 v26, v25, v46
	v_add_f32_e32 v3, v3, v28
	v_fma_f32 v24, v24, v48, -v30
	v_mul_f32_e32 v28, v33, v47
	v_fmac_f32_e32 v29, v25, v48
	v_add_f32_e32 v26, v20, v26
	v_mul_f32_e32 v20, v32, v47
	v_add_f32_e32 v24, v21, v24
	v_fma_f32 v21, v32, v46, -v28
	v_mul_f32_e32 v25, v33, v49
	v_add_f32_e32 v28, v22, v29
	v_fmac_f32_e32 v20, v33, v46
	v_mul_f32_e32 v29, v32, v49
	v_add_f32_e32 v30, v23, v21
	v_fma_f32 v21, v32, v48, -v25
	s_waitcnt lgkmcnt(0)
	v_mul_f32_e32 v22, v35, v17
	v_add_f32_e32 v25, v27, v20
	v_fmac_f32_e32 v29, v33, v48
	v_mul_f32_e32 v27, v34, v17
	v_add_f32_e32 v14, v14, v21
	v_fma_f32 v31, v34, v16, -v22
	v_mul_f32_e32 v32, v35, v19
	ds_read2_b64 v[20:23], v12 offset0:96 offset1:112
	v_fmac_f32_e32 v27, v35, v16
	v_add_f32_e32 v29, v15, v29
	v_add_f32_e32 v3, v3, v31
	v_mul_f32_e32 v15, v34, v19
	v_fma_f32 v31, v34, v18, -v32
	v_add_f32_e32 v26, v26, v27
	v_mul_f32_e32 v27, v51, v17
	v_mul_f32_e32 v17, v50, v17
	v_fmac_f32_e32 v15, v35, v18
	v_add_f32_e32 v24, v24, v31
	v_mul_f32_e32 v31, v51, v19
	v_mul_f32_e32 v19, v50, v19
	v_fmac_f32_e32 v17, v51, v16
	v_add_f32_e32 v28, v28, v15
	v_fma_f32 v27, v50, v16, -v27
	v_fma_f32 v15, v50, v18, -v31
	v_fmac_f32_e32 v19, v51, v18
	v_add_f32_e32 v31, v25, v17
	s_waitcnt lgkmcnt(0)
	v_mul_f32_e32 v18, v37, v21
	v_add_f32_e32 v32, v14, v15
	ds_read2_b64 v[14:17], v12 offset0:128 offset1:144
	v_add_f32_e32 v30, v30, v27
	v_mul_f32_e32 v25, v36, v21
	v_fma_f32 v18, v36, v20, -v18
	v_mul_f32_e32 v27, v37, v23
	v_add_f32_e32 v29, v29, v19
	v_mul_f32_e32 v19, v36, v23
	v_fmac_f32_e32 v25, v37, v20
	v_add_f32_e32 v3, v3, v18
	v_mul_f32_e32 v18, v53, v21
	v_fma_f32 v27, v36, v22, -v27
	v_fmac_f32_e32 v19, v37, v22
	v_mul_f32_e32 v21, v52, v21
	v_mul_f32_e32 v35, v53, v23
	v_fma_f32 v18, v52, v20, -v18
	v_add_f32_e32 v33, v26, v25
	v_add_f32_e32 v34, v24, v27
	ds_read_b128 v[24:27], v13 offset:1056
	v_add_f32_e32 v36, v28, v19
	v_fmac_f32_e32 v21, v53, v20
	v_mul_f32_e32 v23, v52, v23
	v_fma_f32 v19, v52, v22, -v35
	v_add_f32_e32 v35, v30, v18
	s_waitcnt lgkmcnt(1)
	v_mul_f32_e32 v18, v39, v15
	v_add_f32_e32 v37, v31, v21
	v_fmac_f32_e32 v23, v53, v22
	v_add_f32_e32 v22, v32, v19
	v_mul_f32_e32 v32, v38, v15
	v_fma_f32 v28, v38, v14, -v18
	ds_read2_b64 v[18:21], v12 offset0:160 offset1:176
	v_mul_f32_e32 v30, v39, v17
	v_mul_f32_e32 v46, v38, v17
	v_fmac_f32_e32 v32, v39, v14
	v_add_f32_e32 v23, v29, v23
	v_add_f32_e32 v3, v3, v28
	v_fma_f32 v38, v38, v16, -v30
	ds_read_b128 v[28:31], v13 offset:1072
	s_waitcnt lgkmcnt(2)
	v_mul_f32_e32 v47, v25, v15
	v_add_f32_e32 v32, v33, v32
	v_mul_f32_e32 v15, v24, v15
	v_add_f32_e32 v33, v34, v38
	v_mul_f32_e32 v38, v25, v17
	v_fmac_f32_e32 v46, v39, v16
	v_fma_f32 v34, v24, v14, -v47
	v_fmac_f32_e32 v15, v25, v14
	v_mul_f32_e32 v39, v24, v17
	v_fma_f32 v14, v24, v16, -v38
	v_add_f32_e32 v36, v36, v46
	v_add_f32_e32 v34, v35, v34
	s_waitcnt lgkmcnt(1)
	v_mul_f32_e32 v17, v41, v19
	v_add_f32_e32 v24, v37, v15
	v_fmac_f32_e32 v39, v25, v16
	v_mul_f32_e32 v25, v40, v19
	v_add_f32_e32 v22, v22, v14
	v_fma_f32 v35, v40, v18, -v17
	ds_read2_b64 v[14:17], v12 offset0:192 offset1:208
	v_mul_f32_e32 v37, v41, v21
	v_fmac_f32_e32 v25, v41, v18
	v_add_f32_e32 v38, v23, v39
	v_add_f32_e32 v3, v3, v35
	v_mul_f32_e32 v23, v40, v21
	v_fma_f32 v35, v40, v20, -v37
	v_add_f32_e32 v32, v32, v25
	v_mul_f32_e32 v25, v27, v19
	v_mul_f32_e32 v19, v26, v19
	v_fmac_f32_e32 v23, v41, v20
	v_add_f32_e32 v33, v33, v35
	v_mul_f32_e32 v35, v27, v21
	v_fma_f32 v25, v26, v18, -v25
	v_fmac_f32_e32 v19, v27, v18
	v_add_f32_e32 v18, v36, v23
	v_mul_f32_e32 v21, v26, v21
	v_fma_f32 v23, v26, v20, -v35
	v_add_f32_e32 v26, v34, v25
	v_add_f32_e32 v19, v24, v19
	s_waitcnt lgkmcnt(0)
	v_mul_f32_e32 v34, v43, v15
	v_fmac_f32_e32 v21, v27, v20
	v_add_f32_e32 v20, v22, v23
	ds_read2_b64 v[22:25], v12 offset0:224 offset1:240
	v_mul_f32_e32 v27, v42, v15
	v_fma_f32 v34, v42, v14, -v34
	v_mul_f32_e32 v35, v43, v17
	v_mul_f32_e32 v36, v42, v17
	v_add_f32_e32 v21, v38, v21
	v_fmac_f32_e32 v27, v43, v14
	v_add_f32_e32 v3, v3, v34
	v_mul_f32_e32 v34, v29, v15
	v_fma_f32 v35, v42, v16, -v35
	v_fmac_f32_e32 v36, v43, v16
	v_add_f32_e32 v27, v32, v27
	v_mul_f32_e32 v15, v28, v15
	v_fma_f32 v32, v28, v14, -v34
	v_mul_f32_e32 v34, v29, v17
	v_add_f32_e32 v33, v33, v35
	v_add_f32_e32 v35, v18, v36
	v_fmac_f32_e32 v15, v29, v14
	v_add_f32_e32 v14, v26, v32
	v_mul_f32_e32 v17, v28, v17
	v_fma_f32 v18, v28, v16, -v34
	s_waitcnt lgkmcnt(0)
	v_mul_f32_e32 v26, v45, v23
	v_mul_f32_e32 v28, v44, v23
	v_add_f32_e32 v15, v19, v15
	v_fmac_f32_e32 v17, v29, v16
	v_add_f32_e32 v29, v20, v18
	v_fma_f32 v16, v44, v22, -v26
	v_mul_f32_e32 v18, v45, v25
	v_mul_f32_e32 v19, v44, v25
	v_add_f32_e32 v26, v21, v17
	v_mul_f32_e32 v17, v30, v23
	v_add_f32_e32 v20, v3, v16
	v_fma_f32 v3, v44, v24, -v18
	v_mul_f32_e32 v16, v31, v23
	v_mul_f32_e32 v23, v31, v25
	v_mul_f32_e32 v25, v30, v25
	v_fmac_f32_e32 v28, v45, v22
	v_fmac_f32_e32 v19, v45, v24
	v_add_f32_e32 v18, v33, v3
	v_fma_f32 v3, v30, v22, -v16
	v_fmac_f32_e32 v17, v31, v22
	v_fma_f32 v22, v30, v24, -v23
	v_fmac_f32_e32 v25, v31, v24
	v_add_f32_e32 v21, v27, v28
	v_add_f32_e32 v19, v35, v19
	;; [unrolled: 1-line block ×6, first 2 shown]
	s_barrier
	buffer_gl0_inv
	s_cbranch_scc0 .LBB385_16
.LBB385_8:                              ; =>This Inner Loop Header: Depth=1
	v_add_nc_u32_e32 v3, s9, v9
	v_cmp_le_i32_e32 vcc_lo, s13, v3
	s_or_b32 s16, s1, vcc_lo
	s_and_saveexec_b32 s17, s16
	s_xor_b32 s16, exec_lo, s17
; %bb.9:                                ;   in Loop: Header=BB385_8 Depth=1
	ds_write_b32 v10, v2
; %bb.10:                               ;   in Loop: Header=BB385_8 Depth=1
	s_or_saveexec_b32 s16, s16
	v_mov_b32_e32 v3, 0
	s_xor_b32 exec_lo, exec_lo, s16
	s_cbranch_execz .LBB385_12
; %bb.11:                               ;   in Loop: Header=BB385_8 Depth=1
	flat_load_dwordx2 v[22:23], v[4:5]
	s_waitcnt vmcnt(0) lgkmcnt(0)
	v_xor_b32_e32 v3, 0x80000000, v23
	ds_write_b32 v10, v22
.LBB385_12:                             ;   in Loop: Header=BB385_8 Depth=1
	s_or_b32 exec_lo, exec_lo, s16
	v_add_nc_u32_e32 v22, s9, v8
	ds_write_b32 v10, v3 offset:4
	v_cmp_le_i32_e32 vcc_lo, s13, v22
	s_or_b32 s16, vcc_lo, s0
	s_and_saveexec_b32 s17, s16
	s_xor_b32 s16, exec_lo, s17
; %bb.13:                               ;   in Loop: Header=BB385_8 Depth=1
	v_mov_b32_e32 v3, v2
	ds_write_b64 v11, v[2:3]
; %bb.14:                               ;   in Loop: Header=BB385_8 Depth=1
	s_andn2_saveexec_b32 s16, s16
	s_cbranch_execz .LBB385_7
; %bb.15:                               ;   in Loop: Header=BB385_8 Depth=1
	flat_load_dwordx2 v[22:23], v[6:7]
	s_waitcnt vmcnt(0) lgkmcnt(0)
	ds_write_b64 v11, v[22:23]
	s_branch .LBB385_7
.LBB385_16:
	s_clause 0x1
	s_load_dword s6, s[4:5], 0x50
	s_load_dwordx2 s[4:5], s[4:5], 0x58
	v_add_nc_u32_e32 v9, s21, v1
	v_add_nc_u32_e32 v0, s8, v0
	v_cmp_neq_f32_e64 s7, s2, 0
	v_cmp_gt_i32_e64 s0, s12, v9
	v_cmp_le_i32_e32 vcc_lo, v0, v9
	s_waitcnt lgkmcnt(0)
	v_mad_i64_i32 v[1:2], null, v9, s6, 0
	s_lshl_b64 s[4:5], s[4:5], 3
	s_add_u32 s4, s10, s4
	s_addc_u32 s5, s11, s5
	s_xor_b32 s8, s20, -1
	s_or_b32 s7, s7, s8
	v_lshlrev_b64 v[2:3], 3, v[1:2]
	v_ashrrev_i32_e32 v1, 31, v0
	v_cndmask_b32_e64 v8, 0, 1, s7
	s_and_b32 s8, s0, vcc_lo
	v_add_co_u32 v6, s1, s4, v2
	v_add_co_ci_u32_e64 v7, null, s5, v3, s1
	s_and_saveexec_b32 s1, s8
	s_cbranch_execz .LBB385_20
; %bb.17:
	v_lshlrev_b64 v[4:5], 3, v[0:1]
	v_mul_f32_e32 v2, s15, v21
	v_mul_f32_e32 v3, s14, v21
	v_fma_f32 v2, v20, s14, -v2
	v_add_co_u32 v4, vcc_lo, v6, v4
	v_fmac_f32_e32 v3, s15, v20
	v_add_co_ci_u32_e64 v5, null, v7, v5, vcc_lo
	s_andn2_b32 vcc_lo, exec_lo, s7
	s_cbranch_vccnz .LBB385_19
; %bb.18:
	flat_load_dwordx2 v[10:11], v[4:5]
	s_waitcnt vmcnt(0) lgkmcnt(0)
	v_mul_f32_e32 v12, s3, v11
	v_mul_f32_e32 v11, s2, v11
	v_fma_f32 v12, v10, s2, -v12
	v_fmac_f32_e32 v11, s3, v10
	v_add_f32_e32 v2, v2, v12
	v_add_f32_e32 v3, v3, v11
.LBB385_19:
	flat_store_dwordx2 v[4:5], v[2:3]
.LBB385_20:
	s_or_b32 exec_lo, exec_lo, s1
	v_add_nc_u32_e32 v2, 16, v0
	v_cmp_le_i32_e32 vcc_lo, v2, v9
	v_ashrrev_i32_e32 v3, 31, v2
	s_and_b32 s0, s0, vcc_lo
	s_and_saveexec_b32 s1, s0
	s_cbranch_execz .LBB385_24
; %bb.21:
	v_lshlrev_b64 v[10:11], 3, v[2:3]
	v_mul_f32_e32 v4, s15, v19
	v_mul_f32_e32 v5, s14, v19
	v_cmp_ne_u32_e32 vcc_lo, 1, v8
	v_fma_f32 v4, v18, s14, -v4
	v_add_co_u32 v6, s0, v6, v10
	v_fmac_f32_e32 v5, s15, v18
	v_add_co_ci_u32_e64 v7, null, v7, v11, s0
	s_cbranch_vccnz .LBB385_23
; %bb.22:
	flat_load_dwordx2 v[10:11], v[6:7]
	s_waitcnt vmcnt(0) lgkmcnt(0)
	v_mul_f32_e32 v12, s3, v11
	v_mul_f32_e32 v11, s2, v11
	v_fma_f32 v12, v10, s2, -v12
	v_fmac_f32_e32 v11, s3, v10
	v_add_f32_e32 v4, v4, v12
	v_add_f32_e32 v5, v5, v11
.LBB385_23:
	flat_store_dwordx2 v[6:7], v[4:5]
.LBB385_24:
	s_or_b32 exec_lo, exec_lo, s1
	v_add_nc_u32_e32 v9, 16, v9
	v_mad_i64_i32 v[4:5], null, v9, s6, 0
	v_cmp_gt_i32_e64 s0, s12, v9
	v_cmp_le_i32_e32 vcc_lo, v0, v9
	v_lshlrev_b64 v[4:5], 3, v[4:5]
	v_add_co_u32 v6, s1, s4, v4
	v_add_co_ci_u32_e64 v7, null, s5, v5, s1
	s_and_b32 s1, s0, vcc_lo
	s_and_saveexec_b32 s4, s1
	s_cbranch_execz .LBB385_28
; %bb.25:
	v_lshlrev_b64 v[0:1], 3, v[0:1]
	v_mul_f32_e32 v4, s15, v17
	v_mul_f32_e32 v5, s14, v17
	v_cmp_ne_u32_e32 vcc_lo, 1, v8
	v_fma_f32 v4, v16, s14, -v4
	v_add_co_u32 v0, s1, v6, v0
	v_fmac_f32_e32 v5, s15, v16
	v_add_co_ci_u32_e64 v1, null, v7, v1, s1
	s_cbranch_vccnz .LBB385_27
; %bb.26:
	flat_load_dwordx2 v[10:11], v[0:1]
	s_waitcnt vmcnt(0) lgkmcnt(0)
	v_mul_f32_e32 v12, s3, v11
	v_mul_f32_e32 v11, s2, v11
	v_fma_f32 v12, v10, s2, -v12
	v_fmac_f32_e32 v11, s3, v10
	v_add_f32_e32 v4, v4, v12
	v_add_f32_e32 v5, v5, v11
.LBB385_27:
	flat_store_dwordx2 v[0:1], v[4:5]
.LBB385_28:
	s_or_b32 exec_lo, exec_lo, s4
	v_cmp_le_i32_e32 vcc_lo, v2, v9
	s_and_b32 s0, s0, vcc_lo
	s_and_saveexec_b32 s1, s0
	s_cbranch_execz .LBB385_32
; %bb.29:
	v_lshlrev_b64 v[2:3], 3, v[2:3]
	v_mul_f32_e32 v0, s15, v15
	v_mul_f32_e32 v1, s14, v15
	v_cmp_ne_u32_e32 vcc_lo, 1, v8
	v_fma_f32 v0, v14, s14, -v0
	v_add_co_u32 v2, s0, v6, v2
	v_fmac_f32_e32 v1, s15, v14
	v_add_co_ci_u32_e64 v3, null, v7, v3, s0
	s_cbranch_vccnz .LBB385_31
; %bb.30:
	flat_load_dwordx2 v[4:5], v[2:3]
	s_waitcnt vmcnt(0) lgkmcnt(0)
	v_mul_f32_e32 v6, s3, v5
	v_mul_f32_e32 v5, s2, v5
	v_fma_f32 v6, v4, s2, -v6
	v_fmac_f32_e32 v5, s3, v4
	v_add_f32_e32 v0, v0, v6
	v_add_f32_e32 v1, v1, v5
.LBB385_31:
	flat_store_dwordx2 v[2:3], v[0:1]
.LBB385_32:
	s_endpgm
	.section	.rodata,"a",@progbits
	.p2align	6, 0x0
	.amdhsa_kernel _ZL29rocblas_internal_gemmt_kernelIiLi16ELi32ELi8ELc67ELc84ELc85ELb1ELb0E19rocblas_complex_numIfES1_PKPKS1_PKPS1_EviT_T9_T10_S9_lSB_S9_lSA_T11_S9_li
		.amdhsa_group_segment_fixed_size 4096
		.amdhsa_private_segment_fixed_size 0
		.amdhsa_kernarg_size 100
		.amdhsa_user_sgpr_count 6
		.amdhsa_user_sgpr_private_segment_buffer 1
		.amdhsa_user_sgpr_dispatch_ptr 0
		.amdhsa_user_sgpr_queue_ptr 0
		.amdhsa_user_sgpr_kernarg_segment_ptr 1
		.amdhsa_user_sgpr_dispatch_id 0
		.amdhsa_user_sgpr_flat_scratch_init 0
		.amdhsa_user_sgpr_private_segment_size 0
		.amdhsa_wavefront_size32 1
		.amdhsa_uses_dynamic_stack 0
		.amdhsa_system_sgpr_private_segment_wavefront_offset 0
		.amdhsa_system_sgpr_workgroup_id_x 1
		.amdhsa_system_sgpr_workgroup_id_y 1
		.amdhsa_system_sgpr_workgroup_id_z 1
		.amdhsa_system_sgpr_workgroup_info 0
		.amdhsa_system_vgpr_workitem_id 1
		.amdhsa_next_free_vgpr 59
		.amdhsa_next_free_sgpr 27
		.amdhsa_reserve_vcc 1
		.amdhsa_reserve_flat_scratch 0
		.amdhsa_float_round_mode_32 0
		.amdhsa_float_round_mode_16_64 0
		.amdhsa_float_denorm_mode_32 3
		.amdhsa_float_denorm_mode_16_64 3
		.amdhsa_dx10_clamp 1
		.amdhsa_ieee_mode 1
		.amdhsa_fp16_overflow 0
		.amdhsa_workgroup_processor_mode 1
		.amdhsa_memory_ordered 1
		.amdhsa_forward_progress 1
		.amdhsa_shared_vgpr_count 0
		.amdhsa_exception_fp_ieee_invalid_op 0
		.amdhsa_exception_fp_denorm_src 0
		.amdhsa_exception_fp_ieee_div_zero 0
		.amdhsa_exception_fp_ieee_overflow 0
		.amdhsa_exception_fp_ieee_underflow 0
		.amdhsa_exception_fp_ieee_inexact 0
		.amdhsa_exception_int_div_zero 0
	.end_amdhsa_kernel
	.section	.text._ZL29rocblas_internal_gemmt_kernelIiLi16ELi32ELi8ELc67ELc84ELc85ELb1ELb0E19rocblas_complex_numIfES1_PKPKS1_PKPS1_EviT_T9_T10_S9_lSB_S9_lSA_T11_S9_li,"axG",@progbits,_ZL29rocblas_internal_gemmt_kernelIiLi16ELi32ELi8ELc67ELc84ELc85ELb1ELb0E19rocblas_complex_numIfES1_PKPKS1_PKPS1_EviT_T9_T10_S9_lSB_S9_lSA_T11_S9_li,comdat
.Lfunc_end385:
	.size	_ZL29rocblas_internal_gemmt_kernelIiLi16ELi32ELi8ELc67ELc84ELc85ELb1ELb0E19rocblas_complex_numIfES1_PKPKS1_PKPS1_EviT_T9_T10_S9_lSB_S9_lSA_T11_S9_li, .Lfunc_end385-_ZL29rocblas_internal_gemmt_kernelIiLi16ELi32ELi8ELc67ELc84ELc85ELb1ELb0E19rocblas_complex_numIfES1_PKPKS1_PKPS1_EviT_T9_T10_S9_lSB_S9_lSA_T11_S9_li
                                        ; -- End function
	.set _ZL29rocblas_internal_gemmt_kernelIiLi16ELi32ELi8ELc67ELc84ELc85ELb1ELb0E19rocblas_complex_numIfES1_PKPKS1_PKPS1_EviT_T9_T10_S9_lSB_S9_lSA_T11_S9_li.num_vgpr, 59
	.set _ZL29rocblas_internal_gemmt_kernelIiLi16ELi32ELi8ELc67ELc84ELc85ELb1ELb0E19rocblas_complex_numIfES1_PKPKS1_PKPS1_EviT_T9_T10_S9_lSB_S9_lSA_T11_S9_li.num_agpr, 0
	.set _ZL29rocblas_internal_gemmt_kernelIiLi16ELi32ELi8ELc67ELc84ELc85ELb1ELb0E19rocblas_complex_numIfES1_PKPKS1_PKPS1_EviT_T9_T10_S9_lSB_S9_lSA_T11_S9_li.numbered_sgpr, 27
	.set _ZL29rocblas_internal_gemmt_kernelIiLi16ELi32ELi8ELc67ELc84ELc85ELb1ELb0E19rocblas_complex_numIfES1_PKPKS1_PKPS1_EviT_T9_T10_S9_lSB_S9_lSA_T11_S9_li.num_named_barrier, 0
	.set _ZL29rocblas_internal_gemmt_kernelIiLi16ELi32ELi8ELc67ELc84ELc85ELb1ELb0E19rocblas_complex_numIfES1_PKPKS1_PKPS1_EviT_T9_T10_S9_lSB_S9_lSA_T11_S9_li.private_seg_size, 0
	.set _ZL29rocblas_internal_gemmt_kernelIiLi16ELi32ELi8ELc67ELc84ELc85ELb1ELb0E19rocblas_complex_numIfES1_PKPKS1_PKPS1_EviT_T9_T10_S9_lSB_S9_lSA_T11_S9_li.uses_vcc, 1
	.set _ZL29rocblas_internal_gemmt_kernelIiLi16ELi32ELi8ELc67ELc84ELc85ELb1ELb0E19rocblas_complex_numIfES1_PKPKS1_PKPS1_EviT_T9_T10_S9_lSB_S9_lSA_T11_S9_li.uses_flat_scratch, 0
	.set _ZL29rocblas_internal_gemmt_kernelIiLi16ELi32ELi8ELc67ELc84ELc85ELb1ELb0E19rocblas_complex_numIfES1_PKPKS1_PKPS1_EviT_T9_T10_S9_lSB_S9_lSA_T11_S9_li.has_dyn_sized_stack, 0
	.set _ZL29rocblas_internal_gemmt_kernelIiLi16ELi32ELi8ELc67ELc84ELc85ELb1ELb0E19rocblas_complex_numIfES1_PKPKS1_PKPS1_EviT_T9_T10_S9_lSB_S9_lSA_T11_S9_li.has_recursion, 0
	.set _ZL29rocblas_internal_gemmt_kernelIiLi16ELi32ELi8ELc67ELc84ELc85ELb1ELb0E19rocblas_complex_numIfES1_PKPKS1_PKPS1_EviT_T9_T10_S9_lSB_S9_lSA_T11_S9_li.has_indirect_call, 0
	.section	.AMDGPU.csdata,"",@progbits
; Kernel info:
; codeLenInByte = 2544
; TotalNumSgprs: 29
; NumVgprs: 59
; ScratchSize: 0
; MemoryBound: 1
; FloatMode: 240
; IeeeMode: 1
; LDSByteSize: 4096 bytes/workgroup (compile time only)
; SGPRBlocks: 0
; VGPRBlocks: 7
; NumSGPRsForWavesPerEU: 29
; NumVGPRsForWavesPerEU: 59
; Occupancy: 16
; WaveLimiterHint : 1
; COMPUTE_PGM_RSRC2:SCRATCH_EN: 0
; COMPUTE_PGM_RSRC2:USER_SGPR: 6
; COMPUTE_PGM_RSRC2:TRAP_HANDLER: 0
; COMPUTE_PGM_RSRC2:TGID_X_EN: 1
; COMPUTE_PGM_RSRC2:TGID_Y_EN: 1
; COMPUTE_PGM_RSRC2:TGID_Z_EN: 1
; COMPUTE_PGM_RSRC2:TIDIG_COMP_CNT: 1
	.section	.text._ZL29rocblas_internal_gemmt_kernelIiLi16ELi32ELi8ELc67ELc67ELc85ELb1ELb1E19rocblas_complex_numIfES1_PKPKS1_PKPS1_EviT_T9_T10_S9_lSB_S9_lSA_T11_S9_li,"axG",@progbits,_ZL29rocblas_internal_gemmt_kernelIiLi16ELi32ELi8ELc67ELc67ELc85ELb1ELb1E19rocblas_complex_numIfES1_PKPKS1_PKPS1_EviT_T9_T10_S9_lSB_S9_lSA_T11_S9_li,comdat
	.globl	_ZL29rocblas_internal_gemmt_kernelIiLi16ELi32ELi8ELc67ELc67ELc85ELb1ELb1E19rocblas_complex_numIfES1_PKPKS1_PKPS1_EviT_T9_T10_S9_lSB_S9_lSA_T11_S9_li ; -- Begin function _ZL29rocblas_internal_gemmt_kernelIiLi16ELi32ELi8ELc67ELc67ELc85ELb1ELb1E19rocblas_complex_numIfES1_PKPKS1_PKPS1_EviT_T9_T10_S9_lSB_S9_lSA_T11_S9_li
	.p2align	8
	.type	_ZL29rocblas_internal_gemmt_kernelIiLi16ELi32ELi8ELc67ELc67ELc85ELb1ELb1E19rocblas_complex_numIfES1_PKPKS1_PKPS1_EviT_T9_T10_S9_lSB_S9_lSA_T11_S9_li,@function
_ZL29rocblas_internal_gemmt_kernelIiLi16ELi32ELi8ELc67ELc67ELc85ELb1ELb1E19rocblas_complex_numIfES1_PKPKS1_PKPS1_EviT_T9_T10_S9_lSB_S9_lSA_T11_S9_li: ; @_ZL29rocblas_internal_gemmt_kernelIiLi16ELi32ELi8ELc67ELc67ELc85ELb1ELb1E19rocblas_complex_numIfES1_PKPKS1_PKPS1_EviT_T9_T10_S9_lSB_S9_lSA_T11_S9_li
; %bb.0:
	s_clause 0x1
	s_load_dwordx2 s[2:3], s[4:5], 0x40
	s_load_dwordx4 s[12:15], s[4:5], 0x0
	s_waitcnt lgkmcnt(0)
	s_and_b32 s0, s3, 0x7fffffff
	v_cmp_eq_f32_e64 s1, s2, 1.0
	s_cmp_eq_u32 s0, 0
	s_mov_b32 s0, 0
	s_cselect_b32 s20, -1, 0
	s_and_b32 s1, s1, s20
	s_andn2_b32 vcc_lo, exec_lo, s1
	s_mov_b32 s1, -1
	s_cbranch_vccnz .LBB386_4
; %bb.1:
	s_cmp_lg_u32 s13, 0
	s_cbranch_scc0 .LBB386_3
; %bb.2:
	v_cmp_neq_f32_e64 s0, s14, 0
	v_cmp_neq_f32_e64 s1, s15, 0
	s_or_b32 s0, s0, s1
.LBB386_3:
	s_mov_b32 s1, s0
.LBB386_4:
	s_and_b32 vcc_lo, exec_lo, s1
	s_cbranch_vccz .LBB386_32
; %bb.5:
	s_load_dwordx2 s[10:11], s[4:5], 0x48
	s_mov_b32 s9, 0
	v_cmp_eq_f32_e64 s16, s14, 0
	s_lshl_b64 s[0:1], s[8:9], 3
	v_cmp_eq_f32_e64 s17, s15, 0
	v_mov_b32_e32 v19, 0
	v_mov_b32_e32 v20, 0
	;; [unrolled: 1-line block ×8, first 2 shown]
	s_waitcnt lgkmcnt(0)
	s_add_u32 s10, s10, s0
	s_addc_u32 s11, s11, s1
	s_lshl_b32 s8, s6, 5
	s_load_dwordx2 s[10:11], s[10:11], 0x0
	s_lshl_b32 s21, s7, 5
	s_and_b32 s6, s16, s17
	s_cmp_lt_i32 s13, 1
	s_cselect_b32 s7, -1, 0
	s_or_b32 s6, s6, s7
	s_and_b32 vcc_lo, exec_lo, s6
	s_cbranch_vccnz .LBB386_16
; %bb.6:
	s_clause 0x4
	s_load_dword s6, s[4:5], 0x30
	s_load_dwordx4 s[16:19], s[4:5], 0x20
	s_load_dword s26, s[4:5], 0x18
	s_load_dwordx2 s[22:23], s[4:5], 0x10
	s_load_dwordx2 s[24:25], s[4:5], 0x38
	v_lshl_add_u32 v2, v1, 4, v0
	v_and_b32_e32 v6, 7, v0
	v_lshl_add_u32 v11, v1, 6, 0x800
	v_mov_b32_e32 v16, 0
	v_mov_b32_e32 v18, 0
	v_and_b32_e32 v3, 31, v2
	v_lshrrev_b32_e32 v4, 3, v2
	v_lshlrev_b32_e32 v5, 3, v6
	v_lshrrev_b32_e32 v7, 5, v2
	v_mov_b32_e32 v17, 0
	v_or_b32_e32 v8, s8, v3
	v_lshlrev_b32_e32 v9, 3, v3
	v_add_nc_u32_e32 v3, s8, v3
	v_add_nc_u32_e32 v2, s21, v4
	v_lshl_or_b32 v10, v4, 6, v5
	s_waitcnt lgkmcnt(0)
	s_ashr_i32 s7, s6, 31
	s_add_u32 s18, s18, s0
	v_mad_i64_i32 v[4:5], null, s26, v3, 0
	s_addc_u32 s19, s19, s1
	s_add_u32 s0, s22, s0
	v_mad_i64_i32 v[12:13], null, s6, v6, 0
	s_addc_u32 s1, s23, s1
	s_load_dwordx2 s[18:19], s[18:19], 0x0
	s_load_dwordx2 s[22:23], s[0:1], 0x0
	v_lshlrev_b64 v[4:5], 3, v[4:5]
	v_ashrrev_i32_e32 v3, 31, v2
	s_lshl_b64 s[16:17], s[16:17], 3
	v_lshlrev_b32_e32 v15, 3, v7
	v_lshlrev_b64 v[13:14], 3, v[12:13]
	v_cmp_gt_i32_e64 s0, s12, v2
	v_add_co_u32 v4, s1, v4, s16
	v_add_co_ci_u32_e64 v5, null, s17, v5, s1
	s_lshl_b64 s[16:17], s[24:25], 3
	v_lshlrev_b64 v[2:3], 3, v[2:3]
	v_add_co_u32 v13, s1, v13, s16
	v_add_co_ci_u32_e64 v14, null, s17, v14, s1
	v_add_co_u32 v4, s1, v4, v15
	v_add_co_ci_u32_e64 v5, null, 0, v5, s1
	;; [unrolled: 2-line block ×3, first 2 shown]
	s_waitcnt lgkmcnt(0)
	v_add_co_u32 v2, s1, s22, v4
	v_cmp_gt_i32_e32 vcc_lo, s12, v8
	v_add_co_ci_u32_e64 v3, null, s23, v5, s1
	v_add_co_u32 v4, s1, s18, v13
	v_lshl_or_b32 v8, v7, 8, v9
	v_add_nc_u32_e32 v9, 0x800, v10
	v_lshlrev_b32_e32 v10, 3, v0
	v_mov_b32_e32 v12, 0
	v_add_co_ci_u32_e64 v5, null, s19, v14, s1
	v_mov_b32_e32 v14, 0
	v_mov_b32_e32 v13, 0
	;; [unrolled: 1-line block ×5, first 2 shown]
	s_lshl_b64 s[6:7], s[6:7], 6
	s_xor_b32 s1, vcc_lo, -1
	s_xor_b32 s0, s0, -1
	s_branch .LBB386_8
.LBB386_7:                              ;   in Loop: Header=BB386_8 Depth=1
	s_or_b32 exec_lo, exec_lo, s16
	ds_write_b32 v9, v21 offset:4
	s_waitcnt lgkmcnt(0)
	s_barrier
	buffer_gl0_inv
	ds_read_b128 v[21:24], v11
	ds_read2_b64 v[25:28], v10 offset1:16
	ds_read_b128 v[29:32], v11 offset:1024
	ds_read_b128 v[33:36], v11 offset:16
	;; [unrolled: 1-line block ×4, first 2 shown]
	ds_read2_b64 v[45:48], v10 offset0:32 offset1:48
	ds_read_b128 v[49:52], v11 offset:1040
	v_add_co_u32 v2, vcc_lo, v2, 64
	v_add_co_ci_u32_e64 v3, null, 0, v3, vcc_lo
	v_add_co_u32 v4, vcc_lo, v4, s6
	v_add_co_ci_u32_e64 v5, null, s7, v5, vcc_lo
	s_add_i32 s9, s9, 8
	s_cmp_lt_i32 s9, s13
	s_waitcnt lgkmcnt(6)
	v_mul_f32_e32 v53, v22, v26
	v_mul_f32_e32 v54, v21, v26
	;; [unrolled: 1-line block ×4, first 2 shown]
	s_waitcnt lgkmcnt(5)
	v_mul_f32_e32 v57, v30, v26
	v_mul_f32_e32 v26, v29, v26
	;; [unrolled: 1-line block ×3, first 2 shown]
	v_fma_f32 v53, v21, v25, -v53
	v_fmac_f32_e32 v54, v22, v25
	v_fma_f32 v21, v21, v27, -v55
	v_fmac_f32_e32 v56, v22, v27
	;; [unrolled: 2-line block ×3, first 2 shown]
	v_mul_f32_e32 v28, v29, v28
	v_fma_f32 v25, v29, v27, -v58
	v_add_f32_e32 v19, v19, v53
	v_add_f32_e32 v21, v17, v21
	;; [unrolled: 1-line block ×5, first 2 shown]
	s_waitcnt lgkmcnt(1)
	v_mul_f32_e32 v53, v24, v46
	ds_read2_b64 v[15:18], v10 offset0:64 offset1:80
	v_fmac_f32_e32 v28, v30, v27
	v_add_f32_e32 v13, v13, v25
	v_mul_f32_e32 v25, v23, v46
	v_fma_f32 v27, v23, v45, -v53
	v_mul_f32_e32 v30, v24, v48
	v_add_f32_e32 v20, v20, v54
	v_add_f32_e32 v14, v14, v28
	v_fmac_f32_e32 v25, v24, v45
	v_mul_f32_e32 v28, v23, v48
	v_add_f32_e32 v27, v19, v27
	v_fma_f32 v19, v23, v47, -v30
	v_mul_f32_e32 v23, v32, v46
	v_add_f32_e32 v25, v20, v25
	v_fmac_f32_e32 v28, v24, v47
	v_mul_f32_e32 v20, v31, v46
	v_add_f32_e32 v24, v21, v19
	v_fma_f32 v19, v31, v45, -v23
	v_mul_f32_e32 v21, v32, v48
	v_add_f32_e32 v23, v29, v28
	v_fmac_f32_e32 v20, v32, v45
	v_mul_f32_e32 v28, v31, v48
	v_add_f32_e32 v29, v22, v19
	v_fma_f32 v19, v31, v47, -v21
	s_waitcnt lgkmcnt(0)
	v_mul_f32_e32 v21, v34, v16
	v_add_f32_e32 v26, v26, v20
	v_fmac_f32_e32 v28, v32, v47
	v_mul_f32_e32 v30, v33, v16
	v_add_f32_e32 v13, v13, v19
	v_fma_f32 v31, v33, v15, -v21
	v_mul_f32_e32 v32, v34, v18
	ds_read2_b64 v[19:22], v10 offset0:96 offset1:112
	v_fmac_f32_e32 v30, v34, v15
	v_add_f32_e32 v28, v14, v28
	v_add_f32_e32 v27, v27, v31
	v_mul_f32_e32 v14, v33, v18
	v_fma_f32 v31, v33, v17, -v32
	v_add_f32_e32 v25, v25, v30
	v_mul_f32_e32 v30, v50, v16
	v_mul_f32_e32 v16, v49, v16
	v_fmac_f32_e32 v14, v34, v17
	v_add_f32_e32 v24, v24, v31
	v_mul_f32_e32 v31, v50, v18
	v_fma_f32 v30, v49, v15, -v30
	v_fmac_f32_e32 v16, v50, v15
	v_mul_f32_e32 v18, v49, v18
	v_add_f32_e32 v32, v23, v14
	v_fma_f32 v14, v49, v17, -v31
	v_add_f32_e32 v29, v29, v30
	v_add_f32_e32 v30, v26, v16
	v_fmac_f32_e32 v18, v50, v17
	s_waitcnt lgkmcnt(0)
	v_mul_f32_e32 v17, v36, v20
	v_add_f32_e32 v31, v13, v14
	ds_read2_b64 v[13:16], v10 offset0:128 offset1:144
	v_mul_f32_e32 v23, v35, v20
	v_mul_f32_e32 v26, v36, v22
	v_fma_f32 v17, v35, v19, -v17
	v_add_f32_e32 v28, v28, v18
	v_mul_f32_e32 v18, v35, v22
	v_fmac_f32_e32 v23, v36, v19
	v_fma_f32 v26, v35, v21, -v26
	v_add_f32_e32 v27, v27, v17
	v_mul_f32_e32 v17, v52, v20
	v_fmac_f32_e32 v18, v36, v21
	v_mul_f32_e32 v20, v51, v20
	v_mul_f32_e32 v35, v52, v22
	v_add_f32_e32 v33, v25, v23
	v_fma_f32 v17, v51, v19, -v17
	v_add_f32_e32 v34, v24, v26
	ds_read_b128 v[23:26], v11 offset:1056
	v_add_f32_e32 v32, v32, v18
	v_fmac_f32_e32 v20, v52, v19
	v_mul_f32_e32 v22, v51, v22
	v_fma_f32 v18, v51, v21, -v35
	v_add_f32_e32 v35, v29, v17
	s_waitcnt lgkmcnt(1)
	v_mul_f32_e32 v17, v38, v14
	v_add_f32_e32 v36, v30, v20
	v_fmac_f32_e32 v22, v52, v21
	v_add_f32_e32 v21, v31, v18
	v_mul_f32_e32 v31, v37, v14
	v_fma_f32 v29, v37, v13, -v17
	ds_read2_b64 v[17:20], v10 offset0:160 offset1:176
	v_mul_f32_e32 v30, v38, v16
	v_mul_f32_e32 v46, v37, v16
	v_fmac_f32_e32 v31, v38, v13
	v_add_f32_e32 v22, v28, v22
	v_add_f32_e32 v45, v27, v29
	v_fma_f32 v37, v37, v15, -v30
	ds_read_b128 v[27:30], v11 offset:1072
	s_waitcnt lgkmcnt(2)
	v_mul_f32_e32 v47, v24, v14
	v_add_f32_e32 v31, v33, v31
	v_mul_f32_e32 v14, v23, v14
	v_add_f32_e32 v33, v34, v37
	v_mul_f32_e32 v37, v24, v16
	v_fmac_f32_e32 v46, v38, v15
	v_fma_f32 v34, v23, v13, -v47
	v_fmac_f32_e32 v14, v24, v13
	v_mul_f32_e32 v38, v23, v16
	v_fma_f32 v13, v23, v15, -v37
	v_add_f32_e32 v32, v32, v46
	v_add_f32_e32 v34, v35, v34
	s_waitcnt lgkmcnt(1)
	v_mul_f32_e32 v16, v40, v18
	v_add_f32_e32 v23, v36, v14
	v_fmac_f32_e32 v38, v24, v15
	v_mul_f32_e32 v24, v39, v18
	v_add_f32_e32 v21, v21, v13
	v_fma_f32 v35, v39, v17, -v16
	ds_read2_b64 v[13:16], v10 offset0:192 offset1:208
	v_mul_f32_e32 v36, v40, v20
	v_fmac_f32_e32 v24, v40, v17
	v_add_f32_e32 v37, v22, v38
	v_mul_f32_e32 v22, v39, v20
	v_add_f32_e32 v35, v45, v35
	v_fma_f32 v36, v39, v19, -v36
	v_add_f32_e32 v31, v31, v24
	v_mul_f32_e32 v24, v26, v18
	v_mul_f32_e32 v18, v25, v18
	v_fmac_f32_e32 v22, v40, v19
	v_add_f32_e32 v33, v33, v36
	v_mul_f32_e32 v36, v26, v20
	v_fma_f32 v24, v25, v17, -v24
	v_fmac_f32_e32 v18, v26, v17
	v_add_f32_e32 v17, v32, v22
	v_mul_f32_e32 v20, v25, v20
	v_fma_f32 v22, v25, v19, -v36
	v_add_f32_e32 v25, v34, v24
	v_add_f32_e32 v18, v23, v18
	s_waitcnt lgkmcnt(0)
	v_mul_f32_e32 v32, v42, v14
	v_fmac_f32_e32 v20, v26, v19
	v_add_f32_e32 v19, v21, v22
	ds_read2_b64 v[21:24], v10 offset0:224 offset1:240
	v_mul_f32_e32 v26, v41, v14
	v_fma_f32 v32, v41, v13, -v32
	v_mul_f32_e32 v34, v42, v16
	v_mul_f32_e32 v36, v41, v16
	v_add_f32_e32 v20, v37, v20
	v_fmac_f32_e32 v26, v42, v13
	v_add_f32_e32 v32, v35, v32
	v_mul_f32_e32 v35, v28, v14
	v_fma_f32 v34, v41, v15, -v34
	v_fmac_f32_e32 v36, v42, v15
	v_add_f32_e32 v26, v31, v26
	v_mul_f32_e32 v14, v27, v14
	v_fma_f32 v31, v27, v13, -v35
	v_add_f32_e32 v33, v33, v34
	v_mul_f32_e32 v34, v28, v16
	v_add_f32_e32 v35, v17, v36
	v_fmac_f32_e32 v14, v28, v13
	v_add_f32_e32 v13, v25, v31
	v_mul_f32_e32 v16, v27, v16
	v_fma_f32 v17, v27, v15, -v34
	s_waitcnt lgkmcnt(0)
	v_mul_f32_e32 v25, v44, v22
	v_mul_f32_e32 v27, v43, v22
	v_add_f32_e32 v14, v18, v14
	v_fmac_f32_e32 v16, v28, v15
	v_add_f32_e32 v28, v19, v17
	v_fma_f32 v15, v43, v21, -v25
	v_fmac_f32_e32 v27, v44, v21
	v_mul_f32_e32 v17, v44, v24
	v_mul_f32_e32 v18, v43, v24
	v_add_f32_e32 v25, v20, v16
	v_add_f32_e32 v19, v32, v15
	;; [unrolled: 1-line block ×3, first 2 shown]
	v_fma_f32 v15, v43, v23, -v17
	v_mul_f32_e32 v16, v30, v22
	v_mul_f32_e32 v22, v29, v22
	;; [unrolled: 1-line block ×4, first 2 shown]
	v_fmac_f32_e32 v18, v44, v23
	v_add_f32_e32 v17, v33, v15
	v_fma_f32 v15, v29, v21, -v16
	v_fmac_f32_e32 v22, v30, v21
	v_fma_f32 v21, v29, v23, -v26
	v_fmac_f32_e32 v24, v30, v23
	v_add_f32_e32 v18, v35, v18
	v_add_f32_e32 v15, v13, v15
	v_add_f32_e32 v16, v14, v22
	v_add_f32_e32 v13, v28, v21
	v_add_f32_e32 v14, v25, v24
	s_barrier
	buffer_gl0_inv
	s_cbranch_scc0 .LBB386_16
.LBB386_8:                              ; =>This Inner Loop Header: Depth=1
	v_add_nc_u32_e32 v21, s9, v7
	v_cmp_le_i32_e32 vcc_lo, s13, v21
	s_or_b32 s16, s1, vcc_lo
	s_and_saveexec_b32 s17, s16
	s_xor_b32 s16, exec_lo, s17
; %bb.9:                                ;   in Loop: Header=BB386_8 Depth=1
	ds_write_b32 v8, v12
; %bb.10:                               ;   in Loop: Header=BB386_8 Depth=1
	s_or_saveexec_b32 s16, s16
	v_mov_b32_e32 v21, 0
	s_xor_b32 exec_lo, exec_lo, s16
	s_cbranch_execz .LBB386_12
; %bb.11:                               ;   in Loop: Header=BB386_8 Depth=1
	flat_load_dwordx2 v[22:23], v[2:3]
	s_waitcnt vmcnt(0) lgkmcnt(0)
	v_xor_b32_e32 v21, 0x80000000, v23
	ds_write_b32 v8, v22
.LBB386_12:                             ;   in Loop: Header=BB386_8 Depth=1
	s_or_b32 exec_lo, exec_lo, s16
	v_add_nc_u32_e32 v22, s9, v6
	ds_write_b32 v8, v21 offset:4
	v_cmp_le_i32_e32 vcc_lo, s13, v22
	s_or_b32 s16, vcc_lo, s0
	s_and_saveexec_b32 s17, s16
	s_xor_b32 s16, exec_lo, s17
; %bb.13:                               ;   in Loop: Header=BB386_8 Depth=1
	ds_write_b32 v9, v12
; %bb.14:                               ;   in Loop: Header=BB386_8 Depth=1
	s_or_saveexec_b32 s16, s16
	v_mov_b32_e32 v21, 0
	s_xor_b32 exec_lo, exec_lo, s16
	s_cbranch_execz .LBB386_7
; %bb.15:                               ;   in Loop: Header=BB386_8 Depth=1
	flat_load_dwordx2 v[22:23], v[4:5]
	s_waitcnt vmcnt(0) lgkmcnt(0)
	v_xor_b32_e32 v21, 0x80000000, v23
	ds_write_b32 v9, v22
	s_branch .LBB386_7
.LBB386_16:
	s_clause 0x1
	s_load_dword s6, s[4:5], 0x50
	s_load_dwordx2 s[4:5], s[4:5], 0x58
	v_add_nc_u32_e32 v9, s21, v1
	v_add_nc_u32_e32 v0, s8, v0
	v_cmp_neq_f32_e64 s7, s2, 0
	v_cmp_gt_i32_e64 s0, s12, v9
	v_cmp_le_i32_e32 vcc_lo, v0, v9
	s_waitcnt lgkmcnt(0)
	v_mad_i64_i32 v[1:2], null, v9, s6, 0
	s_lshl_b64 s[4:5], s[4:5], 3
	s_add_u32 s4, s10, s4
	s_addc_u32 s5, s11, s5
	s_xor_b32 s8, s20, -1
	s_or_b32 s7, s7, s8
	v_lshlrev_b64 v[2:3], 3, v[1:2]
	v_ashrrev_i32_e32 v1, 31, v0
	v_cndmask_b32_e64 v8, 0, 1, s7
	s_and_b32 s8, s0, vcc_lo
	v_add_co_u32 v6, s1, s4, v2
	v_add_co_ci_u32_e64 v7, null, s5, v3, s1
	s_and_saveexec_b32 s1, s8
	s_cbranch_execz .LBB386_20
; %bb.17:
	v_lshlrev_b64 v[4:5], 3, v[0:1]
	v_mul_f32_e32 v2, s15, v20
	v_mul_f32_e32 v3, s14, v20
	v_fma_f32 v2, v19, s14, -v2
	v_add_co_u32 v4, vcc_lo, v6, v4
	v_fmac_f32_e32 v3, s15, v19
	v_add_co_ci_u32_e64 v5, null, v7, v5, vcc_lo
	s_andn2_b32 vcc_lo, exec_lo, s7
	s_cbranch_vccnz .LBB386_19
; %bb.18:
	flat_load_dwordx2 v[10:11], v[4:5]
	s_waitcnt vmcnt(0) lgkmcnt(0)
	v_mul_f32_e32 v12, s3, v11
	v_mul_f32_e32 v11, s2, v11
	v_fma_f32 v12, v10, s2, -v12
	v_fmac_f32_e32 v11, s3, v10
	v_add_f32_e32 v2, v2, v12
	v_add_f32_e32 v3, v3, v11
.LBB386_19:
	flat_store_dwordx2 v[4:5], v[2:3]
.LBB386_20:
	s_or_b32 exec_lo, exec_lo, s1
	v_add_nc_u32_e32 v2, 16, v0
	v_cmp_le_i32_e32 vcc_lo, v2, v9
	v_ashrrev_i32_e32 v3, 31, v2
	s_and_b32 s0, s0, vcc_lo
	s_and_saveexec_b32 s1, s0
	s_cbranch_execz .LBB386_24
; %bb.21:
	v_lshlrev_b64 v[10:11], 3, v[2:3]
	v_mul_f32_e32 v4, s15, v18
	v_mul_f32_e32 v5, s14, v18
	v_cmp_ne_u32_e32 vcc_lo, 1, v8
	v_fma_f32 v4, v17, s14, -v4
	v_add_co_u32 v6, s0, v6, v10
	v_fmac_f32_e32 v5, s15, v17
	v_add_co_ci_u32_e64 v7, null, v7, v11, s0
	s_cbranch_vccnz .LBB386_23
; %bb.22:
	flat_load_dwordx2 v[10:11], v[6:7]
	s_waitcnt vmcnt(0) lgkmcnt(0)
	v_mul_f32_e32 v12, s3, v11
	v_mul_f32_e32 v11, s2, v11
	v_fma_f32 v12, v10, s2, -v12
	v_fmac_f32_e32 v11, s3, v10
	v_add_f32_e32 v4, v4, v12
	v_add_f32_e32 v5, v5, v11
.LBB386_23:
	flat_store_dwordx2 v[6:7], v[4:5]
.LBB386_24:
	s_or_b32 exec_lo, exec_lo, s1
	v_add_nc_u32_e32 v9, 16, v9
	v_mad_i64_i32 v[4:5], null, v9, s6, 0
	v_cmp_gt_i32_e64 s0, s12, v9
	v_cmp_le_i32_e32 vcc_lo, v0, v9
	v_lshlrev_b64 v[4:5], 3, v[4:5]
	v_add_co_u32 v6, s1, s4, v4
	v_add_co_ci_u32_e64 v7, null, s5, v5, s1
	s_and_b32 s1, s0, vcc_lo
	s_and_saveexec_b32 s4, s1
	s_cbranch_execz .LBB386_28
; %bb.25:
	v_lshlrev_b64 v[0:1], 3, v[0:1]
	v_mul_f32_e32 v4, s15, v16
	v_mul_f32_e32 v5, s14, v16
	v_cmp_ne_u32_e32 vcc_lo, 1, v8
	v_fma_f32 v4, v15, s14, -v4
	v_add_co_u32 v0, s1, v6, v0
	v_fmac_f32_e32 v5, s15, v15
	v_add_co_ci_u32_e64 v1, null, v7, v1, s1
	s_cbranch_vccnz .LBB386_27
; %bb.26:
	flat_load_dwordx2 v[10:11], v[0:1]
	s_waitcnt vmcnt(0) lgkmcnt(0)
	v_mul_f32_e32 v12, s3, v11
	v_mul_f32_e32 v11, s2, v11
	v_fma_f32 v12, v10, s2, -v12
	v_fmac_f32_e32 v11, s3, v10
	v_add_f32_e32 v4, v4, v12
	v_add_f32_e32 v5, v5, v11
.LBB386_27:
	flat_store_dwordx2 v[0:1], v[4:5]
.LBB386_28:
	s_or_b32 exec_lo, exec_lo, s4
	v_cmp_le_i32_e32 vcc_lo, v2, v9
	s_and_b32 s0, s0, vcc_lo
	s_and_saveexec_b32 s1, s0
	s_cbranch_execz .LBB386_32
; %bb.29:
	v_lshlrev_b64 v[2:3], 3, v[2:3]
	v_mul_f32_e32 v0, s15, v14
	v_mul_f32_e32 v1, s14, v14
	v_cmp_ne_u32_e32 vcc_lo, 1, v8
	v_fma_f32 v0, v13, s14, -v0
	v_add_co_u32 v2, s0, v6, v2
	v_fmac_f32_e32 v1, s15, v13
	v_add_co_ci_u32_e64 v3, null, v7, v3, s0
	s_cbranch_vccnz .LBB386_31
; %bb.30:
	flat_load_dwordx2 v[4:5], v[2:3]
	s_waitcnt vmcnt(0) lgkmcnt(0)
	v_mul_f32_e32 v6, s3, v5
	v_mul_f32_e32 v5, s2, v5
	v_fma_f32 v6, v4, s2, -v6
	v_fmac_f32_e32 v5, s3, v4
	v_add_f32_e32 v0, v0, v6
	v_add_f32_e32 v1, v1, v5
.LBB386_31:
	flat_store_dwordx2 v[2:3], v[0:1]
.LBB386_32:
	s_endpgm
	.section	.rodata,"a",@progbits
	.p2align	6, 0x0
	.amdhsa_kernel _ZL29rocblas_internal_gemmt_kernelIiLi16ELi32ELi8ELc67ELc67ELc85ELb1ELb1E19rocblas_complex_numIfES1_PKPKS1_PKPS1_EviT_T9_T10_S9_lSB_S9_lSA_T11_S9_li
		.amdhsa_group_segment_fixed_size 4096
		.amdhsa_private_segment_fixed_size 0
		.amdhsa_kernarg_size 100
		.amdhsa_user_sgpr_count 6
		.amdhsa_user_sgpr_private_segment_buffer 1
		.amdhsa_user_sgpr_dispatch_ptr 0
		.amdhsa_user_sgpr_queue_ptr 0
		.amdhsa_user_sgpr_kernarg_segment_ptr 1
		.amdhsa_user_sgpr_dispatch_id 0
		.amdhsa_user_sgpr_flat_scratch_init 0
		.amdhsa_user_sgpr_private_segment_size 0
		.amdhsa_wavefront_size32 1
		.amdhsa_uses_dynamic_stack 0
		.amdhsa_system_sgpr_private_segment_wavefront_offset 0
		.amdhsa_system_sgpr_workgroup_id_x 1
		.amdhsa_system_sgpr_workgroup_id_y 1
		.amdhsa_system_sgpr_workgroup_id_z 1
		.amdhsa_system_sgpr_workgroup_info 0
		.amdhsa_system_vgpr_workitem_id 1
		.amdhsa_next_free_vgpr 59
		.amdhsa_next_free_sgpr 27
		.amdhsa_reserve_vcc 1
		.amdhsa_reserve_flat_scratch 0
		.amdhsa_float_round_mode_32 0
		.amdhsa_float_round_mode_16_64 0
		.amdhsa_float_denorm_mode_32 3
		.amdhsa_float_denorm_mode_16_64 3
		.amdhsa_dx10_clamp 1
		.amdhsa_ieee_mode 1
		.amdhsa_fp16_overflow 0
		.amdhsa_workgroup_processor_mode 1
		.amdhsa_memory_ordered 1
		.amdhsa_forward_progress 1
		.amdhsa_shared_vgpr_count 0
		.amdhsa_exception_fp_ieee_invalid_op 0
		.amdhsa_exception_fp_denorm_src 0
		.amdhsa_exception_fp_ieee_div_zero 0
		.amdhsa_exception_fp_ieee_overflow 0
		.amdhsa_exception_fp_ieee_underflow 0
		.amdhsa_exception_fp_ieee_inexact 0
		.amdhsa_exception_int_div_zero 0
	.end_amdhsa_kernel
	.section	.text._ZL29rocblas_internal_gemmt_kernelIiLi16ELi32ELi8ELc67ELc67ELc85ELb1ELb1E19rocblas_complex_numIfES1_PKPKS1_PKPS1_EviT_T9_T10_S9_lSB_S9_lSA_T11_S9_li,"axG",@progbits,_ZL29rocblas_internal_gemmt_kernelIiLi16ELi32ELi8ELc67ELc67ELc85ELb1ELb1E19rocblas_complex_numIfES1_PKPKS1_PKPS1_EviT_T9_T10_S9_lSB_S9_lSA_T11_S9_li,comdat
.Lfunc_end386:
	.size	_ZL29rocblas_internal_gemmt_kernelIiLi16ELi32ELi8ELc67ELc67ELc85ELb1ELb1E19rocblas_complex_numIfES1_PKPKS1_PKPS1_EviT_T9_T10_S9_lSB_S9_lSA_T11_S9_li, .Lfunc_end386-_ZL29rocblas_internal_gemmt_kernelIiLi16ELi32ELi8ELc67ELc67ELc85ELb1ELb1E19rocblas_complex_numIfES1_PKPKS1_PKPS1_EviT_T9_T10_S9_lSB_S9_lSA_T11_S9_li
                                        ; -- End function
	.set _ZL29rocblas_internal_gemmt_kernelIiLi16ELi32ELi8ELc67ELc67ELc85ELb1ELb1E19rocblas_complex_numIfES1_PKPKS1_PKPS1_EviT_T9_T10_S9_lSB_S9_lSA_T11_S9_li.num_vgpr, 59
	.set _ZL29rocblas_internal_gemmt_kernelIiLi16ELi32ELi8ELc67ELc67ELc85ELb1ELb1E19rocblas_complex_numIfES1_PKPKS1_PKPS1_EviT_T9_T10_S9_lSB_S9_lSA_T11_S9_li.num_agpr, 0
	.set _ZL29rocblas_internal_gemmt_kernelIiLi16ELi32ELi8ELc67ELc67ELc85ELb1ELb1E19rocblas_complex_numIfES1_PKPKS1_PKPS1_EviT_T9_T10_S9_lSB_S9_lSA_T11_S9_li.numbered_sgpr, 27
	.set _ZL29rocblas_internal_gemmt_kernelIiLi16ELi32ELi8ELc67ELc67ELc85ELb1ELb1E19rocblas_complex_numIfES1_PKPKS1_PKPS1_EviT_T9_T10_S9_lSB_S9_lSA_T11_S9_li.num_named_barrier, 0
	.set _ZL29rocblas_internal_gemmt_kernelIiLi16ELi32ELi8ELc67ELc67ELc85ELb1ELb1E19rocblas_complex_numIfES1_PKPKS1_PKPS1_EviT_T9_T10_S9_lSB_S9_lSA_T11_S9_li.private_seg_size, 0
	.set _ZL29rocblas_internal_gemmt_kernelIiLi16ELi32ELi8ELc67ELc67ELc85ELb1ELb1E19rocblas_complex_numIfES1_PKPKS1_PKPS1_EviT_T9_T10_S9_lSB_S9_lSA_T11_S9_li.uses_vcc, 1
	.set _ZL29rocblas_internal_gemmt_kernelIiLi16ELi32ELi8ELc67ELc67ELc85ELb1ELb1E19rocblas_complex_numIfES1_PKPKS1_PKPS1_EviT_T9_T10_S9_lSB_S9_lSA_T11_S9_li.uses_flat_scratch, 0
	.set _ZL29rocblas_internal_gemmt_kernelIiLi16ELi32ELi8ELc67ELc67ELc85ELb1ELb1E19rocblas_complex_numIfES1_PKPKS1_PKPS1_EviT_T9_T10_S9_lSB_S9_lSA_T11_S9_li.has_dyn_sized_stack, 0
	.set _ZL29rocblas_internal_gemmt_kernelIiLi16ELi32ELi8ELc67ELc67ELc85ELb1ELb1E19rocblas_complex_numIfES1_PKPKS1_PKPS1_EviT_T9_T10_S9_lSB_S9_lSA_T11_S9_li.has_recursion, 0
	.set _ZL29rocblas_internal_gemmt_kernelIiLi16ELi32ELi8ELc67ELc67ELc85ELb1ELb1E19rocblas_complex_numIfES1_PKPKS1_PKPS1_EviT_T9_T10_S9_lSB_S9_lSA_T11_S9_li.has_indirect_call, 0
	.section	.AMDGPU.csdata,"",@progbits
; Kernel info:
; codeLenInByte = 2564
; TotalNumSgprs: 29
; NumVgprs: 59
; ScratchSize: 0
; MemoryBound: 0
; FloatMode: 240
; IeeeMode: 1
; LDSByteSize: 4096 bytes/workgroup (compile time only)
; SGPRBlocks: 0
; VGPRBlocks: 7
; NumSGPRsForWavesPerEU: 29
; NumVGPRsForWavesPerEU: 59
; Occupancy: 16
; WaveLimiterHint : 1
; COMPUTE_PGM_RSRC2:SCRATCH_EN: 0
; COMPUTE_PGM_RSRC2:USER_SGPR: 6
; COMPUTE_PGM_RSRC2:TRAP_HANDLER: 0
; COMPUTE_PGM_RSRC2:TGID_X_EN: 1
; COMPUTE_PGM_RSRC2:TGID_Y_EN: 1
; COMPUTE_PGM_RSRC2:TGID_Z_EN: 1
; COMPUTE_PGM_RSRC2:TIDIG_COMP_CNT: 1
	.section	.text._ZL29rocblas_internal_gemmt_kernelIiLi16ELi32ELi8ELc78ELc78ELc76ELb0ELb0E19rocblas_complex_numIfES1_PKPKS1_PKPS1_EviT_T9_T10_S9_lSB_S9_lSA_T11_S9_li,"axG",@progbits,_ZL29rocblas_internal_gemmt_kernelIiLi16ELi32ELi8ELc78ELc78ELc76ELb0ELb0E19rocblas_complex_numIfES1_PKPKS1_PKPS1_EviT_T9_T10_S9_lSB_S9_lSA_T11_S9_li,comdat
	.globl	_ZL29rocblas_internal_gemmt_kernelIiLi16ELi32ELi8ELc78ELc78ELc76ELb0ELb0E19rocblas_complex_numIfES1_PKPKS1_PKPS1_EviT_T9_T10_S9_lSB_S9_lSA_T11_S9_li ; -- Begin function _ZL29rocblas_internal_gemmt_kernelIiLi16ELi32ELi8ELc78ELc78ELc76ELb0ELb0E19rocblas_complex_numIfES1_PKPKS1_PKPS1_EviT_T9_T10_S9_lSB_S9_lSA_T11_S9_li
	.p2align	8
	.type	_ZL29rocblas_internal_gemmt_kernelIiLi16ELi32ELi8ELc78ELc78ELc76ELb0ELb0E19rocblas_complex_numIfES1_PKPKS1_PKPS1_EviT_T9_T10_S9_lSB_S9_lSA_T11_S9_li,@function
_ZL29rocblas_internal_gemmt_kernelIiLi16ELi32ELi8ELc78ELc78ELc76ELb0ELb0E19rocblas_complex_numIfES1_PKPKS1_PKPS1_EviT_T9_T10_S9_lSB_S9_lSA_T11_S9_li: ; @_ZL29rocblas_internal_gemmt_kernelIiLi16ELi32ELi8ELc78ELc78ELc76ELb0ELb0E19rocblas_complex_numIfES1_PKPKS1_PKPS1_EviT_T9_T10_S9_lSB_S9_lSA_T11_S9_li
; %bb.0:
	s_clause 0x1
	s_load_dwordx2 s[10:11], s[4:5], 0x40
	s_load_dwordx4 s[12:15], s[4:5], 0x0
	s_waitcnt lgkmcnt(0)
	s_and_b32 s0, s11, 0x7fffffff
	v_cmp_eq_f32_e64 s1, s10, 1.0
	s_cmp_eq_u32 s0, 0
	s_mov_b32 s0, 0
	s_cselect_b32 s20, -1, 0
	s_and_b32 s1, s1, s20
	s_andn2_b32 vcc_lo, exec_lo, s1
	s_mov_b32 s1, -1
	s_cbranch_vccnz .LBB387_4
; %bb.1:
	s_cmp_lg_u32 s13, 0
	s_cbranch_scc0 .LBB387_3
; %bb.2:
	v_cmp_neq_f32_e64 s0, s14, 0
	v_cmp_neq_f32_e64 s1, s15, 0
	s_or_b32 s0, s0, s1
.LBB387_3:
	s_mov_b32 s1, s0
.LBB387_4:
	s_and_b32 vcc_lo, exec_lo, s1
	s_cbranch_vccz .LBB387_32
; %bb.5:
	s_load_dwordx2 s[2:3], s[4:5], 0x48
	s_mov_b32 s9, 0
	v_cmp_eq_f32_e64 s16, s14, 0
	s_lshl_b64 s[0:1], s[8:9], 3
	v_cmp_eq_f32_e64 s17, s15, 0
	v_mov_b32_e32 v20, 0
	v_mov_b32_e32 v21, 0
	;; [unrolled: 1-line block ×8, first 2 shown]
	s_waitcnt lgkmcnt(0)
	s_add_u32 s2, s2, s0
	s_addc_u32 s3, s3, s1
	s_lshl_b32 s8, s6, 5
	s_load_dwordx2 s[2:3], s[2:3], 0x0
	s_lshl_b32 s21, s7, 5
	s_and_b32 s6, s16, s17
	s_cmp_lt_i32 s13, 1
	s_cselect_b32 s7, -1, 0
	s_or_b32 s6, s6, s7
	s_and_b32 vcc_lo, exec_lo, s6
	s_cbranch_vccnz .LBB387_16
; %bb.6:
	s_clause 0x4
	s_load_dword s6, s[4:5], 0x18
	s_load_dword s26, s[4:5], 0x30
	s_load_dwordx2 s[24:25], s[4:5], 0x38
	s_load_dwordx4 s[16:19], s[4:5], 0x20
	s_load_dwordx2 s[22:23], s[4:5], 0x10
	v_lshl_add_u32 v2, v1, 4, v0
	v_and_b32_e32 v8, 7, v0
	v_lshlrev_b32_e32 v12, 3, v0
	v_lshl_add_u32 v13, v1, 6, 0x800
	v_mov_b32_e32 v17, 0
	v_and_b32_e32 v3, 31, v2
	v_lshrrev_b32_e32 v4, 3, v2
	v_lshlrev_b32_e32 v14, 3, v8
	v_lshrrev_b32_e32 v9, 5, v2
	v_mov_b32_e32 v19, 0
	v_or_b32_e32 v5, s8, v3
	v_lshlrev_b32_e32 v6, 3, v3
	v_add_nc_u32_e32 v7, s21, v4
	v_lshl_or_b32 v11, v4, 6, v14
	v_add_nc_u32_e32 v2, s8, v3
	v_cmp_gt_i32_e32 vcc_lo, s12, v5
	s_waitcnt lgkmcnt(0)
	s_ashr_i32 s7, s6, 31
	v_mad_i64_i32 v[3:4], null, v9, s6, 0
	s_add_u32 s18, s18, s0
	s_addc_u32 s19, s19, s1
	s_add_u32 s0, s22, s0
	s_addc_u32 s1, s23, s1
	s_load_dwordx2 s[18:19], s[18:19], 0x0
	s_load_dwordx2 s[22:23], s[0:1], 0x0
	v_lshl_or_b32 v10, v9, 8, v6
	v_cmp_gt_i32_e64 s0, s12, v7
	v_lshlrev_b64 v[4:5], 3, v[3:4]
	v_mad_i64_i32 v[6:7], null, s26, v7, 0
	v_ashrrev_i32_e32 v3, 31, v2
	s_lshl_b64 s[16:17], s[16:17], 3
	v_add_nc_u32_e32 v11, 0x800, v11
	v_add_co_u32 v15, s1, v4, s16
	v_lshlrev_b64 v[2:3], 3, v[2:3]
	v_add_co_ci_u32_e64 v16, null, s17, v5, s1
	v_lshlrev_b64 v[4:5], 3, v[6:7]
	s_lshl_b64 s[16:17], s[24:25], 3
	v_mov_b32_e32 v18, 0
	v_add_co_u32 v2, s1, v15, v2
	v_add_co_ci_u32_e64 v3, null, v16, v3, s1
	v_add_co_u32 v4, s1, v4, s16
	v_add_co_ci_u32_e64 v5, null, s17, v5, s1
	s_waitcnt lgkmcnt(0)
	v_add_co_u32 v2, s1, s22, v2
	v_add_co_ci_u32_e64 v3, null, s23, v3, s1
	v_add_co_u32 v6, s1, v4, v14
	v_add_co_ci_u32_e64 v5, null, 0, v5, s1
	v_mov_b32_e32 v4, 0
	v_add_co_u32 v6, s1, s18, v6
	v_add_co_ci_u32_e64 v7, null, s19, v5, s1
	v_mov_b32_e32 v15, 0
	v_mov_b32_e32 v14, 0
	;; [unrolled: 1-line block ×5, first 2 shown]
	s_lshl_b64 s[6:7], s[6:7], 6
	s_xor_b32 s1, vcc_lo, -1
	s_xor_b32 s0, s0, -1
	s_branch .LBB387_8
.LBB387_7:                              ;   in Loop: Header=BB387_8 Depth=1
	s_or_b32 exec_lo, exec_lo, s16
	s_waitcnt lgkmcnt(0)
	s_barrier
	buffer_gl0_inv
	ds_read_b128 v[22:25], v13
	ds_read2_b64 v[26:29], v12 offset1:16
	ds_read_b128 v[30:33], v13 offset:1024
	ds_read_b128 v[34:37], v13 offset:16
	ds_read_b128 v[38:41], v13 offset:32
	ds_read_b128 v[42:45], v13 offset:48
	ds_read2_b64 v[46:49], v12 offset0:32 offset1:48
	ds_read_b128 v[50:53], v13 offset:1040
	v_add_co_u32 v2, vcc_lo, v2, s6
	v_add_co_ci_u32_e64 v3, null, s7, v3, vcc_lo
	v_add_co_u32 v6, vcc_lo, v6, 64
	v_add_co_ci_u32_e64 v7, null, 0, v7, vcc_lo
	s_add_i32 s9, s9, 8
	s_cmp_lt_i32 s9, s13
	s_waitcnt lgkmcnt(6)
	v_mul_f32_e32 v5, v23, v27
	v_mul_f32_e32 v54, v22, v27
	;; [unrolled: 1-line block ×4, first 2 shown]
	s_waitcnt lgkmcnt(5)
	v_mul_f32_e32 v57, v31, v27
	v_mul_f32_e32 v27, v30, v27
	;; [unrolled: 1-line block ×3, first 2 shown]
	v_fma_f32 v5, v22, v26, -v5
	v_fmac_f32_e32 v54, v23, v26
	v_fma_f32 v22, v22, v28, -v55
	v_fmac_f32_e32 v56, v23, v28
	;; [unrolled: 2-line block ×3, first 2 shown]
	v_mul_f32_e32 v29, v30, v29
	v_fma_f32 v26, v30, v28, -v58
	v_add_f32_e32 v5, v20, v5
	v_add_f32_e32 v20, v21, v54
	;; [unrolled: 1-line block ×6, first 2 shown]
	s_waitcnt lgkmcnt(1)
	v_mul_f32_e32 v30, v25, v47
	ds_read2_b64 v[16:19], v12 offset0:64 offset1:80
	v_fmac_f32_e32 v29, v31, v28
	v_add_f32_e32 v14, v14, v26
	v_mul_f32_e32 v26, v24, v47
	v_fma_f32 v28, v24, v46, -v30
	v_mul_f32_e32 v30, v25, v49
	v_add_f32_e32 v15, v15, v29
	v_mul_f32_e32 v29, v24, v49
	v_fmac_f32_e32 v26, v25, v46
	v_add_f32_e32 v5, v5, v28
	v_fma_f32 v24, v24, v48, -v30
	v_mul_f32_e32 v28, v33, v47
	v_fmac_f32_e32 v29, v25, v48
	v_add_f32_e32 v26, v20, v26
	v_mul_f32_e32 v20, v32, v47
	v_add_f32_e32 v24, v21, v24
	v_fma_f32 v21, v32, v46, -v28
	v_mul_f32_e32 v25, v33, v49
	v_add_f32_e32 v28, v22, v29
	v_fmac_f32_e32 v20, v33, v46
	v_mul_f32_e32 v29, v32, v49
	v_add_f32_e32 v30, v23, v21
	v_fma_f32 v21, v32, v48, -v25
	s_waitcnt lgkmcnt(0)
	v_mul_f32_e32 v22, v35, v17
	v_add_f32_e32 v25, v27, v20
	v_fmac_f32_e32 v29, v33, v48
	v_mul_f32_e32 v27, v34, v17
	v_add_f32_e32 v14, v14, v21
	v_fma_f32 v31, v34, v16, -v22
	v_mul_f32_e32 v32, v35, v19
	ds_read2_b64 v[20:23], v12 offset0:96 offset1:112
	v_fmac_f32_e32 v27, v35, v16
	v_add_f32_e32 v29, v15, v29
	v_add_f32_e32 v5, v5, v31
	v_mul_f32_e32 v15, v34, v19
	v_fma_f32 v31, v34, v18, -v32
	v_add_f32_e32 v26, v26, v27
	v_mul_f32_e32 v27, v51, v17
	v_mul_f32_e32 v17, v50, v17
	v_fmac_f32_e32 v15, v35, v18
	v_add_f32_e32 v24, v24, v31
	v_mul_f32_e32 v31, v51, v19
	v_mul_f32_e32 v19, v50, v19
	v_fmac_f32_e32 v17, v51, v16
	v_add_f32_e32 v28, v28, v15
	v_fma_f32 v27, v50, v16, -v27
	v_fma_f32 v15, v50, v18, -v31
	v_fmac_f32_e32 v19, v51, v18
	v_add_f32_e32 v31, v25, v17
	s_waitcnt lgkmcnt(0)
	v_mul_f32_e32 v18, v37, v21
	v_add_f32_e32 v32, v14, v15
	ds_read2_b64 v[14:17], v12 offset0:128 offset1:144
	v_add_f32_e32 v30, v30, v27
	v_mul_f32_e32 v25, v36, v21
	v_fma_f32 v18, v36, v20, -v18
	v_mul_f32_e32 v27, v37, v23
	v_add_f32_e32 v29, v29, v19
	v_mul_f32_e32 v19, v36, v23
	v_fmac_f32_e32 v25, v37, v20
	v_add_f32_e32 v5, v5, v18
	v_mul_f32_e32 v18, v53, v21
	v_fma_f32 v27, v36, v22, -v27
	v_fmac_f32_e32 v19, v37, v22
	v_mul_f32_e32 v21, v52, v21
	v_mul_f32_e32 v35, v53, v23
	v_fma_f32 v18, v52, v20, -v18
	v_add_f32_e32 v33, v26, v25
	v_add_f32_e32 v34, v24, v27
	ds_read_b128 v[24:27], v13 offset:1056
	v_add_f32_e32 v36, v28, v19
	v_fmac_f32_e32 v21, v53, v20
	v_mul_f32_e32 v23, v52, v23
	v_fma_f32 v19, v52, v22, -v35
	v_add_f32_e32 v35, v30, v18
	s_waitcnt lgkmcnt(1)
	v_mul_f32_e32 v18, v39, v15
	v_add_f32_e32 v37, v31, v21
	v_fmac_f32_e32 v23, v53, v22
	v_add_f32_e32 v22, v32, v19
	v_mul_f32_e32 v32, v38, v15
	v_fma_f32 v28, v38, v14, -v18
	ds_read2_b64 v[18:21], v12 offset0:160 offset1:176
	v_mul_f32_e32 v30, v39, v17
	v_mul_f32_e32 v46, v38, v17
	v_fmac_f32_e32 v32, v39, v14
	v_add_f32_e32 v23, v29, v23
	v_add_f32_e32 v5, v5, v28
	v_fma_f32 v38, v38, v16, -v30
	ds_read_b128 v[28:31], v13 offset:1072
	s_waitcnt lgkmcnt(2)
	v_mul_f32_e32 v47, v25, v15
	v_add_f32_e32 v32, v33, v32
	v_mul_f32_e32 v15, v24, v15
	v_add_f32_e32 v33, v34, v38
	v_mul_f32_e32 v38, v25, v17
	v_fmac_f32_e32 v46, v39, v16
	v_fma_f32 v34, v24, v14, -v47
	v_fmac_f32_e32 v15, v25, v14
	v_mul_f32_e32 v39, v24, v17
	v_fma_f32 v14, v24, v16, -v38
	v_add_f32_e32 v36, v36, v46
	v_add_f32_e32 v34, v35, v34
	s_waitcnt lgkmcnt(1)
	v_mul_f32_e32 v17, v41, v19
	v_add_f32_e32 v24, v37, v15
	v_fmac_f32_e32 v39, v25, v16
	v_mul_f32_e32 v25, v40, v19
	v_add_f32_e32 v22, v22, v14
	v_fma_f32 v35, v40, v18, -v17
	ds_read2_b64 v[14:17], v12 offset0:192 offset1:208
	v_mul_f32_e32 v37, v41, v21
	v_fmac_f32_e32 v25, v41, v18
	v_add_f32_e32 v38, v23, v39
	v_add_f32_e32 v5, v5, v35
	v_mul_f32_e32 v23, v40, v21
	v_fma_f32 v35, v40, v20, -v37
	v_add_f32_e32 v32, v32, v25
	v_mul_f32_e32 v25, v27, v19
	v_mul_f32_e32 v19, v26, v19
	v_fmac_f32_e32 v23, v41, v20
	v_add_f32_e32 v33, v33, v35
	v_mul_f32_e32 v35, v27, v21
	v_fma_f32 v25, v26, v18, -v25
	v_fmac_f32_e32 v19, v27, v18
	v_add_f32_e32 v18, v36, v23
	v_mul_f32_e32 v21, v26, v21
	v_fma_f32 v23, v26, v20, -v35
	v_add_f32_e32 v26, v34, v25
	v_add_f32_e32 v19, v24, v19
	s_waitcnt lgkmcnt(0)
	v_mul_f32_e32 v34, v43, v15
	v_fmac_f32_e32 v21, v27, v20
	v_add_f32_e32 v20, v22, v23
	ds_read2_b64 v[22:25], v12 offset0:224 offset1:240
	v_mul_f32_e32 v27, v42, v15
	v_fma_f32 v34, v42, v14, -v34
	v_mul_f32_e32 v35, v43, v17
	v_mul_f32_e32 v36, v42, v17
	v_add_f32_e32 v21, v38, v21
	v_fmac_f32_e32 v27, v43, v14
	v_add_f32_e32 v5, v5, v34
	v_mul_f32_e32 v34, v29, v15
	v_fma_f32 v35, v42, v16, -v35
	v_fmac_f32_e32 v36, v43, v16
	v_add_f32_e32 v27, v32, v27
	v_mul_f32_e32 v15, v28, v15
	v_fma_f32 v32, v28, v14, -v34
	v_mul_f32_e32 v34, v29, v17
	v_add_f32_e32 v33, v33, v35
	v_add_f32_e32 v35, v18, v36
	v_fmac_f32_e32 v15, v29, v14
	v_add_f32_e32 v14, v26, v32
	v_mul_f32_e32 v17, v28, v17
	v_fma_f32 v18, v28, v16, -v34
	s_waitcnt lgkmcnt(0)
	v_mul_f32_e32 v26, v45, v23
	v_mul_f32_e32 v28, v44, v23
	v_add_f32_e32 v15, v19, v15
	v_fmac_f32_e32 v17, v29, v16
	v_add_f32_e32 v29, v20, v18
	v_fma_f32 v16, v44, v22, -v26
	v_mul_f32_e32 v18, v45, v25
	v_mul_f32_e32 v19, v44, v25
	v_add_f32_e32 v26, v21, v17
	v_mul_f32_e32 v17, v30, v23
	v_add_f32_e32 v20, v5, v16
	v_fma_f32 v5, v44, v24, -v18
	v_mul_f32_e32 v16, v31, v23
	v_mul_f32_e32 v23, v31, v25
	;; [unrolled: 1-line block ×3, first 2 shown]
	v_fmac_f32_e32 v28, v45, v22
	v_fmac_f32_e32 v19, v45, v24
	v_add_f32_e32 v18, v33, v5
	v_fma_f32 v5, v30, v22, -v16
	v_fmac_f32_e32 v17, v31, v22
	v_fma_f32 v22, v30, v24, -v23
	v_fmac_f32_e32 v25, v31, v24
	v_add_f32_e32 v21, v27, v28
	v_add_f32_e32 v19, v35, v19
	;; [unrolled: 1-line block ×6, first 2 shown]
	s_barrier
	buffer_gl0_inv
	s_cbranch_scc0 .LBB387_16
.LBB387_8:                              ; =>This Inner Loop Header: Depth=1
	v_add_nc_u32_e32 v5, s9, v9
	v_cmp_le_i32_e32 vcc_lo, s13, v5
	s_or_b32 s16, s1, vcc_lo
	s_and_saveexec_b32 s17, s16
	s_xor_b32 s16, exec_lo, s17
; %bb.9:                                ;   in Loop: Header=BB387_8 Depth=1
	v_mov_b32_e32 v5, v4
	ds_write_b64 v10, v[4:5]
; %bb.10:                               ;   in Loop: Header=BB387_8 Depth=1
	s_andn2_saveexec_b32 s16, s16
	s_cbranch_execz .LBB387_12
; %bb.11:                               ;   in Loop: Header=BB387_8 Depth=1
	flat_load_dwordx2 v[22:23], v[2:3]
	s_waitcnt vmcnt(0) lgkmcnt(0)
	ds_write_b64 v10, v[22:23]
.LBB387_12:                             ;   in Loop: Header=BB387_8 Depth=1
	s_or_b32 exec_lo, exec_lo, s16
	v_add_nc_u32_e32 v5, s9, v8
	v_cmp_le_i32_e32 vcc_lo, s13, v5
	s_or_b32 s16, vcc_lo, s0
	s_and_saveexec_b32 s17, s16
	s_xor_b32 s16, exec_lo, s17
; %bb.13:                               ;   in Loop: Header=BB387_8 Depth=1
	v_mov_b32_e32 v5, v4
	ds_write_b64 v11, v[4:5]
; %bb.14:                               ;   in Loop: Header=BB387_8 Depth=1
	s_andn2_saveexec_b32 s16, s16
	s_cbranch_execz .LBB387_7
; %bb.15:                               ;   in Loop: Header=BB387_8 Depth=1
	flat_load_dwordx2 v[22:23], v[6:7]
	s_waitcnt vmcnt(0) lgkmcnt(0)
	ds_write_b64 v11, v[22:23]
	s_branch .LBB387_7
.LBB387_16:
	s_clause 0x1
	s_load_dword s6, s[4:5], 0x50
	s_load_dwordx2 s[4:5], s[4:5], 0x58
	v_add_nc_u32_e32 v9, s21, v1
	v_add_nc_u32_e32 v0, s8, v0
	v_cmp_neq_f32_e64 s7, s10, 0
	v_cmp_le_i32_e32 vcc_lo, v9, v0
	v_cmp_gt_i32_e64 s0, s12, v0
	s_waitcnt lgkmcnt(0)
	v_mad_i64_i32 v[1:2], null, v9, s6, 0
	s_lshl_b64 s[4:5], s[4:5], 3
	s_add_u32 s4, s2, s4
	s_addc_u32 s3, s3, s5
	s_xor_b32 s2, s20, -1
	s_and_b32 s5, vcc_lo, s0
	v_lshlrev_b64 v[2:3], 3, v[1:2]
	s_or_b32 s2, s7, s2
	v_ashrrev_i32_e32 v1, 31, v0
	v_cndmask_b32_e64 v8, 0, 1, s2
	v_add_co_u32 v6, s1, s4, v2
	v_add_co_ci_u32_e64 v7, null, s3, v3, s1
	s_and_saveexec_b32 s1, s5
	s_cbranch_execz .LBB387_20
; %bb.17:
	v_lshlrev_b64 v[4:5], 3, v[0:1]
	v_mul_f32_e32 v2, s15, v21
	v_mul_f32_e32 v3, s14, v21
	v_fma_f32 v2, v20, s14, -v2
	v_add_co_u32 v4, vcc_lo, v6, v4
	v_fmac_f32_e32 v3, s15, v20
	v_add_co_ci_u32_e64 v5, null, v7, v5, vcc_lo
	s_andn2_b32 vcc_lo, exec_lo, s2
	s_cbranch_vccnz .LBB387_19
; %bb.18:
	flat_load_dwordx2 v[10:11], v[4:5]
	s_waitcnt vmcnt(0) lgkmcnt(0)
	v_mul_f32_e32 v12, s11, v11
	v_mul_f32_e32 v11, s10, v11
	v_fma_f32 v12, v10, s10, -v12
	v_fmac_f32_e32 v11, s11, v10
	v_add_f32_e32 v2, v2, v12
	v_add_f32_e32 v3, v3, v11
.LBB387_19:
	flat_store_dwordx2 v[4:5], v[2:3]
.LBB387_20:
	s_or_b32 exec_lo, exec_lo, s1
	v_add_nc_u32_e32 v2, 16, v0
	v_cmp_le_i32_e32 vcc_lo, v9, v2
	v_cmp_gt_i32_e64 s1, s12, v2
	v_ashrrev_i32_e32 v3, 31, v2
	s_and_b32 s2, vcc_lo, s1
	s_and_saveexec_b32 s5, s2
	s_cbranch_execz .LBB387_24
; %bb.21:
	v_lshlrev_b64 v[10:11], 3, v[2:3]
	v_mul_f32_e32 v4, s15, v19
	v_mul_f32_e32 v5, s14, v19
	v_cmp_ne_u32_e32 vcc_lo, 1, v8
	v_fma_f32 v4, v18, s14, -v4
	v_add_co_u32 v6, s2, v6, v10
	v_fmac_f32_e32 v5, s15, v18
	v_add_co_ci_u32_e64 v7, null, v7, v11, s2
	s_cbranch_vccnz .LBB387_23
; %bb.22:
	flat_load_dwordx2 v[10:11], v[6:7]
	s_waitcnt vmcnt(0) lgkmcnt(0)
	v_mul_f32_e32 v12, s11, v11
	v_mul_f32_e32 v11, s10, v11
	v_fma_f32 v12, v10, s10, -v12
	v_fmac_f32_e32 v11, s11, v10
	v_add_f32_e32 v4, v4, v12
	v_add_f32_e32 v5, v5, v11
.LBB387_23:
	flat_store_dwordx2 v[6:7], v[4:5]
.LBB387_24:
	s_or_b32 exec_lo, exec_lo, s5
	v_add_nc_u32_e32 v9, 16, v9
	v_mad_i64_i32 v[4:5], null, v9, s6, 0
	v_cmp_le_i32_e32 vcc_lo, v9, v0
	s_and_b32 s0, vcc_lo, s0
	v_lshlrev_b64 v[4:5], 3, v[4:5]
	v_add_co_u32 v6, s2, s4, v4
	v_add_co_ci_u32_e64 v7, null, s3, v5, s2
	s_and_saveexec_b32 s2, s0
	s_cbranch_execz .LBB387_28
; %bb.25:
	v_lshlrev_b64 v[0:1], 3, v[0:1]
	v_mul_f32_e32 v4, s15, v17
	v_mul_f32_e32 v5, s14, v17
	v_cmp_ne_u32_e32 vcc_lo, 1, v8
	v_fma_f32 v4, v16, s14, -v4
	v_add_co_u32 v0, s0, v6, v0
	v_fmac_f32_e32 v5, s15, v16
	v_add_co_ci_u32_e64 v1, null, v7, v1, s0
	s_cbranch_vccnz .LBB387_27
; %bb.26:
	flat_load_dwordx2 v[10:11], v[0:1]
	s_waitcnt vmcnt(0) lgkmcnt(0)
	v_mul_f32_e32 v12, s11, v11
	v_mul_f32_e32 v11, s10, v11
	v_fma_f32 v12, v10, s10, -v12
	v_fmac_f32_e32 v11, s11, v10
	v_add_f32_e32 v4, v4, v12
	v_add_f32_e32 v5, v5, v11
.LBB387_27:
	flat_store_dwordx2 v[0:1], v[4:5]
.LBB387_28:
	s_or_b32 exec_lo, exec_lo, s2
	v_cmp_le_i32_e32 vcc_lo, v9, v2
	s_and_b32 s0, vcc_lo, s1
	s_and_saveexec_b32 s1, s0
	s_cbranch_execz .LBB387_32
; %bb.29:
	v_lshlrev_b64 v[2:3], 3, v[2:3]
	v_mul_f32_e32 v0, s15, v15
	v_mul_f32_e32 v1, s14, v15
	v_cmp_ne_u32_e32 vcc_lo, 1, v8
	v_fma_f32 v0, v14, s14, -v0
	v_add_co_u32 v2, s0, v6, v2
	v_fmac_f32_e32 v1, s15, v14
	v_add_co_ci_u32_e64 v3, null, v7, v3, s0
	s_cbranch_vccnz .LBB387_31
; %bb.30:
	flat_load_dwordx2 v[4:5], v[2:3]
	s_waitcnt vmcnt(0) lgkmcnt(0)
	v_mul_f32_e32 v6, s11, v5
	v_mul_f32_e32 v5, s10, v5
	v_fma_f32 v6, v4, s10, -v6
	v_fmac_f32_e32 v5, s11, v4
	v_add_f32_e32 v0, v0, v6
	v_add_f32_e32 v1, v1, v5
.LBB387_31:
	flat_store_dwordx2 v[2:3], v[0:1]
.LBB387_32:
	s_endpgm
	.section	.rodata,"a",@progbits
	.p2align	6, 0x0
	.amdhsa_kernel _ZL29rocblas_internal_gemmt_kernelIiLi16ELi32ELi8ELc78ELc78ELc76ELb0ELb0E19rocblas_complex_numIfES1_PKPKS1_PKPS1_EviT_T9_T10_S9_lSB_S9_lSA_T11_S9_li
		.amdhsa_group_segment_fixed_size 4096
		.amdhsa_private_segment_fixed_size 0
		.amdhsa_kernarg_size 100
		.amdhsa_user_sgpr_count 6
		.amdhsa_user_sgpr_private_segment_buffer 1
		.amdhsa_user_sgpr_dispatch_ptr 0
		.amdhsa_user_sgpr_queue_ptr 0
		.amdhsa_user_sgpr_kernarg_segment_ptr 1
		.amdhsa_user_sgpr_dispatch_id 0
		.amdhsa_user_sgpr_flat_scratch_init 0
		.amdhsa_user_sgpr_private_segment_size 0
		.amdhsa_wavefront_size32 1
		.amdhsa_uses_dynamic_stack 0
		.amdhsa_system_sgpr_private_segment_wavefront_offset 0
		.amdhsa_system_sgpr_workgroup_id_x 1
		.amdhsa_system_sgpr_workgroup_id_y 1
		.amdhsa_system_sgpr_workgroup_id_z 1
		.amdhsa_system_sgpr_workgroup_info 0
		.amdhsa_system_vgpr_workitem_id 1
		.amdhsa_next_free_vgpr 59
		.amdhsa_next_free_sgpr 27
		.amdhsa_reserve_vcc 1
		.amdhsa_reserve_flat_scratch 0
		.amdhsa_float_round_mode_32 0
		.amdhsa_float_round_mode_16_64 0
		.amdhsa_float_denorm_mode_32 3
		.amdhsa_float_denorm_mode_16_64 3
		.amdhsa_dx10_clamp 1
		.amdhsa_ieee_mode 1
		.amdhsa_fp16_overflow 0
		.amdhsa_workgroup_processor_mode 1
		.amdhsa_memory_ordered 1
		.amdhsa_forward_progress 1
		.amdhsa_shared_vgpr_count 0
		.amdhsa_exception_fp_ieee_invalid_op 0
		.amdhsa_exception_fp_denorm_src 0
		.amdhsa_exception_fp_ieee_div_zero 0
		.amdhsa_exception_fp_ieee_overflow 0
		.amdhsa_exception_fp_ieee_underflow 0
		.amdhsa_exception_fp_ieee_inexact 0
		.amdhsa_exception_int_div_zero 0
	.end_amdhsa_kernel
	.section	.text._ZL29rocblas_internal_gemmt_kernelIiLi16ELi32ELi8ELc78ELc78ELc76ELb0ELb0E19rocblas_complex_numIfES1_PKPKS1_PKPS1_EviT_T9_T10_S9_lSB_S9_lSA_T11_S9_li,"axG",@progbits,_ZL29rocblas_internal_gemmt_kernelIiLi16ELi32ELi8ELc78ELc78ELc76ELb0ELb0E19rocblas_complex_numIfES1_PKPKS1_PKPS1_EviT_T9_T10_S9_lSB_S9_lSA_T11_S9_li,comdat
.Lfunc_end387:
	.size	_ZL29rocblas_internal_gemmt_kernelIiLi16ELi32ELi8ELc78ELc78ELc76ELb0ELb0E19rocblas_complex_numIfES1_PKPKS1_PKPS1_EviT_T9_T10_S9_lSB_S9_lSA_T11_S9_li, .Lfunc_end387-_ZL29rocblas_internal_gemmt_kernelIiLi16ELi32ELi8ELc78ELc78ELc76ELb0ELb0E19rocblas_complex_numIfES1_PKPKS1_PKPS1_EviT_T9_T10_S9_lSB_S9_lSA_T11_S9_li
                                        ; -- End function
	.set _ZL29rocblas_internal_gemmt_kernelIiLi16ELi32ELi8ELc78ELc78ELc76ELb0ELb0E19rocblas_complex_numIfES1_PKPKS1_PKPS1_EviT_T9_T10_S9_lSB_S9_lSA_T11_S9_li.num_vgpr, 59
	.set _ZL29rocblas_internal_gemmt_kernelIiLi16ELi32ELi8ELc78ELc78ELc76ELb0ELb0E19rocblas_complex_numIfES1_PKPKS1_PKPS1_EviT_T9_T10_S9_lSB_S9_lSA_T11_S9_li.num_agpr, 0
	.set _ZL29rocblas_internal_gemmt_kernelIiLi16ELi32ELi8ELc78ELc78ELc76ELb0ELb0E19rocblas_complex_numIfES1_PKPKS1_PKPS1_EviT_T9_T10_S9_lSB_S9_lSA_T11_S9_li.numbered_sgpr, 27
	.set _ZL29rocblas_internal_gemmt_kernelIiLi16ELi32ELi8ELc78ELc78ELc76ELb0ELb0E19rocblas_complex_numIfES1_PKPKS1_PKPS1_EviT_T9_T10_S9_lSB_S9_lSA_T11_S9_li.num_named_barrier, 0
	.set _ZL29rocblas_internal_gemmt_kernelIiLi16ELi32ELi8ELc78ELc78ELc76ELb0ELb0E19rocblas_complex_numIfES1_PKPKS1_PKPS1_EviT_T9_T10_S9_lSB_S9_lSA_T11_S9_li.private_seg_size, 0
	.set _ZL29rocblas_internal_gemmt_kernelIiLi16ELi32ELi8ELc78ELc78ELc76ELb0ELb0E19rocblas_complex_numIfES1_PKPKS1_PKPS1_EviT_T9_T10_S9_lSB_S9_lSA_T11_S9_li.uses_vcc, 1
	.set _ZL29rocblas_internal_gemmt_kernelIiLi16ELi32ELi8ELc78ELc78ELc76ELb0ELb0E19rocblas_complex_numIfES1_PKPKS1_PKPS1_EviT_T9_T10_S9_lSB_S9_lSA_T11_S9_li.uses_flat_scratch, 0
	.set _ZL29rocblas_internal_gemmt_kernelIiLi16ELi32ELi8ELc78ELc78ELc76ELb0ELb0E19rocblas_complex_numIfES1_PKPKS1_PKPS1_EviT_T9_T10_S9_lSB_S9_lSA_T11_S9_li.has_dyn_sized_stack, 0
	.set _ZL29rocblas_internal_gemmt_kernelIiLi16ELi32ELi8ELc78ELc78ELc76ELb0ELb0E19rocblas_complex_numIfES1_PKPKS1_PKPS1_EviT_T9_T10_S9_lSB_S9_lSA_T11_S9_li.has_recursion, 0
	.set _ZL29rocblas_internal_gemmt_kernelIiLi16ELi32ELi8ELc78ELc78ELc76ELb0ELb0E19rocblas_complex_numIfES1_PKPKS1_PKPS1_EviT_T9_T10_S9_lSB_S9_lSA_T11_S9_li.has_indirect_call, 0
	.section	.AMDGPU.csdata,"",@progbits
; Kernel info:
; codeLenInByte = 2520
; TotalNumSgprs: 29
; NumVgprs: 59
; ScratchSize: 0
; MemoryBound: 1
; FloatMode: 240
; IeeeMode: 1
; LDSByteSize: 4096 bytes/workgroup (compile time only)
; SGPRBlocks: 0
; VGPRBlocks: 7
; NumSGPRsForWavesPerEU: 29
; NumVGPRsForWavesPerEU: 59
; Occupancy: 16
; WaveLimiterHint : 1
; COMPUTE_PGM_RSRC2:SCRATCH_EN: 0
; COMPUTE_PGM_RSRC2:USER_SGPR: 6
; COMPUTE_PGM_RSRC2:TRAP_HANDLER: 0
; COMPUTE_PGM_RSRC2:TGID_X_EN: 1
; COMPUTE_PGM_RSRC2:TGID_Y_EN: 1
; COMPUTE_PGM_RSRC2:TGID_Z_EN: 1
; COMPUTE_PGM_RSRC2:TIDIG_COMP_CNT: 1
	.section	.text._ZL29rocblas_internal_gemmt_kernelIiLi16ELi32ELi8ELc78ELc84ELc76ELb0ELb0E19rocblas_complex_numIfES1_PKPKS1_PKPS1_EviT_T9_T10_S9_lSB_S9_lSA_T11_S9_li,"axG",@progbits,_ZL29rocblas_internal_gemmt_kernelIiLi16ELi32ELi8ELc78ELc84ELc76ELb0ELb0E19rocblas_complex_numIfES1_PKPKS1_PKPS1_EviT_T9_T10_S9_lSB_S9_lSA_T11_S9_li,comdat
	.globl	_ZL29rocblas_internal_gemmt_kernelIiLi16ELi32ELi8ELc78ELc84ELc76ELb0ELb0E19rocblas_complex_numIfES1_PKPKS1_PKPS1_EviT_T9_T10_S9_lSB_S9_lSA_T11_S9_li ; -- Begin function _ZL29rocblas_internal_gemmt_kernelIiLi16ELi32ELi8ELc78ELc84ELc76ELb0ELb0E19rocblas_complex_numIfES1_PKPKS1_PKPS1_EviT_T9_T10_S9_lSB_S9_lSA_T11_S9_li
	.p2align	8
	.type	_ZL29rocblas_internal_gemmt_kernelIiLi16ELi32ELi8ELc78ELc84ELc76ELb0ELb0E19rocblas_complex_numIfES1_PKPKS1_PKPS1_EviT_T9_T10_S9_lSB_S9_lSA_T11_S9_li,@function
_ZL29rocblas_internal_gemmt_kernelIiLi16ELi32ELi8ELc78ELc84ELc76ELb0ELb0E19rocblas_complex_numIfES1_PKPKS1_PKPS1_EviT_T9_T10_S9_lSB_S9_lSA_T11_S9_li: ; @_ZL29rocblas_internal_gemmt_kernelIiLi16ELi32ELi8ELc78ELc84ELc76ELb0ELb0E19rocblas_complex_numIfES1_PKPKS1_PKPS1_EviT_T9_T10_S9_lSB_S9_lSA_T11_S9_li
; %bb.0:
	s_clause 0x1
	s_load_dwordx2 s[10:11], s[4:5], 0x40
	s_load_dwordx4 s[12:15], s[4:5], 0x0
	s_waitcnt lgkmcnt(0)
	s_and_b32 s0, s11, 0x7fffffff
	v_cmp_eq_f32_e64 s1, s10, 1.0
	s_cmp_eq_u32 s0, 0
	s_mov_b32 s0, 0
	s_cselect_b32 s22, -1, 0
	s_and_b32 s1, s1, s22
	s_andn2_b32 vcc_lo, exec_lo, s1
	s_mov_b32 s1, -1
	s_cbranch_vccnz .LBB388_4
; %bb.1:
	s_cmp_lg_u32 s13, 0
	s_cbranch_scc0 .LBB388_3
; %bb.2:
	v_cmp_neq_f32_e64 s0, s14, 0
	v_cmp_neq_f32_e64 s1, s15, 0
	s_or_b32 s0, s0, s1
.LBB388_3:
	s_mov_b32 s1, s0
.LBB388_4:
	s_and_b32 vcc_lo, exec_lo, s1
	s_cbranch_vccz .LBB388_32
; %bb.5:
	s_load_dwordx2 s[2:3], s[4:5], 0x48
	s_mov_b32 s9, 0
	v_cmp_eq_f32_e64 s16, s14, 0
	s_lshl_b64 s[0:1], s[8:9], 3
	v_cmp_eq_f32_e64 s17, s15, 0
	v_mov_b32_e32 v20, 0
	v_mov_b32_e32 v21, 0
	;; [unrolled: 1-line block ×8, first 2 shown]
	s_waitcnt lgkmcnt(0)
	s_add_u32 s2, s2, s0
	s_addc_u32 s3, s3, s1
	s_lshl_b32 s8, s6, 5
	s_load_dwordx2 s[2:3], s[2:3], 0x0
	s_lshl_b32 s23, s7, 5
	s_and_b32 s6, s16, s17
	s_cmp_lt_i32 s13, 1
	s_cselect_b32 s7, -1, 0
	s_or_b32 s6, s6, s7
	s_and_b32 vcc_lo, exec_lo, s6
	s_cbranch_vccnz .LBB388_16
; %bb.6:
	s_clause 0x3
	s_load_dword s6, s[4:5], 0x18
	s_load_dword s20, s[4:5], 0x30
	s_load_dwordx4 s[16:19], s[4:5], 0x20
	s_load_dwordx2 s[24:25], s[4:5], 0x10
	v_lshl_add_u32 v2, v1, 4, v0
	v_and_b32_e32 v8, 7, v0
	s_load_dwordx2 s[26:27], s[4:5], 0x38
	v_lshlrev_b32_e32 v12, 3, v0
	v_lshl_add_u32 v13, v1, 6, 0x800
	v_and_b32_e32 v3, 31, v2
	v_lshrrev_b32_e32 v9, 5, v2
	v_lshrrev_b32_e32 v4, 3, v2
	v_lshlrev_b32_e32 v5, 3, v8
	v_mov_b32_e32 v19, 0
	v_or_b32_e32 v6, s8, v3
	v_lshlrev_b32_e32 v7, 3, v3
	v_add_nc_u32_e32 v2, s23, v4
	v_lshl_or_b32 v11, v4, 6, v5
	v_mov_b32_e32 v18, 0
	v_cmp_gt_i32_e32 vcc_lo, s12, v6
	v_add_nc_u32_e32 v6, s8, v3
	s_waitcnt lgkmcnt(0)
	v_mad_i64_i32 v[4:5], null, v9, s6, 0
	s_ashr_i32 s7, s6, 31
	s_ashr_i32 s21, s20, 31
	s_add_u32 s18, s18, s0
	s_addc_u32 s19, s19, s1
	s_add_u32 s0, s24, s0
	s_addc_u32 s1, s25, s1
	s_load_dwordx2 s[18:19], s[18:19], 0x0
	s_load_dwordx2 s[24:25], s[0:1], 0x0
	v_lshlrev_b64 v[4:5], 3, v[4:5]
	v_mad_i64_i32 v[14:15], null, s20, v8, 0
	v_lshl_or_b32 v10, v9, 8, v7
	v_ashrrev_i32_e32 v7, 31, v6
	s_lshl_b64 s[16:17], s[16:17], 3
	v_ashrrev_i32_e32 v3, 31, v2
	v_add_co_u32 v16, s1, v4, s16
	v_lshlrev_b64 v[6:7], 3, v[6:7]
	v_add_co_ci_u32_e64 v17, null, s17, v5, s1
	v_lshlrev_b64 v[4:5], 3, v[14:15]
	s_lshl_b64 s[16:17], s[26:27], 3
	v_cmp_gt_i32_e64 s0, s12, v2
	v_add_co_u32 v6, s1, v16, v6
	v_add_co_ci_u32_e64 v7, null, v17, v7, s1
	v_add_co_u32 v14, s1, v4, s16
	v_add_co_ci_u32_e64 v15, null, s17, v5, s1
	v_lshlrev_b64 v[4:5], 3, v[2:3]
	s_waitcnt lgkmcnt(0)
	v_add_co_u32 v2, s1, s24, v6
	v_add_co_ci_u32_e64 v3, null, s25, v7, s1
	v_add_nc_u32_e32 v11, 0x800, v11
	v_add_co_u32 v4, s1, v14, v4
	v_add_co_ci_u32_e64 v5, null, v15, v5, s1
	v_mov_b32_e32 v6, 0
	v_add_co_u32 v4, s1, s18, v4
	v_add_co_ci_u32_e64 v5, null, s19, v5, s1
	v_mov_b32_e32 v15, 0
	v_mov_b32_e32 v14, 0
	;; [unrolled: 1-line block ×6, first 2 shown]
	s_lshl_b64 s[6:7], s[6:7], 6
	s_lshl_b64 s[16:17], s[20:21], 6
	s_xor_b32 s1, vcc_lo, -1
	s_xor_b32 s0, s0, -1
	s_branch .LBB388_8
.LBB388_7:                              ;   in Loop: Header=BB388_8 Depth=1
	s_or_b32 exec_lo, exec_lo, s18
	s_waitcnt lgkmcnt(0)
	s_barrier
	buffer_gl0_inv
	ds_read_b128 v[22:25], v13
	ds_read2_b64 v[26:29], v12 offset1:16
	ds_read_b128 v[30:33], v13 offset:1024
	ds_read_b128 v[34:37], v13 offset:16
	ds_read_b128 v[38:41], v13 offset:32
	ds_read_b128 v[42:45], v13 offset:48
	ds_read2_b64 v[46:49], v12 offset0:32 offset1:48
	ds_read_b128 v[50:53], v13 offset:1040
	v_add_co_u32 v2, vcc_lo, v2, s6
	v_add_co_ci_u32_e64 v3, null, s7, v3, vcc_lo
	v_add_co_u32 v4, vcc_lo, v4, s16
	v_add_co_ci_u32_e64 v5, null, s17, v5, vcc_lo
	s_add_i32 s9, s9, 8
	s_cmp_lt_i32 s9, s13
	s_waitcnt lgkmcnt(6)
	v_mul_f32_e32 v7, v23, v27
	v_mul_f32_e32 v54, v22, v27
	;; [unrolled: 1-line block ×4, first 2 shown]
	s_waitcnt lgkmcnt(5)
	v_mul_f32_e32 v57, v31, v27
	v_mul_f32_e32 v27, v30, v27
	;; [unrolled: 1-line block ×3, first 2 shown]
	v_fma_f32 v7, v22, v26, -v7
	v_fmac_f32_e32 v54, v23, v26
	v_fma_f32 v22, v22, v28, -v55
	v_fmac_f32_e32 v56, v23, v28
	;; [unrolled: 2-line block ×3, first 2 shown]
	v_mul_f32_e32 v29, v30, v29
	v_fma_f32 v26, v30, v28, -v58
	v_add_f32_e32 v7, v20, v7
	v_add_f32_e32 v20, v21, v54
	v_add_f32_e32 v21, v18, v22
	v_add_f32_e32 v22, v19, v56
	v_add_f32_e32 v23, v16, v23
	v_add_f32_e32 v27, v17, v27
	s_waitcnt lgkmcnt(1)
	v_mul_f32_e32 v30, v25, v47
	ds_read2_b64 v[16:19], v12 offset0:64 offset1:80
	v_fmac_f32_e32 v29, v31, v28
	v_add_f32_e32 v14, v14, v26
	v_mul_f32_e32 v26, v24, v47
	v_fma_f32 v28, v24, v46, -v30
	v_mul_f32_e32 v30, v25, v49
	v_add_f32_e32 v15, v15, v29
	v_mul_f32_e32 v29, v24, v49
	v_fmac_f32_e32 v26, v25, v46
	v_add_f32_e32 v7, v7, v28
	v_fma_f32 v24, v24, v48, -v30
	v_mul_f32_e32 v28, v33, v47
	v_fmac_f32_e32 v29, v25, v48
	v_add_f32_e32 v26, v20, v26
	v_mul_f32_e32 v20, v32, v47
	v_add_f32_e32 v24, v21, v24
	v_fma_f32 v21, v32, v46, -v28
	v_mul_f32_e32 v25, v33, v49
	v_add_f32_e32 v28, v22, v29
	v_fmac_f32_e32 v20, v33, v46
	v_mul_f32_e32 v29, v32, v49
	v_add_f32_e32 v30, v23, v21
	v_fma_f32 v21, v32, v48, -v25
	s_waitcnt lgkmcnt(0)
	v_mul_f32_e32 v22, v35, v17
	v_add_f32_e32 v25, v27, v20
	v_fmac_f32_e32 v29, v33, v48
	v_mul_f32_e32 v27, v34, v17
	v_add_f32_e32 v14, v14, v21
	v_fma_f32 v31, v34, v16, -v22
	v_mul_f32_e32 v32, v35, v19
	ds_read2_b64 v[20:23], v12 offset0:96 offset1:112
	v_fmac_f32_e32 v27, v35, v16
	v_add_f32_e32 v29, v15, v29
	v_add_f32_e32 v7, v7, v31
	v_mul_f32_e32 v15, v34, v19
	v_fma_f32 v31, v34, v18, -v32
	v_add_f32_e32 v26, v26, v27
	v_mul_f32_e32 v27, v51, v17
	v_mul_f32_e32 v17, v50, v17
	v_fmac_f32_e32 v15, v35, v18
	v_add_f32_e32 v24, v24, v31
	v_mul_f32_e32 v31, v51, v19
	v_mul_f32_e32 v19, v50, v19
	v_fmac_f32_e32 v17, v51, v16
	v_add_f32_e32 v28, v28, v15
	v_fma_f32 v27, v50, v16, -v27
	v_fma_f32 v15, v50, v18, -v31
	v_fmac_f32_e32 v19, v51, v18
	v_add_f32_e32 v31, v25, v17
	s_waitcnt lgkmcnt(0)
	v_mul_f32_e32 v18, v37, v21
	v_add_f32_e32 v32, v14, v15
	ds_read2_b64 v[14:17], v12 offset0:128 offset1:144
	v_add_f32_e32 v30, v30, v27
	v_mul_f32_e32 v25, v36, v21
	v_fma_f32 v18, v36, v20, -v18
	v_mul_f32_e32 v27, v37, v23
	v_add_f32_e32 v29, v29, v19
	v_mul_f32_e32 v19, v36, v23
	v_fmac_f32_e32 v25, v37, v20
	v_add_f32_e32 v7, v7, v18
	v_mul_f32_e32 v18, v53, v21
	v_fma_f32 v27, v36, v22, -v27
	v_fmac_f32_e32 v19, v37, v22
	v_mul_f32_e32 v21, v52, v21
	v_mul_f32_e32 v35, v53, v23
	v_fma_f32 v18, v52, v20, -v18
	v_add_f32_e32 v33, v26, v25
	v_add_f32_e32 v34, v24, v27
	ds_read_b128 v[24:27], v13 offset:1056
	v_add_f32_e32 v36, v28, v19
	v_fmac_f32_e32 v21, v53, v20
	v_mul_f32_e32 v23, v52, v23
	v_fma_f32 v19, v52, v22, -v35
	v_add_f32_e32 v35, v30, v18
	s_waitcnt lgkmcnt(1)
	v_mul_f32_e32 v18, v39, v15
	v_add_f32_e32 v37, v31, v21
	v_fmac_f32_e32 v23, v53, v22
	v_add_f32_e32 v22, v32, v19
	v_mul_f32_e32 v32, v38, v15
	v_fma_f32 v28, v38, v14, -v18
	ds_read2_b64 v[18:21], v12 offset0:160 offset1:176
	v_mul_f32_e32 v30, v39, v17
	v_mul_f32_e32 v46, v38, v17
	v_fmac_f32_e32 v32, v39, v14
	v_add_f32_e32 v23, v29, v23
	v_add_f32_e32 v7, v7, v28
	v_fma_f32 v38, v38, v16, -v30
	ds_read_b128 v[28:31], v13 offset:1072
	s_waitcnt lgkmcnt(2)
	v_mul_f32_e32 v47, v25, v15
	v_add_f32_e32 v32, v33, v32
	v_mul_f32_e32 v15, v24, v15
	v_add_f32_e32 v33, v34, v38
	v_mul_f32_e32 v38, v25, v17
	v_fmac_f32_e32 v46, v39, v16
	v_fma_f32 v34, v24, v14, -v47
	v_fmac_f32_e32 v15, v25, v14
	v_mul_f32_e32 v39, v24, v17
	v_fma_f32 v14, v24, v16, -v38
	v_add_f32_e32 v36, v36, v46
	v_add_f32_e32 v34, v35, v34
	s_waitcnt lgkmcnt(1)
	v_mul_f32_e32 v17, v41, v19
	v_add_f32_e32 v24, v37, v15
	v_fmac_f32_e32 v39, v25, v16
	v_mul_f32_e32 v25, v40, v19
	v_add_f32_e32 v22, v22, v14
	v_fma_f32 v35, v40, v18, -v17
	ds_read2_b64 v[14:17], v12 offset0:192 offset1:208
	v_mul_f32_e32 v37, v41, v21
	v_fmac_f32_e32 v25, v41, v18
	v_add_f32_e32 v38, v23, v39
	v_add_f32_e32 v7, v7, v35
	v_mul_f32_e32 v23, v40, v21
	v_fma_f32 v35, v40, v20, -v37
	v_add_f32_e32 v32, v32, v25
	v_mul_f32_e32 v25, v27, v19
	v_mul_f32_e32 v19, v26, v19
	v_fmac_f32_e32 v23, v41, v20
	v_add_f32_e32 v33, v33, v35
	v_mul_f32_e32 v35, v27, v21
	v_fma_f32 v25, v26, v18, -v25
	v_fmac_f32_e32 v19, v27, v18
	v_add_f32_e32 v18, v36, v23
	v_mul_f32_e32 v21, v26, v21
	v_fma_f32 v23, v26, v20, -v35
	v_add_f32_e32 v26, v34, v25
	v_add_f32_e32 v19, v24, v19
	s_waitcnt lgkmcnt(0)
	v_mul_f32_e32 v34, v43, v15
	v_fmac_f32_e32 v21, v27, v20
	v_add_f32_e32 v20, v22, v23
	ds_read2_b64 v[22:25], v12 offset0:224 offset1:240
	v_mul_f32_e32 v27, v42, v15
	v_fma_f32 v34, v42, v14, -v34
	v_mul_f32_e32 v35, v43, v17
	v_mul_f32_e32 v36, v42, v17
	v_add_f32_e32 v21, v38, v21
	v_fmac_f32_e32 v27, v43, v14
	v_add_f32_e32 v7, v7, v34
	v_mul_f32_e32 v34, v29, v15
	v_fma_f32 v35, v42, v16, -v35
	v_fmac_f32_e32 v36, v43, v16
	v_add_f32_e32 v27, v32, v27
	v_mul_f32_e32 v15, v28, v15
	v_fma_f32 v32, v28, v14, -v34
	v_mul_f32_e32 v34, v29, v17
	v_add_f32_e32 v33, v33, v35
	v_add_f32_e32 v35, v18, v36
	v_fmac_f32_e32 v15, v29, v14
	v_add_f32_e32 v14, v26, v32
	v_mul_f32_e32 v17, v28, v17
	v_fma_f32 v18, v28, v16, -v34
	s_waitcnt lgkmcnt(0)
	v_mul_f32_e32 v26, v45, v23
	v_mul_f32_e32 v28, v44, v23
	v_add_f32_e32 v15, v19, v15
	v_fmac_f32_e32 v17, v29, v16
	v_add_f32_e32 v29, v20, v18
	v_fma_f32 v16, v44, v22, -v26
	v_mul_f32_e32 v18, v45, v25
	v_mul_f32_e32 v19, v44, v25
	v_add_f32_e32 v26, v21, v17
	v_mul_f32_e32 v17, v30, v23
	v_add_f32_e32 v20, v7, v16
	v_fma_f32 v7, v44, v24, -v18
	v_mul_f32_e32 v16, v31, v23
	v_mul_f32_e32 v23, v31, v25
	;; [unrolled: 1-line block ×3, first 2 shown]
	v_fmac_f32_e32 v28, v45, v22
	v_fmac_f32_e32 v19, v45, v24
	v_add_f32_e32 v18, v33, v7
	v_fma_f32 v7, v30, v22, -v16
	v_fmac_f32_e32 v17, v31, v22
	v_fma_f32 v22, v30, v24, -v23
	v_fmac_f32_e32 v25, v31, v24
	v_add_f32_e32 v21, v27, v28
	v_add_f32_e32 v19, v35, v19
	;; [unrolled: 1-line block ×6, first 2 shown]
	s_barrier
	buffer_gl0_inv
	s_cbranch_scc0 .LBB388_16
.LBB388_8:                              ; =>This Inner Loop Header: Depth=1
	v_add_nc_u32_e32 v7, s9, v9
	v_cmp_le_i32_e32 vcc_lo, s13, v7
	s_or_b32 s18, s1, vcc_lo
	s_and_saveexec_b32 s19, s18
	s_xor_b32 s18, exec_lo, s19
; %bb.9:                                ;   in Loop: Header=BB388_8 Depth=1
	v_mov_b32_e32 v7, v6
	ds_write_b64 v10, v[6:7]
; %bb.10:                               ;   in Loop: Header=BB388_8 Depth=1
	s_andn2_saveexec_b32 s18, s18
	s_cbranch_execz .LBB388_12
; %bb.11:                               ;   in Loop: Header=BB388_8 Depth=1
	flat_load_dwordx2 v[22:23], v[2:3]
	s_waitcnt vmcnt(0) lgkmcnt(0)
	ds_write_b64 v10, v[22:23]
.LBB388_12:                             ;   in Loop: Header=BB388_8 Depth=1
	s_or_b32 exec_lo, exec_lo, s18
	v_add_nc_u32_e32 v7, s9, v8
	v_cmp_le_i32_e32 vcc_lo, s13, v7
	s_or_b32 s18, vcc_lo, s0
	s_and_saveexec_b32 s19, s18
	s_xor_b32 s18, exec_lo, s19
; %bb.13:                               ;   in Loop: Header=BB388_8 Depth=1
	v_mov_b32_e32 v7, v6
	ds_write_b64 v11, v[6:7]
; %bb.14:                               ;   in Loop: Header=BB388_8 Depth=1
	s_andn2_saveexec_b32 s18, s18
	s_cbranch_execz .LBB388_7
; %bb.15:                               ;   in Loop: Header=BB388_8 Depth=1
	flat_load_dwordx2 v[22:23], v[4:5]
	s_waitcnt vmcnt(0) lgkmcnt(0)
	ds_write_b64 v11, v[22:23]
	s_branch .LBB388_7
.LBB388_16:
	s_clause 0x1
	s_load_dword s6, s[4:5], 0x50
	s_load_dwordx2 s[4:5], s[4:5], 0x58
	v_add_nc_u32_e32 v9, s23, v1
	v_add_nc_u32_e32 v0, s8, v0
	v_cmp_neq_f32_e64 s7, s10, 0
	v_cmp_le_i32_e32 vcc_lo, v9, v0
	v_cmp_gt_i32_e64 s0, s12, v0
	s_waitcnt lgkmcnt(0)
	v_mad_i64_i32 v[1:2], null, v9, s6, 0
	s_lshl_b64 s[4:5], s[4:5], 3
	s_add_u32 s4, s2, s4
	s_addc_u32 s3, s3, s5
	s_xor_b32 s2, s22, -1
	s_and_b32 s5, vcc_lo, s0
	v_lshlrev_b64 v[2:3], 3, v[1:2]
	s_or_b32 s2, s7, s2
	v_ashrrev_i32_e32 v1, 31, v0
	v_cndmask_b32_e64 v8, 0, 1, s2
	v_add_co_u32 v6, s1, s4, v2
	v_add_co_ci_u32_e64 v7, null, s3, v3, s1
	s_and_saveexec_b32 s1, s5
	s_cbranch_execz .LBB388_20
; %bb.17:
	v_lshlrev_b64 v[4:5], 3, v[0:1]
	v_mul_f32_e32 v2, s15, v21
	v_mul_f32_e32 v3, s14, v21
	v_fma_f32 v2, v20, s14, -v2
	v_add_co_u32 v4, vcc_lo, v6, v4
	v_fmac_f32_e32 v3, s15, v20
	v_add_co_ci_u32_e64 v5, null, v7, v5, vcc_lo
	s_andn2_b32 vcc_lo, exec_lo, s2
	s_cbranch_vccnz .LBB388_19
; %bb.18:
	flat_load_dwordx2 v[10:11], v[4:5]
	s_waitcnt vmcnt(0) lgkmcnt(0)
	v_mul_f32_e32 v12, s11, v11
	v_mul_f32_e32 v11, s10, v11
	v_fma_f32 v12, v10, s10, -v12
	v_fmac_f32_e32 v11, s11, v10
	v_add_f32_e32 v2, v2, v12
	v_add_f32_e32 v3, v3, v11
.LBB388_19:
	flat_store_dwordx2 v[4:5], v[2:3]
.LBB388_20:
	s_or_b32 exec_lo, exec_lo, s1
	v_add_nc_u32_e32 v2, 16, v0
	v_cmp_le_i32_e32 vcc_lo, v9, v2
	v_cmp_gt_i32_e64 s1, s12, v2
	v_ashrrev_i32_e32 v3, 31, v2
	s_and_b32 s2, vcc_lo, s1
	s_and_saveexec_b32 s5, s2
	s_cbranch_execz .LBB388_24
; %bb.21:
	v_lshlrev_b64 v[10:11], 3, v[2:3]
	v_mul_f32_e32 v4, s15, v19
	v_mul_f32_e32 v5, s14, v19
	v_cmp_ne_u32_e32 vcc_lo, 1, v8
	v_fma_f32 v4, v18, s14, -v4
	v_add_co_u32 v6, s2, v6, v10
	v_fmac_f32_e32 v5, s15, v18
	v_add_co_ci_u32_e64 v7, null, v7, v11, s2
	s_cbranch_vccnz .LBB388_23
; %bb.22:
	flat_load_dwordx2 v[10:11], v[6:7]
	s_waitcnt vmcnt(0) lgkmcnt(0)
	v_mul_f32_e32 v12, s11, v11
	v_mul_f32_e32 v11, s10, v11
	v_fma_f32 v12, v10, s10, -v12
	v_fmac_f32_e32 v11, s11, v10
	v_add_f32_e32 v4, v4, v12
	v_add_f32_e32 v5, v5, v11
.LBB388_23:
	flat_store_dwordx2 v[6:7], v[4:5]
.LBB388_24:
	s_or_b32 exec_lo, exec_lo, s5
	v_add_nc_u32_e32 v9, 16, v9
	v_mad_i64_i32 v[4:5], null, v9, s6, 0
	v_cmp_le_i32_e32 vcc_lo, v9, v0
	s_and_b32 s0, vcc_lo, s0
	v_lshlrev_b64 v[4:5], 3, v[4:5]
	v_add_co_u32 v6, s2, s4, v4
	v_add_co_ci_u32_e64 v7, null, s3, v5, s2
	s_and_saveexec_b32 s2, s0
	s_cbranch_execz .LBB388_28
; %bb.25:
	v_lshlrev_b64 v[0:1], 3, v[0:1]
	v_mul_f32_e32 v4, s15, v17
	v_mul_f32_e32 v5, s14, v17
	v_cmp_ne_u32_e32 vcc_lo, 1, v8
	v_fma_f32 v4, v16, s14, -v4
	v_add_co_u32 v0, s0, v6, v0
	v_fmac_f32_e32 v5, s15, v16
	v_add_co_ci_u32_e64 v1, null, v7, v1, s0
	s_cbranch_vccnz .LBB388_27
; %bb.26:
	flat_load_dwordx2 v[10:11], v[0:1]
	s_waitcnt vmcnt(0) lgkmcnt(0)
	v_mul_f32_e32 v12, s11, v11
	v_mul_f32_e32 v11, s10, v11
	v_fma_f32 v12, v10, s10, -v12
	v_fmac_f32_e32 v11, s11, v10
	v_add_f32_e32 v4, v4, v12
	v_add_f32_e32 v5, v5, v11
.LBB388_27:
	flat_store_dwordx2 v[0:1], v[4:5]
.LBB388_28:
	s_or_b32 exec_lo, exec_lo, s2
	v_cmp_le_i32_e32 vcc_lo, v9, v2
	s_and_b32 s0, vcc_lo, s1
	s_and_saveexec_b32 s1, s0
	s_cbranch_execz .LBB388_32
; %bb.29:
	v_lshlrev_b64 v[2:3], 3, v[2:3]
	v_mul_f32_e32 v0, s15, v15
	v_mul_f32_e32 v1, s14, v15
	v_cmp_ne_u32_e32 vcc_lo, 1, v8
	v_fma_f32 v0, v14, s14, -v0
	v_add_co_u32 v2, s0, v6, v2
	v_fmac_f32_e32 v1, s15, v14
	v_add_co_ci_u32_e64 v3, null, v7, v3, s0
	s_cbranch_vccnz .LBB388_31
; %bb.30:
	flat_load_dwordx2 v[4:5], v[2:3]
	s_waitcnt vmcnt(0) lgkmcnt(0)
	v_mul_f32_e32 v6, s11, v5
	v_mul_f32_e32 v5, s10, v5
	v_fma_f32 v6, v4, s10, -v6
	v_fmac_f32_e32 v5, s11, v4
	v_add_f32_e32 v0, v0, v6
	v_add_f32_e32 v1, v1, v5
.LBB388_31:
	flat_store_dwordx2 v[2:3], v[0:1]
.LBB388_32:
	s_endpgm
	.section	.rodata,"a",@progbits
	.p2align	6, 0x0
	.amdhsa_kernel _ZL29rocblas_internal_gemmt_kernelIiLi16ELi32ELi8ELc78ELc84ELc76ELb0ELb0E19rocblas_complex_numIfES1_PKPKS1_PKPS1_EviT_T9_T10_S9_lSB_S9_lSA_T11_S9_li
		.amdhsa_group_segment_fixed_size 4096
		.amdhsa_private_segment_fixed_size 0
		.amdhsa_kernarg_size 100
		.amdhsa_user_sgpr_count 6
		.amdhsa_user_sgpr_private_segment_buffer 1
		.amdhsa_user_sgpr_dispatch_ptr 0
		.amdhsa_user_sgpr_queue_ptr 0
		.amdhsa_user_sgpr_kernarg_segment_ptr 1
		.amdhsa_user_sgpr_dispatch_id 0
		.amdhsa_user_sgpr_flat_scratch_init 0
		.amdhsa_user_sgpr_private_segment_size 0
		.amdhsa_wavefront_size32 1
		.amdhsa_uses_dynamic_stack 0
		.amdhsa_system_sgpr_private_segment_wavefront_offset 0
		.amdhsa_system_sgpr_workgroup_id_x 1
		.amdhsa_system_sgpr_workgroup_id_y 1
		.amdhsa_system_sgpr_workgroup_id_z 1
		.amdhsa_system_sgpr_workgroup_info 0
		.amdhsa_system_vgpr_workitem_id 1
		.amdhsa_next_free_vgpr 59
		.amdhsa_next_free_sgpr 28
		.amdhsa_reserve_vcc 1
		.amdhsa_reserve_flat_scratch 0
		.amdhsa_float_round_mode_32 0
		.amdhsa_float_round_mode_16_64 0
		.amdhsa_float_denorm_mode_32 3
		.amdhsa_float_denorm_mode_16_64 3
		.amdhsa_dx10_clamp 1
		.amdhsa_ieee_mode 1
		.amdhsa_fp16_overflow 0
		.amdhsa_workgroup_processor_mode 1
		.amdhsa_memory_ordered 1
		.amdhsa_forward_progress 1
		.amdhsa_shared_vgpr_count 0
		.amdhsa_exception_fp_ieee_invalid_op 0
		.amdhsa_exception_fp_denorm_src 0
		.amdhsa_exception_fp_ieee_div_zero 0
		.amdhsa_exception_fp_ieee_overflow 0
		.amdhsa_exception_fp_ieee_underflow 0
		.amdhsa_exception_fp_ieee_inexact 0
		.amdhsa_exception_int_div_zero 0
	.end_amdhsa_kernel
	.section	.text._ZL29rocblas_internal_gemmt_kernelIiLi16ELi32ELi8ELc78ELc84ELc76ELb0ELb0E19rocblas_complex_numIfES1_PKPKS1_PKPS1_EviT_T9_T10_S9_lSB_S9_lSA_T11_S9_li,"axG",@progbits,_ZL29rocblas_internal_gemmt_kernelIiLi16ELi32ELi8ELc78ELc84ELc76ELb0ELb0E19rocblas_complex_numIfES1_PKPKS1_PKPS1_EviT_T9_T10_S9_lSB_S9_lSA_T11_S9_li,comdat
.Lfunc_end388:
	.size	_ZL29rocblas_internal_gemmt_kernelIiLi16ELi32ELi8ELc78ELc84ELc76ELb0ELb0E19rocblas_complex_numIfES1_PKPKS1_PKPS1_EviT_T9_T10_S9_lSB_S9_lSA_T11_S9_li, .Lfunc_end388-_ZL29rocblas_internal_gemmt_kernelIiLi16ELi32ELi8ELc78ELc84ELc76ELb0ELb0E19rocblas_complex_numIfES1_PKPKS1_PKPS1_EviT_T9_T10_S9_lSB_S9_lSA_T11_S9_li
                                        ; -- End function
	.set _ZL29rocblas_internal_gemmt_kernelIiLi16ELi32ELi8ELc78ELc84ELc76ELb0ELb0E19rocblas_complex_numIfES1_PKPKS1_PKPS1_EviT_T9_T10_S9_lSB_S9_lSA_T11_S9_li.num_vgpr, 59
	.set _ZL29rocblas_internal_gemmt_kernelIiLi16ELi32ELi8ELc78ELc84ELc76ELb0ELb0E19rocblas_complex_numIfES1_PKPKS1_PKPS1_EviT_T9_T10_S9_lSB_S9_lSA_T11_S9_li.num_agpr, 0
	.set _ZL29rocblas_internal_gemmt_kernelIiLi16ELi32ELi8ELc78ELc84ELc76ELb0ELb0E19rocblas_complex_numIfES1_PKPKS1_PKPS1_EviT_T9_T10_S9_lSB_S9_lSA_T11_S9_li.numbered_sgpr, 28
	.set _ZL29rocblas_internal_gemmt_kernelIiLi16ELi32ELi8ELc78ELc84ELc76ELb0ELb0E19rocblas_complex_numIfES1_PKPKS1_PKPS1_EviT_T9_T10_S9_lSB_S9_lSA_T11_S9_li.num_named_barrier, 0
	.set _ZL29rocblas_internal_gemmt_kernelIiLi16ELi32ELi8ELc78ELc84ELc76ELb0ELb0E19rocblas_complex_numIfES1_PKPKS1_PKPS1_EviT_T9_T10_S9_lSB_S9_lSA_T11_S9_li.private_seg_size, 0
	.set _ZL29rocblas_internal_gemmt_kernelIiLi16ELi32ELi8ELc78ELc84ELc76ELb0ELb0E19rocblas_complex_numIfES1_PKPKS1_PKPS1_EviT_T9_T10_S9_lSB_S9_lSA_T11_S9_li.uses_vcc, 1
	.set _ZL29rocblas_internal_gemmt_kernelIiLi16ELi32ELi8ELc78ELc84ELc76ELb0ELb0E19rocblas_complex_numIfES1_PKPKS1_PKPS1_EviT_T9_T10_S9_lSB_S9_lSA_T11_S9_li.uses_flat_scratch, 0
	.set _ZL29rocblas_internal_gemmt_kernelIiLi16ELi32ELi8ELc78ELc84ELc76ELb0ELb0E19rocblas_complex_numIfES1_PKPKS1_PKPS1_EviT_T9_T10_S9_lSB_S9_lSA_T11_S9_li.has_dyn_sized_stack, 0
	.set _ZL29rocblas_internal_gemmt_kernelIiLi16ELi32ELi8ELc78ELc84ELc76ELb0ELb0E19rocblas_complex_numIfES1_PKPKS1_PKPS1_EviT_T9_T10_S9_lSB_S9_lSA_T11_S9_li.has_recursion, 0
	.set _ZL29rocblas_internal_gemmt_kernelIiLi16ELi32ELi8ELc78ELc84ELc76ELb0ELb0E19rocblas_complex_numIfES1_PKPKS1_PKPS1_EviT_T9_T10_S9_lSB_S9_lSA_T11_S9_li.has_indirect_call, 0
	.section	.AMDGPU.csdata,"",@progbits
; Kernel info:
; codeLenInByte = 2540
; TotalNumSgprs: 30
; NumVgprs: 59
; ScratchSize: 0
; MemoryBound: 1
; FloatMode: 240
; IeeeMode: 1
; LDSByteSize: 4096 bytes/workgroup (compile time only)
; SGPRBlocks: 0
; VGPRBlocks: 7
; NumSGPRsForWavesPerEU: 30
; NumVGPRsForWavesPerEU: 59
; Occupancy: 16
; WaveLimiterHint : 1
; COMPUTE_PGM_RSRC2:SCRATCH_EN: 0
; COMPUTE_PGM_RSRC2:USER_SGPR: 6
; COMPUTE_PGM_RSRC2:TRAP_HANDLER: 0
; COMPUTE_PGM_RSRC2:TGID_X_EN: 1
; COMPUTE_PGM_RSRC2:TGID_Y_EN: 1
; COMPUTE_PGM_RSRC2:TGID_Z_EN: 1
; COMPUTE_PGM_RSRC2:TIDIG_COMP_CNT: 1
	.section	.text._ZL29rocblas_internal_gemmt_kernelIiLi16ELi32ELi8ELc78ELc67ELc76ELb0ELb1E19rocblas_complex_numIfES1_PKPKS1_PKPS1_EviT_T9_T10_S9_lSB_S9_lSA_T11_S9_li,"axG",@progbits,_ZL29rocblas_internal_gemmt_kernelIiLi16ELi32ELi8ELc78ELc67ELc76ELb0ELb1E19rocblas_complex_numIfES1_PKPKS1_PKPS1_EviT_T9_T10_S9_lSB_S9_lSA_T11_S9_li,comdat
	.globl	_ZL29rocblas_internal_gemmt_kernelIiLi16ELi32ELi8ELc78ELc67ELc76ELb0ELb1E19rocblas_complex_numIfES1_PKPKS1_PKPS1_EviT_T9_T10_S9_lSB_S9_lSA_T11_S9_li ; -- Begin function _ZL29rocblas_internal_gemmt_kernelIiLi16ELi32ELi8ELc78ELc67ELc76ELb0ELb1E19rocblas_complex_numIfES1_PKPKS1_PKPS1_EviT_T9_T10_S9_lSB_S9_lSA_T11_S9_li
	.p2align	8
	.type	_ZL29rocblas_internal_gemmt_kernelIiLi16ELi32ELi8ELc78ELc67ELc76ELb0ELb1E19rocblas_complex_numIfES1_PKPKS1_PKPS1_EviT_T9_T10_S9_lSB_S9_lSA_T11_S9_li,@function
_ZL29rocblas_internal_gemmt_kernelIiLi16ELi32ELi8ELc78ELc67ELc76ELb0ELb1E19rocblas_complex_numIfES1_PKPKS1_PKPS1_EviT_T9_T10_S9_lSB_S9_lSA_T11_S9_li: ; @_ZL29rocblas_internal_gemmt_kernelIiLi16ELi32ELi8ELc78ELc67ELc76ELb0ELb1E19rocblas_complex_numIfES1_PKPKS1_PKPS1_EviT_T9_T10_S9_lSB_S9_lSA_T11_S9_li
; %bb.0:
	s_clause 0x1
	s_load_dwordx2 s[10:11], s[4:5], 0x40
	s_load_dwordx4 s[12:15], s[4:5], 0x0
	s_waitcnt lgkmcnt(0)
	s_and_b32 s0, s11, 0x7fffffff
	v_cmp_eq_f32_e64 s1, s10, 1.0
	s_cmp_eq_u32 s0, 0
	s_mov_b32 s0, 0
	s_cselect_b32 s22, -1, 0
	s_and_b32 s1, s1, s22
	s_andn2_b32 vcc_lo, exec_lo, s1
	s_mov_b32 s1, -1
	s_cbranch_vccnz .LBB389_4
; %bb.1:
	s_cmp_lg_u32 s13, 0
	s_cbranch_scc0 .LBB389_3
; %bb.2:
	v_cmp_neq_f32_e64 s0, s14, 0
	v_cmp_neq_f32_e64 s1, s15, 0
	s_or_b32 s0, s0, s1
.LBB389_3:
	s_mov_b32 s1, s0
.LBB389_4:
	s_and_b32 vcc_lo, exec_lo, s1
	s_cbranch_vccz .LBB389_32
; %bb.5:
	s_load_dwordx2 s[2:3], s[4:5], 0x48
	s_mov_b32 s9, 0
	v_cmp_eq_f32_e64 s16, s14, 0
	s_lshl_b64 s[0:1], s[8:9], 3
	v_cmp_eq_f32_e64 s17, s15, 0
	v_mov_b32_e32 v20, 0
	v_mov_b32_e32 v21, 0
	;; [unrolled: 1-line block ×8, first 2 shown]
	s_waitcnt lgkmcnt(0)
	s_add_u32 s2, s2, s0
	s_addc_u32 s3, s3, s1
	s_lshl_b32 s8, s6, 5
	s_load_dwordx2 s[2:3], s[2:3], 0x0
	s_lshl_b32 s23, s7, 5
	s_and_b32 s6, s16, s17
	s_cmp_lt_i32 s13, 1
	s_cselect_b32 s7, -1, 0
	s_or_b32 s6, s6, s7
	s_and_b32 vcc_lo, exec_lo, s6
	s_cbranch_vccnz .LBB389_16
; %bb.6:
	s_clause 0x3
	s_load_dword s6, s[4:5], 0x18
	s_load_dword s20, s[4:5], 0x30
	s_load_dwordx4 s[16:19], s[4:5], 0x20
	s_load_dwordx2 s[24:25], s[4:5], 0x10
	v_lshl_add_u32 v2, v1, 4, v0
	v_and_b32_e32 v8, 7, v0
	s_load_dwordx2 s[26:27], s[4:5], 0x38
	v_lshlrev_b32_e32 v12, 3, v0
	v_lshl_add_u32 v13, v1, 6, 0x800
	v_and_b32_e32 v3, 31, v2
	v_lshrrev_b32_e32 v9, 5, v2
	v_lshrrev_b32_e32 v4, 3, v2
	v_lshlrev_b32_e32 v5, 3, v8
	v_mov_b32_e32 v19, 0
	v_or_b32_e32 v6, s8, v3
	v_lshlrev_b32_e32 v7, 3, v3
	v_add_nc_u32_e32 v2, s23, v4
	v_lshl_or_b32 v11, v4, 6, v5
	v_mov_b32_e32 v18, 0
	v_cmp_gt_i32_e32 vcc_lo, s12, v6
	v_add_nc_u32_e32 v6, s8, v3
	s_waitcnt lgkmcnt(0)
	v_mad_i64_i32 v[4:5], null, v9, s6, 0
	s_ashr_i32 s7, s6, 31
	s_ashr_i32 s21, s20, 31
	s_add_u32 s18, s18, s0
	s_addc_u32 s19, s19, s1
	s_add_u32 s0, s24, s0
	s_addc_u32 s1, s25, s1
	s_load_dwordx2 s[18:19], s[18:19], 0x0
	s_load_dwordx2 s[24:25], s[0:1], 0x0
	v_lshlrev_b64 v[4:5], 3, v[4:5]
	v_mad_i64_i32 v[14:15], null, s20, v8, 0
	v_lshl_or_b32 v10, v9, 8, v7
	v_ashrrev_i32_e32 v7, 31, v6
	s_lshl_b64 s[16:17], s[16:17], 3
	v_ashrrev_i32_e32 v3, 31, v2
	v_add_co_u32 v16, s1, v4, s16
	v_lshlrev_b64 v[6:7], 3, v[6:7]
	v_add_co_ci_u32_e64 v17, null, s17, v5, s1
	v_lshlrev_b64 v[4:5], 3, v[14:15]
	s_lshl_b64 s[16:17], s[26:27], 3
	v_cmp_gt_i32_e64 s0, s12, v2
	v_add_co_u32 v6, s1, v16, v6
	v_add_co_ci_u32_e64 v7, null, v17, v7, s1
	v_add_co_u32 v14, s1, v4, s16
	v_add_co_ci_u32_e64 v15, null, s17, v5, s1
	v_lshlrev_b64 v[4:5], 3, v[2:3]
	s_waitcnt lgkmcnt(0)
	v_add_co_u32 v2, s1, s24, v6
	v_add_co_ci_u32_e64 v3, null, s25, v7, s1
	v_add_nc_u32_e32 v11, 0x800, v11
	v_add_co_u32 v4, s1, v14, v4
	v_add_co_ci_u32_e64 v5, null, v15, v5, s1
	v_mov_b32_e32 v6, 0
	v_add_co_u32 v4, s1, s18, v4
	v_add_co_ci_u32_e64 v5, null, s19, v5, s1
	v_mov_b32_e32 v15, 0
	v_mov_b32_e32 v14, 0
	;; [unrolled: 1-line block ×6, first 2 shown]
	s_lshl_b64 s[6:7], s[6:7], 6
	s_lshl_b64 s[16:17], s[20:21], 6
	s_xor_b32 s1, vcc_lo, -1
	s_xor_b32 s0, s0, -1
	s_branch .LBB389_8
.LBB389_7:                              ;   in Loop: Header=BB389_8 Depth=1
	s_or_b32 exec_lo, exec_lo, s18
	ds_write_b32 v11, v7 offset:4
	s_waitcnt lgkmcnt(0)
	s_barrier
	buffer_gl0_inv
	ds_read_b128 v[22:25], v13
	ds_read2_b64 v[26:29], v12 offset1:16
	ds_read_b128 v[30:33], v13 offset:1024
	ds_read_b128 v[34:37], v13 offset:16
	;; [unrolled: 1-line block ×4, first 2 shown]
	ds_read2_b64 v[46:49], v12 offset0:32 offset1:48
	ds_read_b128 v[50:53], v13 offset:1040
	v_add_co_u32 v2, vcc_lo, v2, s6
	v_add_co_ci_u32_e64 v3, null, s7, v3, vcc_lo
	v_add_co_u32 v4, vcc_lo, v4, s16
	v_add_co_ci_u32_e64 v5, null, s17, v5, vcc_lo
	s_add_i32 s9, s9, 8
	s_cmp_lt_i32 s9, s13
	s_waitcnt lgkmcnt(6)
	v_mul_f32_e32 v7, v23, v27
	v_mul_f32_e32 v54, v22, v27
	;; [unrolled: 1-line block ×4, first 2 shown]
	s_waitcnt lgkmcnt(5)
	v_mul_f32_e32 v57, v31, v27
	v_mul_f32_e32 v27, v30, v27
	;; [unrolled: 1-line block ×3, first 2 shown]
	v_fma_f32 v7, v22, v26, -v7
	v_fmac_f32_e32 v54, v23, v26
	v_fma_f32 v22, v22, v28, -v55
	v_fmac_f32_e32 v56, v23, v28
	;; [unrolled: 2-line block ×3, first 2 shown]
	v_mul_f32_e32 v29, v30, v29
	v_fma_f32 v26, v30, v28, -v58
	v_add_f32_e32 v7, v20, v7
	v_add_f32_e32 v20, v21, v54
	;; [unrolled: 1-line block ×6, first 2 shown]
	s_waitcnt lgkmcnt(1)
	v_mul_f32_e32 v30, v25, v47
	ds_read2_b64 v[16:19], v12 offset0:64 offset1:80
	v_fmac_f32_e32 v29, v31, v28
	v_add_f32_e32 v14, v14, v26
	v_mul_f32_e32 v26, v24, v47
	v_fma_f32 v28, v24, v46, -v30
	v_mul_f32_e32 v30, v25, v49
	v_add_f32_e32 v15, v15, v29
	v_mul_f32_e32 v29, v24, v49
	v_fmac_f32_e32 v26, v25, v46
	v_add_f32_e32 v7, v7, v28
	v_fma_f32 v24, v24, v48, -v30
	v_mul_f32_e32 v28, v33, v47
	v_fmac_f32_e32 v29, v25, v48
	v_add_f32_e32 v26, v20, v26
	v_mul_f32_e32 v20, v32, v47
	v_add_f32_e32 v24, v21, v24
	v_fma_f32 v21, v32, v46, -v28
	v_mul_f32_e32 v25, v33, v49
	v_add_f32_e32 v28, v22, v29
	v_fmac_f32_e32 v20, v33, v46
	v_mul_f32_e32 v29, v32, v49
	v_add_f32_e32 v30, v23, v21
	v_fma_f32 v21, v32, v48, -v25
	s_waitcnt lgkmcnt(0)
	v_mul_f32_e32 v22, v35, v17
	v_add_f32_e32 v25, v27, v20
	v_fmac_f32_e32 v29, v33, v48
	v_mul_f32_e32 v27, v34, v17
	v_add_f32_e32 v14, v14, v21
	v_fma_f32 v31, v34, v16, -v22
	v_mul_f32_e32 v32, v35, v19
	ds_read2_b64 v[20:23], v12 offset0:96 offset1:112
	v_fmac_f32_e32 v27, v35, v16
	v_add_f32_e32 v29, v15, v29
	v_add_f32_e32 v7, v7, v31
	v_mul_f32_e32 v15, v34, v19
	v_fma_f32 v31, v34, v18, -v32
	v_add_f32_e32 v26, v26, v27
	v_mul_f32_e32 v27, v51, v17
	v_mul_f32_e32 v17, v50, v17
	v_fmac_f32_e32 v15, v35, v18
	v_add_f32_e32 v24, v24, v31
	v_mul_f32_e32 v31, v51, v19
	v_mul_f32_e32 v19, v50, v19
	v_fmac_f32_e32 v17, v51, v16
	v_add_f32_e32 v28, v28, v15
	v_fma_f32 v27, v50, v16, -v27
	v_fma_f32 v15, v50, v18, -v31
	v_fmac_f32_e32 v19, v51, v18
	v_add_f32_e32 v31, v25, v17
	s_waitcnt lgkmcnt(0)
	v_mul_f32_e32 v18, v37, v21
	v_add_f32_e32 v32, v14, v15
	ds_read2_b64 v[14:17], v12 offset0:128 offset1:144
	v_add_f32_e32 v30, v30, v27
	v_mul_f32_e32 v25, v36, v21
	v_fma_f32 v18, v36, v20, -v18
	v_mul_f32_e32 v27, v37, v23
	v_add_f32_e32 v29, v29, v19
	v_mul_f32_e32 v19, v36, v23
	v_fmac_f32_e32 v25, v37, v20
	v_add_f32_e32 v7, v7, v18
	v_mul_f32_e32 v18, v53, v21
	v_fma_f32 v27, v36, v22, -v27
	v_fmac_f32_e32 v19, v37, v22
	v_mul_f32_e32 v21, v52, v21
	v_mul_f32_e32 v35, v53, v23
	v_fma_f32 v18, v52, v20, -v18
	v_add_f32_e32 v33, v26, v25
	v_add_f32_e32 v34, v24, v27
	ds_read_b128 v[24:27], v13 offset:1056
	v_add_f32_e32 v36, v28, v19
	v_fmac_f32_e32 v21, v53, v20
	v_mul_f32_e32 v23, v52, v23
	v_fma_f32 v19, v52, v22, -v35
	v_add_f32_e32 v35, v30, v18
	s_waitcnt lgkmcnt(1)
	v_mul_f32_e32 v18, v39, v15
	v_add_f32_e32 v37, v31, v21
	v_fmac_f32_e32 v23, v53, v22
	v_add_f32_e32 v22, v32, v19
	v_mul_f32_e32 v32, v38, v15
	v_fma_f32 v28, v38, v14, -v18
	ds_read2_b64 v[18:21], v12 offset0:160 offset1:176
	v_mul_f32_e32 v30, v39, v17
	v_mul_f32_e32 v46, v38, v17
	v_fmac_f32_e32 v32, v39, v14
	v_add_f32_e32 v23, v29, v23
	v_add_f32_e32 v7, v7, v28
	v_fma_f32 v38, v38, v16, -v30
	ds_read_b128 v[28:31], v13 offset:1072
	s_waitcnt lgkmcnt(2)
	v_mul_f32_e32 v47, v25, v15
	v_add_f32_e32 v32, v33, v32
	v_mul_f32_e32 v15, v24, v15
	v_add_f32_e32 v33, v34, v38
	v_mul_f32_e32 v38, v25, v17
	v_fmac_f32_e32 v46, v39, v16
	v_fma_f32 v34, v24, v14, -v47
	v_fmac_f32_e32 v15, v25, v14
	v_mul_f32_e32 v39, v24, v17
	v_fma_f32 v14, v24, v16, -v38
	v_add_f32_e32 v36, v36, v46
	v_add_f32_e32 v34, v35, v34
	s_waitcnt lgkmcnt(1)
	v_mul_f32_e32 v17, v41, v19
	v_add_f32_e32 v24, v37, v15
	v_fmac_f32_e32 v39, v25, v16
	v_mul_f32_e32 v25, v40, v19
	v_add_f32_e32 v22, v22, v14
	v_fma_f32 v35, v40, v18, -v17
	ds_read2_b64 v[14:17], v12 offset0:192 offset1:208
	v_mul_f32_e32 v37, v41, v21
	v_fmac_f32_e32 v25, v41, v18
	v_add_f32_e32 v38, v23, v39
	v_add_f32_e32 v7, v7, v35
	v_mul_f32_e32 v23, v40, v21
	v_fma_f32 v35, v40, v20, -v37
	v_add_f32_e32 v32, v32, v25
	v_mul_f32_e32 v25, v27, v19
	v_mul_f32_e32 v19, v26, v19
	v_fmac_f32_e32 v23, v41, v20
	v_add_f32_e32 v33, v33, v35
	v_mul_f32_e32 v35, v27, v21
	v_fma_f32 v25, v26, v18, -v25
	v_fmac_f32_e32 v19, v27, v18
	v_add_f32_e32 v18, v36, v23
	v_mul_f32_e32 v21, v26, v21
	v_fma_f32 v23, v26, v20, -v35
	v_add_f32_e32 v26, v34, v25
	v_add_f32_e32 v19, v24, v19
	s_waitcnt lgkmcnt(0)
	v_mul_f32_e32 v34, v43, v15
	v_fmac_f32_e32 v21, v27, v20
	v_add_f32_e32 v20, v22, v23
	ds_read2_b64 v[22:25], v12 offset0:224 offset1:240
	v_mul_f32_e32 v27, v42, v15
	v_fma_f32 v34, v42, v14, -v34
	v_mul_f32_e32 v35, v43, v17
	v_mul_f32_e32 v36, v42, v17
	v_add_f32_e32 v21, v38, v21
	v_fmac_f32_e32 v27, v43, v14
	v_add_f32_e32 v7, v7, v34
	v_mul_f32_e32 v34, v29, v15
	v_fma_f32 v35, v42, v16, -v35
	v_fmac_f32_e32 v36, v43, v16
	v_add_f32_e32 v27, v32, v27
	v_mul_f32_e32 v15, v28, v15
	v_fma_f32 v32, v28, v14, -v34
	v_mul_f32_e32 v34, v29, v17
	v_add_f32_e32 v33, v33, v35
	v_add_f32_e32 v35, v18, v36
	v_fmac_f32_e32 v15, v29, v14
	v_add_f32_e32 v14, v26, v32
	v_mul_f32_e32 v17, v28, v17
	v_fma_f32 v18, v28, v16, -v34
	s_waitcnt lgkmcnt(0)
	v_mul_f32_e32 v26, v45, v23
	v_mul_f32_e32 v28, v44, v23
	v_add_f32_e32 v15, v19, v15
	v_fmac_f32_e32 v17, v29, v16
	v_add_f32_e32 v29, v20, v18
	v_fma_f32 v16, v44, v22, -v26
	v_mul_f32_e32 v18, v45, v25
	v_mul_f32_e32 v19, v44, v25
	v_add_f32_e32 v26, v21, v17
	v_mul_f32_e32 v17, v30, v23
	v_add_f32_e32 v20, v7, v16
	v_fma_f32 v7, v44, v24, -v18
	v_mul_f32_e32 v16, v31, v23
	v_mul_f32_e32 v23, v31, v25
	;; [unrolled: 1-line block ×3, first 2 shown]
	v_fmac_f32_e32 v28, v45, v22
	v_fmac_f32_e32 v19, v45, v24
	v_add_f32_e32 v18, v33, v7
	v_fma_f32 v7, v30, v22, -v16
	v_fmac_f32_e32 v17, v31, v22
	v_fma_f32 v22, v30, v24, -v23
	v_fmac_f32_e32 v25, v31, v24
	v_add_f32_e32 v21, v27, v28
	v_add_f32_e32 v19, v35, v19
	;; [unrolled: 1-line block ×6, first 2 shown]
	s_barrier
	buffer_gl0_inv
	s_cbranch_scc0 .LBB389_16
.LBB389_8:                              ; =>This Inner Loop Header: Depth=1
	v_add_nc_u32_e32 v7, s9, v9
	v_cmp_le_i32_e32 vcc_lo, s13, v7
	s_or_b32 s18, s1, vcc_lo
	s_and_saveexec_b32 s19, s18
	s_xor_b32 s18, exec_lo, s19
; %bb.9:                                ;   in Loop: Header=BB389_8 Depth=1
	v_mov_b32_e32 v7, v6
	ds_write_b64 v10, v[6:7]
; %bb.10:                               ;   in Loop: Header=BB389_8 Depth=1
	s_andn2_saveexec_b32 s18, s18
	s_cbranch_execz .LBB389_12
; %bb.11:                               ;   in Loop: Header=BB389_8 Depth=1
	flat_load_dwordx2 v[22:23], v[2:3]
	s_waitcnt vmcnt(0) lgkmcnt(0)
	ds_write_b64 v10, v[22:23]
.LBB389_12:                             ;   in Loop: Header=BB389_8 Depth=1
	s_or_b32 exec_lo, exec_lo, s18
	v_add_nc_u32_e32 v7, s9, v8
	v_cmp_le_i32_e32 vcc_lo, s13, v7
	s_or_b32 s18, vcc_lo, s0
	s_and_saveexec_b32 s19, s18
	s_xor_b32 s18, exec_lo, s19
; %bb.13:                               ;   in Loop: Header=BB389_8 Depth=1
	ds_write_b32 v11, v6
; %bb.14:                               ;   in Loop: Header=BB389_8 Depth=1
	s_or_saveexec_b32 s18, s18
	v_mov_b32_e32 v7, 0
	s_xor_b32 exec_lo, exec_lo, s18
	s_cbranch_execz .LBB389_7
; %bb.15:                               ;   in Loop: Header=BB389_8 Depth=1
	flat_load_dwordx2 v[22:23], v[4:5]
	s_waitcnt vmcnt(0) lgkmcnt(0)
	v_xor_b32_e32 v7, 0x80000000, v23
	ds_write_b32 v11, v22
	s_branch .LBB389_7
.LBB389_16:
	s_clause 0x1
	s_load_dword s6, s[4:5], 0x50
	s_load_dwordx2 s[4:5], s[4:5], 0x58
	v_add_nc_u32_e32 v9, s23, v1
	v_add_nc_u32_e32 v0, s8, v0
	v_cmp_neq_f32_e64 s7, s10, 0
	v_cmp_le_i32_e32 vcc_lo, v9, v0
	v_cmp_gt_i32_e64 s0, s12, v0
	s_waitcnt lgkmcnt(0)
	v_mad_i64_i32 v[1:2], null, v9, s6, 0
	s_lshl_b64 s[4:5], s[4:5], 3
	s_add_u32 s4, s2, s4
	s_addc_u32 s3, s3, s5
	s_xor_b32 s2, s22, -1
	s_and_b32 s5, vcc_lo, s0
	v_lshlrev_b64 v[2:3], 3, v[1:2]
	s_or_b32 s2, s7, s2
	v_ashrrev_i32_e32 v1, 31, v0
	v_cndmask_b32_e64 v8, 0, 1, s2
	v_add_co_u32 v6, s1, s4, v2
	v_add_co_ci_u32_e64 v7, null, s3, v3, s1
	s_and_saveexec_b32 s1, s5
	s_cbranch_execz .LBB389_20
; %bb.17:
	v_lshlrev_b64 v[4:5], 3, v[0:1]
	v_mul_f32_e32 v2, s15, v21
	v_mul_f32_e32 v3, s14, v21
	v_fma_f32 v2, v20, s14, -v2
	v_add_co_u32 v4, vcc_lo, v6, v4
	v_fmac_f32_e32 v3, s15, v20
	v_add_co_ci_u32_e64 v5, null, v7, v5, vcc_lo
	s_andn2_b32 vcc_lo, exec_lo, s2
	s_cbranch_vccnz .LBB389_19
; %bb.18:
	flat_load_dwordx2 v[10:11], v[4:5]
	s_waitcnt vmcnt(0) lgkmcnt(0)
	v_mul_f32_e32 v12, s11, v11
	v_mul_f32_e32 v11, s10, v11
	v_fma_f32 v12, v10, s10, -v12
	v_fmac_f32_e32 v11, s11, v10
	v_add_f32_e32 v2, v2, v12
	v_add_f32_e32 v3, v3, v11
.LBB389_19:
	flat_store_dwordx2 v[4:5], v[2:3]
.LBB389_20:
	s_or_b32 exec_lo, exec_lo, s1
	v_add_nc_u32_e32 v2, 16, v0
	v_cmp_le_i32_e32 vcc_lo, v9, v2
	v_cmp_gt_i32_e64 s1, s12, v2
	v_ashrrev_i32_e32 v3, 31, v2
	s_and_b32 s2, vcc_lo, s1
	s_and_saveexec_b32 s5, s2
	s_cbranch_execz .LBB389_24
; %bb.21:
	v_lshlrev_b64 v[10:11], 3, v[2:3]
	v_mul_f32_e32 v4, s15, v19
	v_mul_f32_e32 v5, s14, v19
	v_cmp_ne_u32_e32 vcc_lo, 1, v8
	v_fma_f32 v4, v18, s14, -v4
	v_add_co_u32 v6, s2, v6, v10
	v_fmac_f32_e32 v5, s15, v18
	v_add_co_ci_u32_e64 v7, null, v7, v11, s2
	s_cbranch_vccnz .LBB389_23
; %bb.22:
	flat_load_dwordx2 v[10:11], v[6:7]
	s_waitcnt vmcnt(0) lgkmcnt(0)
	v_mul_f32_e32 v12, s11, v11
	v_mul_f32_e32 v11, s10, v11
	v_fma_f32 v12, v10, s10, -v12
	v_fmac_f32_e32 v11, s11, v10
	v_add_f32_e32 v4, v4, v12
	v_add_f32_e32 v5, v5, v11
.LBB389_23:
	flat_store_dwordx2 v[6:7], v[4:5]
.LBB389_24:
	s_or_b32 exec_lo, exec_lo, s5
	v_add_nc_u32_e32 v9, 16, v9
	v_mad_i64_i32 v[4:5], null, v9, s6, 0
	v_cmp_le_i32_e32 vcc_lo, v9, v0
	s_and_b32 s0, vcc_lo, s0
	v_lshlrev_b64 v[4:5], 3, v[4:5]
	v_add_co_u32 v6, s2, s4, v4
	v_add_co_ci_u32_e64 v7, null, s3, v5, s2
	s_and_saveexec_b32 s2, s0
	s_cbranch_execz .LBB389_28
; %bb.25:
	v_lshlrev_b64 v[0:1], 3, v[0:1]
	v_mul_f32_e32 v4, s15, v17
	v_mul_f32_e32 v5, s14, v17
	v_cmp_ne_u32_e32 vcc_lo, 1, v8
	v_fma_f32 v4, v16, s14, -v4
	v_add_co_u32 v0, s0, v6, v0
	v_fmac_f32_e32 v5, s15, v16
	v_add_co_ci_u32_e64 v1, null, v7, v1, s0
	s_cbranch_vccnz .LBB389_27
; %bb.26:
	flat_load_dwordx2 v[10:11], v[0:1]
	s_waitcnt vmcnt(0) lgkmcnt(0)
	v_mul_f32_e32 v12, s11, v11
	v_mul_f32_e32 v11, s10, v11
	v_fma_f32 v12, v10, s10, -v12
	v_fmac_f32_e32 v11, s11, v10
	v_add_f32_e32 v4, v4, v12
	v_add_f32_e32 v5, v5, v11
.LBB389_27:
	flat_store_dwordx2 v[0:1], v[4:5]
.LBB389_28:
	s_or_b32 exec_lo, exec_lo, s2
	v_cmp_le_i32_e32 vcc_lo, v9, v2
	s_and_b32 s0, vcc_lo, s1
	s_and_saveexec_b32 s1, s0
	s_cbranch_execz .LBB389_32
; %bb.29:
	v_lshlrev_b64 v[2:3], 3, v[2:3]
	v_mul_f32_e32 v0, s15, v15
	v_mul_f32_e32 v1, s14, v15
	v_cmp_ne_u32_e32 vcc_lo, 1, v8
	v_fma_f32 v0, v14, s14, -v0
	v_add_co_u32 v2, s0, v6, v2
	v_fmac_f32_e32 v1, s15, v14
	v_add_co_ci_u32_e64 v3, null, v7, v3, s0
	s_cbranch_vccnz .LBB389_31
; %bb.30:
	flat_load_dwordx2 v[4:5], v[2:3]
	s_waitcnt vmcnt(0) lgkmcnt(0)
	v_mul_f32_e32 v6, s11, v5
	v_mul_f32_e32 v5, s10, v5
	v_fma_f32 v6, v4, s10, -v6
	v_fmac_f32_e32 v5, s11, v4
	v_add_f32_e32 v0, v0, v6
	v_add_f32_e32 v1, v1, v5
.LBB389_31:
	flat_store_dwordx2 v[2:3], v[0:1]
.LBB389_32:
	s_endpgm
	.section	.rodata,"a",@progbits
	.p2align	6, 0x0
	.amdhsa_kernel _ZL29rocblas_internal_gemmt_kernelIiLi16ELi32ELi8ELc78ELc67ELc76ELb0ELb1E19rocblas_complex_numIfES1_PKPKS1_PKPS1_EviT_T9_T10_S9_lSB_S9_lSA_T11_S9_li
		.amdhsa_group_segment_fixed_size 4096
		.amdhsa_private_segment_fixed_size 0
		.amdhsa_kernarg_size 100
		.amdhsa_user_sgpr_count 6
		.amdhsa_user_sgpr_private_segment_buffer 1
		.amdhsa_user_sgpr_dispatch_ptr 0
		.amdhsa_user_sgpr_queue_ptr 0
		.amdhsa_user_sgpr_kernarg_segment_ptr 1
		.amdhsa_user_sgpr_dispatch_id 0
		.amdhsa_user_sgpr_flat_scratch_init 0
		.amdhsa_user_sgpr_private_segment_size 0
		.amdhsa_wavefront_size32 1
		.amdhsa_uses_dynamic_stack 0
		.amdhsa_system_sgpr_private_segment_wavefront_offset 0
		.amdhsa_system_sgpr_workgroup_id_x 1
		.amdhsa_system_sgpr_workgroup_id_y 1
		.amdhsa_system_sgpr_workgroup_id_z 1
		.amdhsa_system_sgpr_workgroup_info 0
		.amdhsa_system_vgpr_workitem_id 1
		.amdhsa_next_free_vgpr 59
		.amdhsa_next_free_sgpr 28
		.amdhsa_reserve_vcc 1
		.amdhsa_reserve_flat_scratch 0
		.amdhsa_float_round_mode_32 0
		.amdhsa_float_round_mode_16_64 0
		.amdhsa_float_denorm_mode_32 3
		.amdhsa_float_denorm_mode_16_64 3
		.amdhsa_dx10_clamp 1
		.amdhsa_ieee_mode 1
		.amdhsa_fp16_overflow 0
		.amdhsa_workgroup_processor_mode 1
		.amdhsa_memory_ordered 1
		.amdhsa_forward_progress 1
		.amdhsa_shared_vgpr_count 0
		.amdhsa_exception_fp_ieee_invalid_op 0
		.amdhsa_exception_fp_denorm_src 0
		.amdhsa_exception_fp_ieee_div_zero 0
		.amdhsa_exception_fp_ieee_overflow 0
		.amdhsa_exception_fp_ieee_underflow 0
		.amdhsa_exception_fp_ieee_inexact 0
		.amdhsa_exception_int_div_zero 0
	.end_amdhsa_kernel
	.section	.text._ZL29rocblas_internal_gemmt_kernelIiLi16ELi32ELi8ELc78ELc67ELc76ELb0ELb1E19rocblas_complex_numIfES1_PKPKS1_PKPS1_EviT_T9_T10_S9_lSB_S9_lSA_T11_S9_li,"axG",@progbits,_ZL29rocblas_internal_gemmt_kernelIiLi16ELi32ELi8ELc78ELc67ELc76ELb0ELb1E19rocblas_complex_numIfES1_PKPKS1_PKPS1_EviT_T9_T10_S9_lSB_S9_lSA_T11_S9_li,comdat
.Lfunc_end389:
	.size	_ZL29rocblas_internal_gemmt_kernelIiLi16ELi32ELi8ELc78ELc67ELc76ELb0ELb1E19rocblas_complex_numIfES1_PKPKS1_PKPS1_EviT_T9_T10_S9_lSB_S9_lSA_T11_S9_li, .Lfunc_end389-_ZL29rocblas_internal_gemmt_kernelIiLi16ELi32ELi8ELc78ELc67ELc76ELb0ELb1E19rocblas_complex_numIfES1_PKPKS1_PKPS1_EviT_T9_T10_S9_lSB_S9_lSA_T11_S9_li
                                        ; -- End function
	.set _ZL29rocblas_internal_gemmt_kernelIiLi16ELi32ELi8ELc78ELc67ELc76ELb0ELb1E19rocblas_complex_numIfES1_PKPKS1_PKPS1_EviT_T9_T10_S9_lSB_S9_lSA_T11_S9_li.num_vgpr, 59
	.set _ZL29rocblas_internal_gemmt_kernelIiLi16ELi32ELi8ELc78ELc67ELc76ELb0ELb1E19rocblas_complex_numIfES1_PKPKS1_PKPS1_EviT_T9_T10_S9_lSB_S9_lSA_T11_S9_li.num_agpr, 0
	.set _ZL29rocblas_internal_gemmt_kernelIiLi16ELi32ELi8ELc78ELc67ELc76ELb0ELb1E19rocblas_complex_numIfES1_PKPKS1_PKPS1_EviT_T9_T10_S9_lSB_S9_lSA_T11_S9_li.numbered_sgpr, 28
	.set _ZL29rocblas_internal_gemmt_kernelIiLi16ELi32ELi8ELc78ELc67ELc76ELb0ELb1E19rocblas_complex_numIfES1_PKPKS1_PKPS1_EviT_T9_T10_S9_lSB_S9_lSA_T11_S9_li.num_named_barrier, 0
	.set _ZL29rocblas_internal_gemmt_kernelIiLi16ELi32ELi8ELc78ELc67ELc76ELb0ELb1E19rocblas_complex_numIfES1_PKPKS1_PKPS1_EviT_T9_T10_S9_lSB_S9_lSA_T11_S9_li.private_seg_size, 0
	.set _ZL29rocblas_internal_gemmt_kernelIiLi16ELi32ELi8ELc78ELc67ELc76ELb0ELb1E19rocblas_complex_numIfES1_PKPKS1_PKPS1_EviT_T9_T10_S9_lSB_S9_lSA_T11_S9_li.uses_vcc, 1
	.set _ZL29rocblas_internal_gemmt_kernelIiLi16ELi32ELi8ELc78ELc67ELc76ELb0ELb1E19rocblas_complex_numIfES1_PKPKS1_PKPS1_EviT_T9_T10_S9_lSB_S9_lSA_T11_S9_li.uses_flat_scratch, 0
	.set _ZL29rocblas_internal_gemmt_kernelIiLi16ELi32ELi8ELc78ELc67ELc76ELb0ELb1E19rocblas_complex_numIfES1_PKPKS1_PKPS1_EviT_T9_T10_S9_lSB_S9_lSA_T11_S9_li.has_dyn_sized_stack, 0
	.set _ZL29rocblas_internal_gemmt_kernelIiLi16ELi32ELi8ELc78ELc67ELc76ELb0ELb1E19rocblas_complex_numIfES1_PKPKS1_PKPS1_EviT_T9_T10_S9_lSB_S9_lSA_T11_S9_li.has_recursion, 0
	.set _ZL29rocblas_internal_gemmt_kernelIiLi16ELi32ELi8ELc78ELc67ELc76ELb0ELb1E19rocblas_complex_numIfES1_PKPKS1_PKPS1_EviT_T9_T10_S9_lSB_S9_lSA_T11_S9_li.has_indirect_call, 0
	.section	.AMDGPU.csdata,"",@progbits
; Kernel info:
; codeLenInByte = 2560
; TotalNumSgprs: 30
; NumVgprs: 59
; ScratchSize: 0
; MemoryBound: 1
; FloatMode: 240
; IeeeMode: 1
; LDSByteSize: 4096 bytes/workgroup (compile time only)
; SGPRBlocks: 0
; VGPRBlocks: 7
; NumSGPRsForWavesPerEU: 30
; NumVGPRsForWavesPerEU: 59
; Occupancy: 16
; WaveLimiterHint : 1
; COMPUTE_PGM_RSRC2:SCRATCH_EN: 0
; COMPUTE_PGM_RSRC2:USER_SGPR: 6
; COMPUTE_PGM_RSRC2:TRAP_HANDLER: 0
; COMPUTE_PGM_RSRC2:TGID_X_EN: 1
; COMPUTE_PGM_RSRC2:TGID_Y_EN: 1
; COMPUTE_PGM_RSRC2:TGID_Z_EN: 1
; COMPUTE_PGM_RSRC2:TIDIG_COMP_CNT: 1
	.section	.text._ZL29rocblas_internal_gemmt_kernelIiLi16ELi32ELi8ELc84ELc78ELc76ELb0ELb0E19rocblas_complex_numIfES1_PKPKS1_PKPS1_EviT_T9_T10_S9_lSB_S9_lSA_T11_S9_li,"axG",@progbits,_ZL29rocblas_internal_gemmt_kernelIiLi16ELi32ELi8ELc84ELc78ELc76ELb0ELb0E19rocblas_complex_numIfES1_PKPKS1_PKPS1_EviT_T9_T10_S9_lSB_S9_lSA_T11_S9_li,comdat
	.globl	_ZL29rocblas_internal_gemmt_kernelIiLi16ELi32ELi8ELc84ELc78ELc76ELb0ELb0E19rocblas_complex_numIfES1_PKPKS1_PKPS1_EviT_T9_T10_S9_lSB_S9_lSA_T11_S9_li ; -- Begin function _ZL29rocblas_internal_gemmt_kernelIiLi16ELi32ELi8ELc84ELc78ELc76ELb0ELb0E19rocblas_complex_numIfES1_PKPKS1_PKPS1_EviT_T9_T10_S9_lSB_S9_lSA_T11_S9_li
	.p2align	8
	.type	_ZL29rocblas_internal_gemmt_kernelIiLi16ELi32ELi8ELc84ELc78ELc76ELb0ELb0E19rocblas_complex_numIfES1_PKPKS1_PKPS1_EviT_T9_T10_S9_lSB_S9_lSA_T11_S9_li,@function
_ZL29rocblas_internal_gemmt_kernelIiLi16ELi32ELi8ELc84ELc78ELc76ELb0ELb0E19rocblas_complex_numIfES1_PKPKS1_PKPS1_EviT_T9_T10_S9_lSB_S9_lSA_T11_S9_li: ; @_ZL29rocblas_internal_gemmt_kernelIiLi16ELi32ELi8ELc84ELc78ELc76ELb0ELb0E19rocblas_complex_numIfES1_PKPKS1_PKPS1_EviT_T9_T10_S9_lSB_S9_lSA_T11_S9_li
; %bb.0:
	s_clause 0x1
	s_load_dwordx2 s[10:11], s[4:5], 0x40
	s_load_dwordx4 s[12:15], s[4:5], 0x0
	s_waitcnt lgkmcnt(0)
	s_and_b32 s0, s11, 0x7fffffff
	v_cmp_eq_f32_e64 s1, s10, 1.0
	s_cmp_eq_u32 s0, 0
	s_mov_b32 s0, 0
	s_cselect_b32 s20, -1, 0
	s_and_b32 s1, s1, s20
	s_andn2_b32 vcc_lo, exec_lo, s1
	s_mov_b32 s1, -1
	s_cbranch_vccnz .LBB390_4
; %bb.1:
	s_cmp_lg_u32 s13, 0
	s_cbranch_scc0 .LBB390_3
; %bb.2:
	v_cmp_neq_f32_e64 s0, s14, 0
	v_cmp_neq_f32_e64 s1, s15, 0
	s_or_b32 s0, s0, s1
.LBB390_3:
	s_mov_b32 s1, s0
.LBB390_4:
	s_and_b32 vcc_lo, exec_lo, s1
	s_cbranch_vccz .LBB390_32
; %bb.5:
	s_load_dwordx2 s[2:3], s[4:5], 0x48
	s_mov_b32 s9, 0
	v_cmp_eq_f32_e64 s16, s14, 0
	s_lshl_b64 s[0:1], s[8:9], 3
	v_cmp_eq_f32_e64 s8, s15, 0
	v_mov_b32_e32 v20, 0
	v_mov_b32_e32 v21, 0
	;; [unrolled: 1-line block ×8, first 2 shown]
	s_waitcnt lgkmcnt(0)
	s_add_u32 s2, s2, s0
	s_addc_u32 s3, s3, s1
	s_lshl_b32 s6, s6, 5
	s_load_dwordx2 s[2:3], s[2:3], 0x0
	s_lshl_b32 s7, s7, 5
	s_and_b32 s8, s16, s8
	s_cmp_lt_i32 s13, 1
	s_cselect_b32 s16, -1, 0
	s_or_b32 s8, s8, s16
	s_and_b32 vcc_lo, exec_lo, s8
	s_cbranch_vccnz .LBB390_16
; %bb.6:
	s_clause 0x4
	s_load_dwordx4 s[16:19], s[4:5], 0x20
	s_load_dword s8, s[4:5], 0x18
	s_load_dwordx2 s[22:23], s[4:5], 0x10
	s_load_dword s21, s[4:5], 0x30
	s_load_dwordx2 s[24:25], s[4:5], 0x38
	v_lshl_add_u32 v2, v1, 4, v0
	v_and_b32_e32 v8, 7, v0
	v_lshlrev_b32_e32 v12, 3, v0
	v_lshl_add_u32 v13, v1, 6, 0x800
	v_mov_b32_e32 v15, 0
	v_and_b32_e32 v3, 31, v2
	v_lshrrev_b32_e32 v4, 3, v2
	v_lshrrev_b32_e32 v9, 5, v2
	v_lshlrev_b32_e32 v6, 3, v8
	v_mov_b32_e32 v17, 0
	v_or_b32_e32 v2, s6, v3
	v_lshlrev_b32_e32 v10, 3, v3
	v_add_nc_u32_e32 v3, s6, v3
	v_add_nc_u32_e32 v7, s7, v4
	v_lshl_or_b32 v11, v4, 6, v6
	v_cmp_gt_i32_e32 vcc_lo, s12, v2
	s_waitcnt lgkmcnt(0)
	s_add_u32 s18, s18, s0
	v_mad_i64_i32 v[2:3], null, s8, v3, 0
	s_addc_u32 s19, s19, s1
	s_add_u32 s0, s22, s0
	v_mad_i64_i32 v[4:5], null, s21, v7, 0
	s_addc_u32 s1, s23, s1
	s_load_dwordx2 s[18:19], s[18:19], 0x0
	s_load_dwordx2 s[22:23], s[0:1], 0x0
	v_lshlrev_b64 v[2:3], 3, v[2:3]
	s_lshl_b64 s[16:17], s[16:17], 3
	v_cmp_gt_i32_e64 s0, s12, v7
	v_lshlrev_b32_e32 v14, 3, v9
	v_lshlrev_b64 v[4:5], 3, v[4:5]
	v_lshl_or_b32 v10, v9, 8, v10
	v_add_co_u32 v7, s1, v2, s16
	v_add_co_ci_u32_e64 v3, null, s17, v3, s1
	s_lshl_b64 s[16:17], s[24:25], 3
	v_add_nc_u32_e32 v11, 0x800, v11
	v_add_co_u32 v4, s1, v4, s16
	v_add_co_ci_u32_e64 v5, null, s17, v5, s1
	v_add_co_u32 v7, s1, v7, v14
	v_add_co_ci_u32_e64 v3, null, 0, v3, s1
	;; [unrolled: 2-line block ×3, first 2 shown]
	s_waitcnt lgkmcnt(0)
	v_add_co_u32 v4, s1, s22, v7
	v_add_co_ci_u32_e64 v5, null, s23, v3, s1
	v_add_co_u32 v6, s1, s18, v6
	v_mov_b32_e32 v2, 0
	v_add_co_ci_u32_e64 v7, null, s19, v14, s1
	v_mov_b32_e32 v14, 0
	v_mov_b32_e32 v16, 0
	;; [unrolled: 1-line block ×6, first 2 shown]
	s_xor_b32 s1, vcc_lo, -1
	s_xor_b32 s0, s0, -1
	s_branch .LBB390_8
.LBB390_7:                              ;   in Loop: Header=BB390_8 Depth=1
	s_or_b32 exec_lo, exec_lo, s8
	s_waitcnt lgkmcnt(0)
	s_barrier
	buffer_gl0_inv
	ds_read_b128 v[22:25], v13
	ds_read2_b64 v[26:29], v12 offset1:16
	ds_read_b128 v[30:33], v13 offset:1024
	ds_read_b128 v[34:37], v13 offset:16
	;; [unrolled: 1-line block ×4, first 2 shown]
	ds_read2_b64 v[46:49], v12 offset0:32 offset1:48
	ds_read_b128 v[50:53], v13 offset:1040
	v_add_co_u32 v4, vcc_lo, v4, 64
	v_add_co_ci_u32_e64 v5, null, 0, v5, vcc_lo
	v_add_co_u32 v6, vcc_lo, v6, 64
	v_add_co_ci_u32_e64 v7, null, 0, v7, vcc_lo
	s_add_i32 s9, s9, 8
	s_cmp_lt_i32 s9, s13
	s_waitcnt lgkmcnt(6)
	v_mul_f32_e32 v3, v23, v27
	v_mul_f32_e32 v54, v22, v27
	;; [unrolled: 1-line block ×4, first 2 shown]
	s_waitcnt lgkmcnt(5)
	v_mul_f32_e32 v57, v31, v27
	v_mul_f32_e32 v27, v30, v27
	;; [unrolled: 1-line block ×3, first 2 shown]
	v_fma_f32 v3, v22, v26, -v3
	v_fmac_f32_e32 v54, v23, v26
	v_fma_f32 v22, v22, v28, -v55
	v_fmac_f32_e32 v56, v23, v28
	;; [unrolled: 2-line block ×3, first 2 shown]
	v_mul_f32_e32 v29, v30, v29
	v_fma_f32 v26, v30, v28, -v58
	v_add_f32_e32 v3, v20, v3
	v_add_f32_e32 v20, v21, v54
	;; [unrolled: 1-line block ×6, first 2 shown]
	s_waitcnt lgkmcnt(1)
	v_mul_f32_e32 v30, v25, v47
	ds_read2_b64 v[16:19], v12 offset0:64 offset1:80
	v_fmac_f32_e32 v29, v31, v28
	v_add_f32_e32 v14, v14, v26
	v_mul_f32_e32 v26, v24, v47
	v_fma_f32 v28, v24, v46, -v30
	v_mul_f32_e32 v30, v25, v49
	v_add_f32_e32 v15, v15, v29
	v_mul_f32_e32 v29, v24, v49
	v_fmac_f32_e32 v26, v25, v46
	v_add_f32_e32 v3, v3, v28
	v_fma_f32 v24, v24, v48, -v30
	v_mul_f32_e32 v28, v33, v47
	v_fmac_f32_e32 v29, v25, v48
	v_add_f32_e32 v26, v20, v26
	v_mul_f32_e32 v20, v32, v47
	v_add_f32_e32 v24, v21, v24
	v_fma_f32 v21, v32, v46, -v28
	v_mul_f32_e32 v25, v33, v49
	v_add_f32_e32 v28, v22, v29
	v_fmac_f32_e32 v20, v33, v46
	v_mul_f32_e32 v29, v32, v49
	v_add_f32_e32 v30, v23, v21
	v_fma_f32 v21, v32, v48, -v25
	s_waitcnt lgkmcnt(0)
	v_mul_f32_e32 v22, v35, v17
	v_add_f32_e32 v25, v27, v20
	v_fmac_f32_e32 v29, v33, v48
	v_mul_f32_e32 v27, v34, v17
	v_add_f32_e32 v14, v14, v21
	v_fma_f32 v31, v34, v16, -v22
	v_mul_f32_e32 v32, v35, v19
	ds_read2_b64 v[20:23], v12 offset0:96 offset1:112
	v_fmac_f32_e32 v27, v35, v16
	v_add_f32_e32 v29, v15, v29
	v_add_f32_e32 v3, v3, v31
	v_mul_f32_e32 v15, v34, v19
	v_fma_f32 v31, v34, v18, -v32
	v_add_f32_e32 v26, v26, v27
	v_mul_f32_e32 v27, v51, v17
	v_mul_f32_e32 v17, v50, v17
	v_fmac_f32_e32 v15, v35, v18
	v_add_f32_e32 v24, v24, v31
	v_mul_f32_e32 v31, v51, v19
	v_mul_f32_e32 v19, v50, v19
	v_fmac_f32_e32 v17, v51, v16
	v_add_f32_e32 v28, v28, v15
	v_fma_f32 v27, v50, v16, -v27
	v_fma_f32 v15, v50, v18, -v31
	v_fmac_f32_e32 v19, v51, v18
	v_add_f32_e32 v31, v25, v17
	s_waitcnt lgkmcnt(0)
	v_mul_f32_e32 v18, v37, v21
	v_add_f32_e32 v32, v14, v15
	ds_read2_b64 v[14:17], v12 offset0:128 offset1:144
	v_add_f32_e32 v30, v30, v27
	v_mul_f32_e32 v25, v36, v21
	v_fma_f32 v18, v36, v20, -v18
	v_mul_f32_e32 v27, v37, v23
	v_add_f32_e32 v29, v29, v19
	v_mul_f32_e32 v19, v36, v23
	v_fmac_f32_e32 v25, v37, v20
	v_add_f32_e32 v3, v3, v18
	v_mul_f32_e32 v18, v53, v21
	v_fma_f32 v27, v36, v22, -v27
	v_fmac_f32_e32 v19, v37, v22
	v_mul_f32_e32 v21, v52, v21
	v_mul_f32_e32 v35, v53, v23
	v_fma_f32 v18, v52, v20, -v18
	v_add_f32_e32 v33, v26, v25
	v_add_f32_e32 v34, v24, v27
	ds_read_b128 v[24:27], v13 offset:1056
	v_add_f32_e32 v36, v28, v19
	v_fmac_f32_e32 v21, v53, v20
	v_mul_f32_e32 v23, v52, v23
	v_fma_f32 v19, v52, v22, -v35
	v_add_f32_e32 v35, v30, v18
	s_waitcnt lgkmcnt(1)
	v_mul_f32_e32 v18, v39, v15
	v_add_f32_e32 v37, v31, v21
	v_fmac_f32_e32 v23, v53, v22
	v_add_f32_e32 v22, v32, v19
	v_mul_f32_e32 v32, v38, v15
	v_fma_f32 v28, v38, v14, -v18
	ds_read2_b64 v[18:21], v12 offset0:160 offset1:176
	v_mul_f32_e32 v30, v39, v17
	v_mul_f32_e32 v46, v38, v17
	v_fmac_f32_e32 v32, v39, v14
	v_add_f32_e32 v23, v29, v23
	v_add_f32_e32 v3, v3, v28
	v_fma_f32 v38, v38, v16, -v30
	ds_read_b128 v[28:31], v13 offset:1072
	s_waitcnt lgkmcnt(2)
	v_mul_f32_e32 v47, v25, v15
	v_add_f32_e32 v32, v33, v32
	v_mul_f32_e32 v15, v24, v15
	v_add_f32_e32 v33, v34, v38
	v_mul_f32_e32 v38, v25, v17
	v_fmac_f32_e32 v46, v39, v16
	v_fma_f32 v34, v24, v14, -v47
	v_fmac_f32_e32 v15, v25, v14
	v_mul_f32_e32 v39, v24, v17
	v_fma_f32 v14, v24, v16, -v38
	v_add_f32_e32 v36, v36, v46
	v_add_f32_e32 v34, v35, v34
	s_waitcnt lgkmcnt(1)
	v_mul_f32_e32 v17, v41, v19
	v_add_f32_e32 v24, v37, v15
	v_fmac_f32_e32 v39, v25, v16
	v_mul_f32_e32 v25, v40, v19
	v_add_f32_e32 v22, v22, v14
	v_fma_f32 v35, v40, v18, -v17
	ds_read2_b64 v[14:17], v12 offset0:192 offset1:208
	v_mul_f32_e32 v37, v41, v21
	v_fmac_f32_e32 v25, v41, v18
	v_add_f32_e32 v38, v23, v39
	v_add_f32_e32 v3, v3, v35
	v_mul_f32_e32 v23, v40, v21
	v_fma_f32 v35, v40, v20, -v37
	v_add_f32_e32 v32, v32, v25
	v_mul_f32_e32 v25, v27, v19
	v_mul_f32_e32 v19, v26, v19
	v_fmac_f32_e32 v23, v41, v20
	v_add_f32_e32 v33, v33, v35
	v_mul_f32_e32 v35, v27, v21
	v_fma_f32 v25, v26, v18, -v25
	v_fmac_f32_e32 v19, v27, v18
	v_add_f32_e32 v18, v36, v23
	v_mul_f32_e32 v21, v26, v21
	v_fma_f32 v23, v26, v20, -v35
	v_add_f32_e32 v26, v34, v25
	v_add_f32_e32 v19, v24, v19
	s_waitcnt lgkmcnt(0)
	v_mul_f32_e32 v34, v43, v15
	v_fmac_f32_e32 v21, v27, v20
	v_add_f32_e32 v20, v22, v23
	ds_read2_b64 v[22:25], v12 offset0:224 offset1:240
	v_mul_f32_e32 v27, v42, v15
	v_fma_f32 v34, v42, v14, -v34
	v_mul_f32_e32 v35, v43, v17
	v_mul_f32_e32 v36, v42, v17
	v_add_f32_e32 v21, v38, v21
	v_fmac_f32_e32 v27, v43, v14
	v_add_f32_e32 v3, v3, v34
	v_mul_f32_e32 v34, v29, v15
	v_fma_f32 v35, v42, v16, -v35
	v_fmac_f32_e32 v36, v43, v16
	v_add_f32_e32 v27, v32, v27
	v_mul_f32_e32 v15, v28, v15
	v_fma_f32 v32, v28, v14, -v34
	v_mul_f32_e32 v34, v29, v17
	v_add_f32_e32 v33, v33, v35
	v_add_f32_e32 v35, v18, v36
	v_fmac_f32_e32 v15, v29, v14
	v_add_f32_e32 v14, v26, v32
	v_mul_f32_e32 v17, v28, v17
	v_fma_f32 v18, v28, v16, -v34
	s_waitcnt lgkmcnt(0)
	v_mul_f32_e32 v26, v45, v23
	v_mul_f32_e32 v28, v44, v23
	v_add_f32_e32 v15, v19, v15
	v_fmac_f32_e32 v17, v29, v16
	v_add_f32_e32 v29, v20, v18
	v_fma_f32 v16, v44, v22, -v26
	v_mul_f32_e32 v18, v45, v25
	v_mul_f32_e32 v19, v44, v25
	v_add_f32_e32 v26, v21, v17
	v_mul_f32_e32 v17, v30, v23
	v_add_f32_e32 v20, v3, v16
	v_fma_f32 v3, v44, v24, -v18
	v_mul_f32_e32 v16, v31, v23
	v_mul_f32_e32 v23, v31, v25
	;; [unrolled: 1-line block ×3, first 2 shown]
	v_fmac_f32_e32 v28, v45, v22
	v_fmac_f32_e32 v19, v45, v24
	v_add_f32_e32 v18, v33, v3
	v_fma_f32 v3, v30, v22, -v16
	v_fmac_f32_e32 v17, v31, v22
	v_fma_f32 v22, v30, v24, -v23
	v_fmac_f32_e32 v25, v31, v24
	v_add_f32_e32 v21, v27, v28
	v_add_f32_e32 v19, v35, v19
	v_add_f32_e32 v16, v14, v3
	v_add_f32_e32 v17, v15, v17
	v_add_f32_e32 v14, v29, v22
	v_add_f32_e32 v15, v26, v25
	s_barrier
	buffer_gl0_inv
	s_cbranch_scc0 .LBB390_16
.LBB390_8:                              ; =>This Inner Loop Header: Depth=1
	v_add_nc_u32_e32 v3, s9, v9
	v_cmp_le_i32_e32 vcc_lo, s13, v3
	s_or_b32 s8, s1, vcc_lo
	s_and_saveexec_b32 s16, s8
	s_xor_b32 s8, exec_lo, s16
; %bb.9:                                ;   in Loop: Header=BB390_8 Depth=1
	v_mov_b32_e32 v3, v2
	ds_write_b64 v10, v[2:3]
; %bb.10:                               ;   in Loop: Header=BB390_8 Depth=1
	s_andn2_saveexec_b32 s8, s8
	s_cbranch_execz .LBB390_12
; %bb.11:                               ;   in Loop: Header=BB390_8 Depth=1
	flat_load_dwordx2 v[22:23], v[4:5]
	s_waitcnt vmcnt(0) lgkmcnt(0)
	ds_write_b64 v10, v[22:23]
.LBB390_12:                             ;   in Loop: Header=BB390_8 Depth=1
	s_or_b32 exec_lo, exec_lo, s8
	v_add_nc_u32_e32 v3, s9, v8
	v_cmp_le_i32_e32 vcc_lo, s13, v3
	s_or_b32 s8, vcc_lo, s0
	s_and_saveexec_b32 s16, s8
	s_xor_b32 s8, exec_lo, s16
; %bb.13:                               ;   in Loop: Header=BB390_8 Depth=1
	v_mov_b32_e32 v3, v2
	ds_write_b64 v11, v[2:3]
; %bb.14:                               ;   in Loop: Header=BB390_8 Depth=1
	s_andn2_saveexec_b32 s8, s8
	s_cbranch_execz .LBB390_7
; %bb.15:                               ;   in Loop: Header=BB390_8 Depth=1
	flat_load_dwordx2 v[22:23], v[6:7]
	s_waitcnt vmcnt(0) lgkmcnt(0)
	ds_write_b64 v11, v[22:23]
	s_branch .LBB390_7
.LBB390_16:
	s_clause 0x1
	s_load_dword s8, s[4:5], 0x50
	s_load_dwordx2 s[4:5], s[4:5], 0x58
	v_add_nc_u32_e32 v9, s7, v1
	v_add_nc_u32_e32 v0, s6, v0
	v_cmp_neq_f32_e64 s6, s10, 0
	v_cmp_le_i32_e32 vcc_lo, v9, v0
	v_cmp_gt_i32_e64 s0, s12, v0
	s_waitcnt lgkmcnt(0)
	v_mad_i64_i32 v[1:2], null, v9, s8, 0
	s_lshl_b64 s[4:5], s[4:5], 3
	s_add_u32 s4, s2, s4
	s_addc_u32 s3, s3, s5
	s_xor_b32 s2, s20, -1
	s_and_b32 s5, vcc_lo, s0
	v_lshlrev_b64 v[2:3], 3, v[1:2]
	s_or_b32 s2, s6, s2
	v_ashrrev_i32_e32 v1, 31, v0
	v_cndmask_b32_e64 v8, 0, 1, s2
	v_add_co_u32 v6, s1, s4, v2
	v_add_co_ci_u32_e64 v7, null, s3, v3, s1
	s_and_saveexec_b32 s1, s5
	s_cbranch_execz .LBB390_20
; %bb.17:
	v_lshlrev_b64 v[4:5], 3, v[0:1]
	v_mul_f32_e32 v2, s15, v21
	v_mul_f32_e32 v3, s14, v21
	v_fma_f32 v2, v20, s14, -v2
	v_add_co_u32 v4, vcc_lo, v6, v4
	v_fmac_f32_e32 v3, s15, v20
	v_add_co_ci_u32_e64 v5, null, v7, v5, vcc_lo
	s_andn2_b32 vcc_lo, exec_lo, s2
	s_cbranch_vccnz .LBB390_19
; %bb.18:
	flat_load_dwordx2 v[10:11], v[4:5]
	s_waitcnt vmcnt(0) lgkmcnt(0)
	v_mul_f32_e32 v12, s11, v11
	v_mul_f32_e32 v11, s10, v11
	v_fma_f32 v12, v10, s10, -v12
	v_fmac_f32_e32 v11, s11, v10
	v_add_f32_e32 v2, v2, v12
	v_add_f32_e32 v3, v3, v11
.LBB390_19:
	flat_store_dwordx2 v[4:5], v[2:3]
.LBB390_20:
	s_or_b32 exec_lo, exec_lo, s1
	v_add_nc_u32_e32 v2, 16, v0
	v_cmp_le_i32_e32 vcc_lo, v9, v2
	v_cmp_gt_i32_e64 s1, s12, v2
	v_ashrrev_i32_e32 v3, 31, v2
	s_and_b32 s2, vcc_lo, s1
	s_and_saveexec_b32 s5, s2
	s_cbranch_execz .LBB390_24
; %bb.21:
	v_lshlrev_b64 v[10:11], 3, v[2:3]
	v_mul_f32_e32 v4, s15, v19
	v_mul_f32_e32 v5, s14, v19
	v_cmp_ne_u32_e32 vcc_lo, 1, v8
	v_fma_f32 v4, v18, s14, -v4
	v_add_co_u32 v6, s2, v6, v10
	v_fmac_f32_e32 v5, s15, v18
	v_add_co_ci_u32_e64 v7, null, v7, v11, s2
	s_cbranch_vccnz .LBB390_23
; %bb.22:
	flat_load_dwordx2 v[10:11], v[6:7]
	s_waitcnt vmcnt(0) lgkmcnt(0)
	v_mul_f32_e32 v12, s11, v11
	v_mul_f32_e32 v11, s10, v11
	v_fma_f32 v12, v10, s10, -v12
	v_fmac_f32_e32 v11, s11, v10
	v_add_f32_e32 v4, v4, v12
	v_add_f32_e32 v5, v5, v11
.LBB390_23:
	flat_store_dwordx2 v[6:7], v[4:5]
.LBB390_24:
	s_or_b32 exec_lo, exec_lo, s5
	v_add_nc_u32_e32 v9, 16, v9
	v_mad_i64_i32 v[4:5], null, v9, s8, 0
	v_cmp_le_i32_e32 vcc_lo, v9, v0
	s_and_b32 s0, vcc_lo, s0
	v_lshlrev_b64 v[4:5], 3, v[4:5]
	v_add_co_u32 v6, s2, s4, v4
	v_add_co_ci_u32_e64 v7, null, s3, v5, s2
	s_and_saveexec_b32 s2, s0
	s_cbranch_execz .LBB390_28
; %bb.25:
	v_lshlrev_b64 v[0:1], 3, v[0:1]
	v_mul_f32_e32 v4, s15, v17
	v_mul_f32_e32 v5, s14, v17
	v_cmp_ne_u32_e32 vcc_lo, 1, v8
	v_fma_f32 v4, v16, s14, -v4
	v_add_co_u32 v0, s0, v6, v0
	v_fmac_f32_e32 v5, s15, v16
	v_add_co_ci_u32_e64 v1, null, v7, v1, s0
	s_cbranch_vccnz .LBB390_27
; %bb.26:
	flat_load_dwordx2 v[10:11], v[0:1]
	s_waitcnt vmcnt(0) lgkmcnt(0)
	v_mul_f32_e32 v12, s11, v11
	v_mul_f32_e32 v11, s10, v11
	v_fma_f32 v12, v10, s10, -v12
	v_fmac_f32_e32 v11, s11, v10
	v_add_f32_e32 v4, v4, v12
	v_add_f32_e32 v5, v5, v11
.LBB390_27:
	flat_store_dwordx2 v[0:1], v[4:5]
.LBB390_28:
	s_or_b32 exec_lo, exec_lo, s2
	v_cmp_le_i32_e32 vcc_lo, v9, v2
	s_and_b32 s0, vcc_lo, s1
	s_and_saveexec_b32 s1, s0
	s_cbranch_execz .LBB390_32
; %bb.29:
	v_lshlrev_b64 v[2:3], 3, v[2:3]
	v_mul_f32_e32 v0, s15, v15
	v_mul_f32_e32 v1, s14, v15
	v_cmp_ne_u32_e32 vcc_lo, 1, v8
	v_fma_f32 v0, v14, s14, -v0
	v_add_co_u32 v2, s0, v6, v2
	v_fmac_f32_e32 v1, s15, v14
	v_add_co_ci_u32_e64 v3, null, v7, v3, s0
	s_cbranch_vccnz .LBB390_31
; %bb.30:
	flat_load_dwordx2 v[4:5], v[2:3]
	s_waitcnt vmcnt(0) lgkmcnt(0)
	v_mul_f32_e32 v6, s11, v5
	v_mul_f32_e32 v5, s10, v5
	v_fma_f32 v6, v4, s10, -v6
	v_fmac_f32_e32 v5, s11, v4
	v_add_f32_e32 v0, v0, v6
	v_add_f32_e32 v1, v1, v5
.LBB390_31:
	flat_store_dwordx2 v[2:3], v[0:1]
.LBB390_32:
	s_endpgm
	.section	.rodata,"a",@progbits
	.p2align	6, 0x0
	.amdhsa_kernel _ZL29rocblas_internal_gemmt_kernelIiLi16ELi32ELi8ELc84ELc78ELc76ELb0ELb0E19rocblas_complex_numIfES1_PKPKS1_PKPS1_EviT_T9_T10_S9_lSB_S9_lSA_T11_S9_li
		.amdhsa_group_segment_fixed_size 4096
		.amdhsa_private_segment_fixed_size 0
		.amdhsa_kernarg_size 100
		.amdhsa_user_sgpr_count 6
		.amdhsa_user_sgpr_private_segment_buffer 1
		.amdhsa_user_sgpr_dispatch_ptr 0
		.amdhsa_user_sgpr_queue_ptr 0
		.amdhsa_user_sgpr_kernarg_segment_ptr 1
		.amdhsa_user_sgpr_dispatch_id 0
		.amdhsa_user_sgpr_flat_scratch_init 0
		.amdhsa_user_sgpr_private_segment_size 0
		.amdhsa_wavefront_size32 1
		.amdhsa_uses_dynamic_stack 0
		.amdhsa_system_sgpr_private_segment_wavefront_offset 0
		.amdhsa_system_sgpr_workgroup_id_x 1
		.amdhsa_system_sgpr_workgroup_id_y 1
		.amdhsa_system_sgpr_workgroup_id_z 1
		.amdhsa_system_sgpr_workgroup_info 0
		.amdhsa_system_vgpr_workitem_id 1
		.amdhsa_next_free_vgpr 59
		.amdhsa_next_free_sgpr 26
		.amdhsa_reserve_vcc 1
		.amdhsa_reserve_flat_scratch 0
		.amdhsa_float_round_mode_32 0
		.amdhsa_float_round_mode_16_64 0
		.amdhsa_float_denorm_mode_32 3
		.amdhsa_float_denorm_mode_16_64 3
		.amdhsa_dx10_clamp 1
		.amdhsa_ieee_mode 1
		.amdhsa_fp16_overflow 0
		.amdhsa_workgroup_processor_mode 1
		.amdhsa_memory_ordered 1
		.amdhsa_forward_progress 1
		.amdhsa_shared_vgpr_count 0
		.amdhsa_exception_fp_ieee_invalid_op 0
		.amdhsa_exception_fp_denorm_src 0
		.amdhsa_exception_fp_ieee_div_zero 0
		.amdhsa_exception_fp_ieee_overflow 0
		.amdhsa_exception_fp_ieee_underflow 0
		.amdhsa_exception_fp_ieee_inexact 0
		.amdhsa_exception_int_div_zero 0
	.end_amdhsa_kernel
	.section	.text._ZL29rocblas_internal_gemmt_kernelIiLi16ELi32ELi8ELc84ELc78ELc76ELb0ELb0E19rocblas_complex_numIfES1_PKPKS1_PKPS1_EviT_T9_T10_S9_lSB_S9_lSA_T11_S9_li,"axG",@progbits,_ZL29rocblas_internal_gemmt_kernelIiLi16ELi32ELi8ELc84ELc78ELc76ELb0ELb0E19rocblas_complex_numIfES1_PKPKS1_PKPS1_EviT_T9_T10_S9_lSB_S9_lSA_T11_S9_li,comdat
.Lfunc_end390:
	.size	_ZL29rocblas_internal_gemmt_kernelIiLi16ELi32ELi8ELc84ELc78ELc76ELb0ELb0E19rocblas_complex_numIfES1_PKPKS1_PKPS1_EviT_T9_T10_S9_lSB_S9_lSA_T11_S9_li, .Lfunc_end390-_ZL29rocblas_internal_gemmt_kernelIiLi16ELi32ELi8ELc84ELc78ELc76ELb0ELb0E19rocblas_complex_numIfES1_PKPKS1_PKPS1_EviT_T9_T10_S9_lSB_S9_lSA_T11_S9_li
                                        ; -- End function
	.set _ZL29rocblas_internal_gemmt_kernelIiLi16ELi32ELi8ELc84ELc78ELc76ELb0ELb0E19rocblas_complex_numIfES1_PKPKS1_PKPS1_EviT_T9_T10_S9_lSB_S9_lSA_T11_S9_li.num_vgpr, 59
	.set _ZL29rocblas_internal_gemmt_kernelIiLi16ELi32ELi8ELc84ELc78ELc76ELb0ELb0E19rocblas_complex_numIfES1_PKPKS1_PKPS1_EviT_T9_T10_S9_lSB_S9_lSA_T11_S9_li.num_agpr, 0
	.set _ZL29rocblas_internal_gemmt_kernelIiLi16ELi32ELi8ELc84ELc78ELc76ELb0ELb0E19rocblas_complex_numIfES1_PKPKS1_PKPS1_EviT_T9_T10_S9_lSB_S9_lSA_T11_S9_li.numbered_sgpr, 26
	.set _ZL29rocblas_internal_gemmt_kernelIiLi16ELi32ELi8ELc84ELc78ELc76ELb0ELb0E19rocblas_complex_numIfES1_PKPKS1_PKPS1_EviT_T9_T10_S9_lSB_S9_lSA_T11_S9_li.num_named_barrier, 0
	.set _ZL29rocblas_internal_gemmt_kernelIiLi16ELi32ELi8ELc84ELc78ELc76ELb0ELb0E19rocblas_complex_numIfES1_PKPKS1_PKPS1_EviT_T9_T10_S9_lSB_S9_lSA_T11_S9_li.private_seg_size, 0
	.set _ZL29rocblas_internal_gemmt_kernelIiLi16ELi32ELi8ELc84ELc78ELc76ELb0ELb0E19rocblas_complex_numIfES1_PKPKS1_PKPS1_EviT_T9_T10_S9_lSB_S9_lSA_T11_S9_li.uses_vcc, 1
	.set _ZL29rocblas_internal_gemmt_kernelIiLi16ELi32ELi8ELc84ELc78ELc76ELb0ELb0E19rocblas_complex_numIfES1_PKPKS1_PKPS1_EviT_T9_T10_S9_lSB_S9_lSA_T11_S9_li.uses_flat_scratch, 0
	.set _ZL29rocblas_internal_gemmt_kernelIiLi16ELi32ELi8ELc84ELc78ELc76ELb0ELb0E19rocblas_complex_numIfES1_PKPKS1_PKPS1_EviT_T9_T10_S9_lSB_S9_lSA_T11_S9_li.has_dyn_sized_stack, 0
	.set _ZL29rocblas_internal_gemmt_kernelIiLi16ELi32ELi8ELc84ELc78ELc76ELb0ELb0E19rocblas_complex_numIfES1_PKPKS1_PKPS1_EviT_T9_T10_S9_lSB_S9_lSA_T11_S9_li.has_recursion, 0
	.set _ZL29rocblas_internal_gemmt_kernelIiLi16ELi32ELi8ELc84ELc78ELc76ELb0ELb0E19rocblas_complex_numIfES1_PKPKS1_PKPS1_EviT_T9_T10_S9_lSB_S9_lSA_T11_S9_li.has_indirect_call, 0
	.section	.AMDGPU.csdata,"",@progbits
; Kernel info:
; codeLenInByte = 2504
; TotalNumSgprs: 28
; NumVgprs: 59
; ScratchSize: 0
; MemoryBound: 1
; FloatMode: 240
; IeeeMode: 1
; LDSByteSize: 4096 bytes/workgroup (compile time only)
; SGPRBlocks: 0
; VGPRBlocks: 7
; NumSGPRsForWavesPerEU: 28
; NumVGPRsForWavesPerEU: 59
; Occupancy: 16
; WaveLimiterHint : 1
; COMPUTE_PGM_RSRC2:SCRATCH_EN: 0
; COMPUTE_PGM_RSRC2:USER_SGPR: 6
; COMPUTE_PGM_RSRC2:TRAP_HANDLER: 0
; COMPUTE_PGM_RSRC2:TGID_X_EN: 1
; COMPUTE_PGM_RSRC2:TGID_Y_EN: 1
; COMPUTE_PGM_RSRC2:TGID_Z_EN: 1
; COMPUTE_PGM_RSRC2:TIDIG_COMP_CNT: 1
	.section	.text._ZL29rocblas_internal_gemmt_kernelIiLi16ELi32ELi8ELc84ELc84ELc76ELb0ELb0E19rocblas_complex_numIfES1_PKPKS1_PKPS1_EviT_T9_T10_S9_lSB_S9_lSA_T11_S9_li,"axG",@progbits,_ZL29rocblas_internal_gemmt_kernelIiLi16ELi32ELi8ELc84ELc84ELc76ELb0ELb0E19rocblas_complex_numIfES1_PKPKS1_PKPS1_EviT_T9_T10_S9_lSB_S9_lSA_T11_S9_li,comdat
	.globl	_ZL29rocblas_internal_gemmt_kernelIiLi16ELi32ELi8ELc84ELc84ELc76ELb0ELb0E19rocblas_complex_numIfES1_PKPKS1_PKPS1_EviT_T9_T10_S9_lSB_S9_lSA_T11_S9_li ; -- Begin function _ZL29rocblas_internal_gemmt_kernelIiLi16ELi32ELi8ELc84ELc84ELc76ELb0ELb0E19rocblas_complex_numIfES1_PKPKS1_PKPS1_EviT_T9_T10_S9_lSB_S9_lSA_T11_S9_li
	.p2align	8
	.type	_ZL29rocblas_internal_gemmt_kernelIiLi16ELi32ELi8ELc84ELc84ELc76ELb0ELb0E19rocblas_complex_numIfES1_PKPKS1_PKPS1_EviT_T9_T10_S9_lSB_S9_lSA_T11_S9_li,@function
_ZL29rocblas_internal_gemmt_kernelIiLi16ELi32ELi8ELc84ELc84ELc76ELb0ELb0E19rocblas_complex_numIfES1_PKPKS1_PKPS1_EviT_T9_T10_S9_lSB_S9_lSA_T11_S9_li: ; @_ZL29rocblas_internal_gemmt_kernelIiLi16ELi32ELi8ELc84ELc84ELc76ELb0ELb0E19rocblas_complex_numIfES1_PKPKS1_PKPS1_EviT_T9_T10_S9_lSB_S9_lSA_T11_S9_li
; %bb.0:
	s_clause 0x1
	s_load_dwordx2 s[10:11], s[4:5], 0x40
	s_load_dwordx4 s[12:15], s[4:5], 0x0
	s_waitcnt lgkmcnt(0)
	s_and_b32 s0, s11, 0x7fffffff
	v_cmp_eq_f32_e64 s1, s10, 1.0
	s_cmp_eq_u32 s0, 0
	s_mov_b32 s0, 0
	s_cselect_b32 s20, -1, 0
	s_and_b32 s1, s1, s20
	s_andn2_b32 vcc_lo, exec_lo, s1
	s_mov_b32 s1, -1
	s_cbranch_vccnz .LBB391_4
; %bb.1:
	s_cmp_lg_u32 s13, 0
	s_cbranch_scc0 .LBB391_3
; %bb.2:
	v_cmp_neq_f32_e64 s0, s14, 0
	v_cmp_neq_f32_e64 s1, s15, 0
	s_or_b32 s0, s0, s1
.LBB391_3:
	s_mov_b32 s1, s0
.LBB391_4:
	s_and_b32 vcc_lo, exec_lo, s1
	s_cbranch_vccz .LBB391_32
; %bb.5:
	s_load_dwordx2 s[2:3], s[4:5], 0x48
	s_mov_b32 s9, 0
	v_cmp_eq_f32_e64 s16, s14, 0
	s_lshl_b64 s[0:1], s[8:9], 3
	v_cmp_eq_f32_e64 s17, s15, 0
	v_mov_b32_e32 v20, 0
	v_mov_b32_e32 v21, 0
	;; [unrolled: 1-line block ×8, first 2 shown]
	s_waitcnt lgkmcnt(0)
	s_add_u32 s2, s2, s0
	s_addc_u32 s3, s3, s1
	s_lshl_b32 s8, s6, 5
	s_load_dwordx2 s[2:3], s[2:3], 0x0
	s_lshl_b32 s21, s7, 5
	s_and_b32 s6, s16, s17
	s_cmp_lt_i32 s13, 1
	s_cselect_b32 s7, -1, 0
	s_or_b32 s6, s6, s7
	s_and_b32 vcc_lo, exec_lo, s6
	s_cbranch_vccnz .LBB391_16
; %bb.6:
	s_clause 0x4
	s_load_dword s6, s[4:5], 0x30
	s_load_dwordx4 s[16:19], s[4:5], 0x20
	s_load_dword s26, s[4:5], 0x18
	s_load_dwordx2 s[22:23], s[4:5], 0x10
	s_load_dwordx2 s[24:25], s[4:5], 0x38
	v_lshl_add_u32 v2, v1, 4, v0
	v_and_b32_e32 v8, 7, v0
	v_lshlrev_b32_e32 v12, 3, v0
	v_lshl_add_u32 v13, v1, 6, 0x800
	v_mov_b32_e32 v17, 0
	v_and_b32_e32 v4, 31, v2
	v_lshrrev_b32_e32 v5, 3, v2
	v_lshlrev_b32_e32 v6, 3, v8
	v_lshrrev_b32_e32 v9, 5, v2
	v_mov_b32_e32 v16, 0
	v_or_b32_e32 v2, s8, v4
	v_lshlrev_b32_e32 v7, 3, v4
	v_add_nc_u32_e32 v4, s8, v4
	v_add_nc_u32_e32 v3, s21, v5
	v_lshl_or_b32 v11, v5, 6, v6
	s_waitcnt lgkmcnt(0)
	s_ashr_i32 s7, s6, 31
	s_add_u32 s18, s18, s0
	v_mad_i64_i32 v[5:6], null, s26, v4, 0
	s_addc_u32 s19, s19, s1
	s_add_u32 s0, s22, s0
	v_mad_i64_i32 v[14:15], null, s6, v8, 0
	s_addc_u32 s1, s23, s1
	s_load_dwordx2 s[18:19], s[18:19], 0x0
	s_load_dwordx2 s[22:23], s[0:1], 0x0
	v_lshlrev_b64 v[5:6], 3, v[5:6]
	v_ashrrev_i32_e32 v4, 31, v3
	s_lshl_b64 s[16:17], s[16:17], 3
	v_lshl_or_b32 v10, v9, 8, v7
	v_lshlrev_b64 v[14:15], 3, v[14:15]
	v_lshlrev_b32_e32 v7, 3, v9
	v_add_co_u32 v5, s1, v5, s16
	v_add_co_ci_u32_e64 v6, null, s17, v6, s1
	s_lshl_b64 s[16:17], s[24:25], 3
	v_cmp_gt_i32_e64 s0, s12, v3
	v_lshlrev_b64 v[3:4], 3, v[3:4]
	v_add_co_u32 v14, s1, v14, s16
	v_add_co_ci_u32_e64 v15, null, s17, v15, s1
	v_add_co_u32 v5, s1, v5, v7
	v_add_co_ci_u32_e64 v6, null, 0, v6, s1
	;; [unrolled: 2-line block ×3, first 2 shown]
	s_waitcnt lgkmcnt(0)
	v_add_co_u32 v4, s1, s22, v5
	v_cmp_gt_i32_e32 vcc_lo, s12, v2
	v_add_co_ci_u32_e64 v5, null, s23, v6, s1
	v_add_co_u32 v6, s1, s18, v3
	v_add_nc_u32_e32 v11, 0x800, v11
	v_mov_b32_e32 v2, 0
	v_add_co_ci_u32_e64 v7, null, s19, v7, s1
	v_mov_b32_e32 v15, 0
	v_mov_b32_e32 v14, 0
	;; [unrolled: 1-line block ×6, first 2 shown]
	s_lshl_b64 s[6:7], s[6:7], 6
	s_xor_b32 s1, vcc_lo, -1
	s_xor_b32 s0, s0, -1
	s_branch .LBB391_8
.LBB391_7:                              ;   in Loop: Header=BB391_8 Depth=1
	s_or_b32 exec_lo, exec_lo, s16
	s_waitcnt lgkmcnt(0)
	s_barrier
	buffer_gl0_inv
	ds_read_b128 v[22:25], v13
	ds_read2_b64 v[26:29], v12 offset1:16
	ds_read_b128 v[30:33], v13 offset:1024
	ds_read_b128 v[34:37], v13 offset:16
	;; [unrolled: 1-line block ×4, first 2 shown]
	ds_read2_b64 v[46:49], v12 offset0:32 offset1:48
	ds_read_b128 v[50:53], v13 offset:1040
	v_add_co_u32 v4, vcc_lo, v4, 64
	v_add_co_ci_u32_e64 v5, null, 0, v5, vcc_lo
	v_add_co_u32 v6, vcc_lo, v6, s6
	v_add_co_ci_u32_e64 v7, null, s7, v7, vcc_lo
	s_add_i32 s9, s9, 8
	s_cmp_lt_i32 s9, s13
	s_waitcnt lgkmcnt(6)
	v_mul_f32_e32 v3, v23, v27
	v_mul_f32_e32 v54, v22, v27
	v_mul_f32_e32 v55, v23, v29
	v_mul_f32_e32 v56, v22, v29
	s_waitcnt lgkmcnt(5)
	v_mul_f32_e32 v57, v31, v27
	v_mul_f32_e32 v27, v30, v27
	;; [unrolled: 1-line block ×3, first 2 shown]
	v_fma_f32 v3, v22, v26, -v3
	v_fmac_f32_e32 v54, v23, v26
	v_fma_f32 v22, v22, v28, -v55
	v_fmac_f32_e32 v56, v23, v28
	;; [unrolled: 2-line block ×3, first 2 shown]
	v_mul_f32_e32 v29, v30, v29
	v_fma_f32 v26, v30, v28, -v58
	v_add_f32_e32 v3, v20, v3
	v_add_f32_e32 v20, v21, v54
	;; [unrolled: 1-line block ×6, first 2 shown]
	s_waitcnt lgkmcnt(1)
	v_mul_f32_e32 v30, v25, v47
	ds_read2_b64 v[16:19], v12 offset0:64 offset1:80
	v_fmac_f32_e32 v29, v31, v28
	v_add_f32_e32 v14, v14, v26
	v_mul_f32_e32 v26, v24, v47
	v_fma_f32 v28, v24, v46, -v30
	v_mul_f32_e32 v30, v25, v49
	v_add_f32_e32 v15, v15, v29
	v_mul_f32_e32 v29, v24, v49
	v_fmac_f32_e32 v26, v25, v46
	v_add_f32_e32 v3, v3, v28
	v_fma_f32 v24, v24, v48, -v30
	v_mul_f32_e32 v28, v33, v47
	v_fmac_f32_e32 v29, v25, v48
	v_add_f32_e32 v26, v20, v26
	v_mul_f32_e32 v20, v32, v47
	v_add_f32_e32 v24, v21, v24
	v_fma_f32 v21, v32, v46, -v28
	v_mul_f32_e32 v25, v33, v49
	v_add_f32_e32 v28, v22, v29
	v_fmac_f32_e32 v20, v33, v46
	v_mul_f32_e32 v29, v32, v49
	v_add_f32_e32 v30, v23, v21
	v_fma_f32 v21, v32, v48, -v25
	s_waitcnt lgkmcnt(0)
	v_mul_f32_e32 v22, v35, v17
	v_add_f32_e32 v25, v27, v20
	v_fmac_f32_e32 v29, v33, v48
	v_mul_f32_e32 v27, v34, v17
	v_add_f32_e32 v14, v14, v21
	v_fma_f32 v31, v34, v16, -v22
	v_mul_f32_e32 v32, v35, v19
	ds_read2_b64 v[20:23], v12 offset0:96 offset1:112
	v_fmac_f32_e32 v27, v35, v16
	v_add_f32_e32 v29, v15, v29
	v_add_f32_e32 v3, v3, v31
	v_mul_f32_e32 v15, v34, v19
	v_fma_f32 v31, v34, v18, -v32
	v_add_f32_e32 v26, v26, v27
	v_mul_f32_e32 v27, v51, v17
	v_mul_f32_e32 v17, v50, v17
	v_fmac_f32_e32 v15, v35, v18
	v_add_f32_e32 v24, v24, v31
	v_mul_f32_e32 v31, v51, v19
	v_mul_f32_e32 v19, v50, v19
	v_fmac_f32_e32 v17, v51, v16
	v_add_f32_e32 v28, v28, v15
	v_fma_f32 v27, v50, v16, -v27
	v_fma_f32 v15, v50, v18, -v31
	v_fmac_f32_e32 v19, v51, v18
	v_add_f32_e32 v31, v25, v17
	s_waitcnt lgkmcnt(0)
	v_mul_f32_e32 v18, v37, v21
	v_add_f32_e32 v32, v14, v15
	ds_read2_b64 v[14:17], v12 offset0:128 offset1:144
	v_add_f32_e32 v30, v30, v27
	v_mul_f32_e32 v25, v36, v21
	v_fma_f32 v18, v36, v20, -v18
	v_mul_f32_e32 v27, v37, v23
	v_add_f32_e32 v29, v29, v19
	v_mul_f32_e32 v19, v36, v23
	v_fmac_f32_e32 v25, v37, v20
	v_add_f32_e32 v3, v3, v18
	v_mul_f32_e32 v18, v53, v21
	v_fma_f32 v27, v36, v22, -v27
	v_fmac_f32_e32 v19, v37, v22
	v_mul_f32_e32 v21, v52, v21
	v_mul_f32_e32 v35, v53, v23
	v_fma_f32 v18, v52, v20, -v18
	v_add_f32_e32 v33, v26, v25
	v_add_f32_e32 v34, v24, v27
	ds_read_b128 v[24:27], v13 offset:1056
	v_add_f32_e32 v36, v28, v19
	v_fmac_f32_e32 v21, v53, v20
	v_mul_f32_e32 v23, v52, v23
	v_fma_f32 v19, v52, v22, -v35
	v_add_f32_e32 v35, v30, v18
	s_waitcnt lgkmcnt(1)
	v_mul_f32_e32 v18, v39, v15
	v_add_f32_e32 v37, v31, v21
	v_fmac_f32_e32 v23, v53, v22
	v_add_f32_e32 v22, v32, v19
	v_mul_f32_e32 v32, v38, v15
	v_fma_f32 v28, v38, v14, -v18
	ds_read2_b64 v[18:21], v12 offset0:160 offset1:176
	v_mul_f32_e32 v30, v39, v17
	v_mul_f32_e32 v46, v38, v17
	v_fmac_f32_e32 v32, v39, v14
	v_add_f32_e32 v23, v29, v23
	v_add_f32_e32 v3, v3, v28
	v_fma_f32 v38, v38, v16, -v30
	ds_read_b128 v[28:31], v13 offset:1072
	s_waitcnt lgkmcnt(2)
	v_mul_f32_e32 v47, v25, v15
	v_add_f32_e32 v32, v33, v32
	v_mul_f32_e32 v15, v24, v15
	v_add_f32_e32 v33, v34, v38
	v_mul_f32_e32 v38, v25, v17
	v_fmac_f32_e32 v46, v39, v16
	v_fma_f32 v34, v24, v14, -v47
	v_fmac_f32_e32 v15, v25, v14
	v_mul_f32_e32 v39, v24, v17
	v_fma_f32 v14, v24, v16, -v38
	v_add_f32_e32 v36, v36, v46
	v_add_f32_e32 v34, v35, v34
	s_waitcnt lgkmcnt(1)
	v_mul_f32_e32 v17, v41, v19
	v_add_f32_e32 v24, v37, v15
	v_fmac_f32_e32 v39, v25, v16
	v_mul_f32_e32 v25, v40, v19
	v_add_f32_e32 v22, v22, v14
	v_fma_f32 v35, v40, v18, -v17
	ds_read2_b64 v[14:17], v12 offset0:192 offset1:208
	v_mul_f32_e32 v37, v41, v21
	v_fmac_f32_e32 v25, v41, v18
	v_add_f32_e32 v38, v23, v39
	v_add_f32_e32 v3, v3, v35
	v_mul_f32_e32 v23, v40, v21
	v_fma_f32 v35, v40, v20, -v37
	v_add_f32_e32 v32, v32, v25
	v_mul_f32_e32 v25, v27, v19
	v_mul_f32_e32 v19, v26, v19
	v_fmac_f32_e32 v23, v41, v20
	v_add_f32_e32 v33, v33, v35
	v_mul_f32_e32 v35, v27, v21
	v_fma_f32 v25, v26, v18, -v25
	v_fmac_f32_e32 v19, v27, v18
	v_add_f32_e32 v18, v36, v23
	v_mul_f32_e32 v21, v26, v21
	v_fma_f32 v23, v26, v20, -v35
	v_add_f32_e32 v26, v34, v25
	v_add_f32_e32 v19, v24, v19
	s_waitcnt lgkmcnt(0)
	v_mul_f32_e32 v34, v43, v15
	v_fmac_f32_e32 v21, v27, v20
	v_add_f32_e32 v20, v22, v23
	ds_read2_b64 v[22:25], v12 offset0:224 offset1:240
	v_mul_f32_e32 v27, v42, v15
	v_fma_f32 v34, v42, v14, -v34
	v_mul_f32_e32 v35, v43, v17
	v_mul_f32_e32 v36, v42, v17
	v_add_f32_e32 v21, v38, v21
	v_fmac_f32_e32 v27, v43, v14
	v_add_f32_e32 v3, v3, v34
	v_mul_f32_e32 v34, v29, v15
	v_fma_f32 v35, v42, v16, -v35
	v_fmac_f32_e32 v36, v43, v16
	v_add_f32_e32 v27, v32, v27
	v_mul_f32_e32 v15, v28, v15
	v_fma_f32 v32, v28, v14, -v34
	v_mul_f32_e32 v34, v29, v17
	v_add_f32_e32 v33, v33, v35
	v_add_f32_e32 v35, v18, v36
	v_fmac_f32_e32 v15, v29, v14
	v_add_f32_e32 v14, v26, v32
	v_mul_f32_e32 v17, v28, v17
	v_fma_f32 v18, v28, v16, -v34
	s_waitcnt lgkmcnt(0)
	v_mul_f32_e32 v26, v45, v23
	v_mul_f32_e32 v28, v44, v23
	v_add_f32_e32 v15, v19, v15
	v_fmac_f32_e32 v17, v29, v16
	v_add_f32_e32 v29, v20, v18
	v_fma_f32 v16, v44, v22, -v26
	v_mul_f32_e32 v18, v45, v25
	v_mul_f32_e32 v19, v44, v25
	v_add_f32_e32 v26, v21, v17
	v_mul_f32_e32 v17, v30, v23
	v_add_f32_e32 v20, v3, v16
	v_fma_f32 v3, v44, v24, -v18
	v_mul_f32_e32 v16, v31, v23
	v_mul_f32_e32 v23, v31, v25
	;; [unrolled: 1-line block ×3, first 2 shown]
	v_fmac_f32_e32 v28, v45, v22
	v_fmac_f32_e32 v19, v45, v24
	v_add_f32_e32 v18, v33, v3
	v_fma_f32 v3, v30, v22, -v16
	v_fmac_f32_e32 v17, v31, v22
	v_fma_f32 v22, v30, v24, -v23
	v_fmac_f32_e32 v25, v31, v24
	v_add_f32_e32 v21, v27, v28
	v_add_f32_e32 v19, v35, v19
	;; [unrolled: 1-line block ×6, first 2 shown]
	s_barrier
	buffer_gl0_inv
	s_cbranch_scc0 .LBB391_16
.LBB391_8:                              ; =>This Inner Loop Header: Depth=1
	v_add_nc_u32_e32 v3, s9, v9
	v_cmp_le_i32_e32 vcc_lo, s13, v3
	s_or_b32 s16, s1, vcc_lo
	s_and_saveexec_b32 s17, s16
	s_xor_b32 s16, exec_lo, s17
; %bb.9:                                ;   in Loop: Header=BB391_8 Depth=1
	v_mov_b32_e32 v3, v2
	ds_write_b64 v10, v[2:3]
; %bb.10:                               ;   in Loop: Header=BB391_8 Depth=1
	s_andn2_saveexec_b32 s16, s16
	s_cbranch_execz .LBB391_12
; %bb.11:                               ;   in Loop: Header=BB391_8 Depth=1
	flat_load_dwordx2 v[22:23], v[4:5]
	s_waitcnt vmcnt(0) lgkmcnt(0)
	ds_write_b64 v10, v[22:23]
.LBB391_12:                             ;   in Loop: Header=BB391_8 Depth=1
	s_or_b32 exec_lo, exec_lo, s16
	v_add_nc_u32_e32 v3, s9, v8
	v_cmp_le_i32_e32 vcc_lo, s13, v3
	s_or_b32 s16, vcc_lo, s0
	s_and_saveexec_b32 s17, s16
	s_xor_b32 s16, exec_lo, s17
; %bb.13:                               ;   in Loop: Header=BB391_8 Depth=1
	v_mov_b32_e32 v3, v2
	ds_write_b64 v11, v[2:3]
; %bb.14:                               ;   in Loop: Header=BB391_8 Depth=1
	s_andn2_saveexec_b32 s16, s16
	s_cbranch_execz .LBB391_7
; %bb.15:                               ;   in Loop: Header=BB391_8 Depth=1
	flat_load_dwordx2 v[22:23], v[6:7]
	s_waitcnt vmcnt(0) lgkmcnt(0)
	ds_write_b64 v11, v[22:23]
	s_branch .LBB391_7
.LBB391_16:
	s_clause 0x1
	s_load_dword s6, s[4:5], 0x50
	s_load_dwordx2 s[4:5], s[4:5], 0x58
	v_add_nc_u32_e32 v9, s21, v1
	v_add_nc_u32_e32 v0, s8, v0
	v_cmp_neq_f32_e64 s7, s10, 0
	v_cmp_le_i32_e32 vcc_lo, v9, v0
	v_cmp_gt_i32_e64 s0, s12, v0
	s_waitcnt lgkmcnt(0)
	v_mad_i64_i32 v[1:2], null, v9, s6, 0
	s_lshl_b64 s[4:5], s[4:5], 3
	s_add_u32 s4, s2, s4
	s_addc_u32 s3, s3, s5
	s_xor_b32 s2, s20, -1
	s_and_b32 s5, vcc_lo, s0
	v_lshlrev_b64 v[2:3], 3, v[1:2]
	s_or_b32 s2, s7, s2
	v_ashrrev_i32_e32 v1, 31, v0
	v_cndmask_b32_e64 v8, 0, 1, s2
	v_add_co_u32 v6, s1, s4, v2
	v_add_co_ci_u32_e64 v7, null, s3, v3, s1
	s_and_saveexec_b32 s1, s5
	s_cbranch_execz .LBB391_20
; %bb.17:
	v_lshlrev_b64 v[4:5], 3, v[0:1]
	v_mul_f32_e32 v2, s15, v21
	v_mul_f32_e32 v3, s14, v21
	v_fma_f32 v2, v20, s14, -v2
	v_add_co_u32 v4, vcc_lo, v6, v4
	v_fmac_f32_e32 v3, s15, v20
	v_add_co_ci_u32_e64 v5, null, v7, v5, vcc_lo
	s_andn2_b32 vcc_lo, exec_lo, s2
	s_cbranch_vccnz .LBB391_19
; %bb.18:
	flat_load_dwordx2 v[10:11], v[4:5]
	s_waitcnt vmcnt(0) lgkmcnt(0)
	v_mul_f32_e32 v12, s11, v11
	v_mul_f32_e32 v11, s10, v11
	v_fma_f32 v12, v10, s10, -v12
	v_fmac_f32_e32 v11, s11, v10
	v_add_f32_e32 v2, v2, v12
	v_add_f32_e32 v3, v3, v11
.LBB391_19:
	flat_store_dwordx2 v[4:5], v[2:3]
.LBB391_20:
	s_or_b32 exec_lo, exec_lo, s1
	v_add_nc_u32_e32 v2, 16, v0
	v_cmp_le_i32_e32 vcc_lo, v9, v2
	v_cmp_gt_i32_e64 s1, s12, v2
	v_ashrrev_i32_e32 v3, 31, v2
	s_and_b32 s2, vcc_lo, s1
	s_and_saveexec_b32 s5, s2
	s_cbranch_execz .LBB391_24
; %bb.21:
	v_lshlrev_b64 v[10:11], 3, v[2:3]
	v_mul_f32_e32 v4, s15, v19
	v_mul_f32_e32 v5, s14, v19
	v_cmp_ne_u32_e32 vcc_lo, 1, v8
	v_fma_f32 v4, v18, s14, -v4
	v_add_co_u32 v6, s2, v6, v10
	v_fmac_f32_e32 v5, s15, v18
	v_add_co_ci_u32_e64 v7, null, v7, v11, s2
	s_cbranch_vccnz .LBB391_23
; %bb.22:
	flat_load_dwordx2 v[10:11], v[6:7]
	s_waitcnt vmcnt(0) lgkmcnt(0)
	v_mul_f32_e32 v12, s11, v11
	v_mul_f32_e32 v11, s10, v11
	v_fma_f32 v12, v10, s10, -v12
	v_fmac_f32_e32 v11, s11, v10
	v_add_f32_e32 v4, v4, v12
	v_add_f32_e32 v5, v5, v11
.LBB391_23:
	flat_store_dwordx2 v[6:7], v[4:5]
.LBB391_24:
	s_or_b32 exec_lo, exec_lo, s5
	v_add_nc_u32_e32 v9, 16, v9
	v_mad_i64_i32 v[4:5], null, v9, s6, 0
	v_cmp_le_i32_e32 vcc_lo, v9, v0
	s_and_b32 s0, vcc_lo, s0
	v_lshlrev_b64 v[4:5], 3, v[4:5]
	v_add_co_u32 v6, s2, s4, v4
	v_add_co_ci_u32_e64 v7, null, s3, v5, s2
	s_and_saveexec_b32 s2, s0
	s_cbranch_execz .LBB391_28
; %bb.25:
	v_lshlrev_b64 v[0:1], 3, v[0:1]
	v_mul_f32_e32 v4, s15, v17
	v_mul_f32_e32 v5, s14, v17
	v_cmp_ne_u32_e32 vcc_lo, 1, v8
	v_fma_f32 v4, v16, s14, -v4
	v_add_co_u32 v0, s0, v6, v0
	v_fmac_f32_e32 v5, s15, v16
	v_add_co_ci_u32_e64 v1, null, v7, v1, s0
	s_cbranch_vccnz .LBB391_27
; %bb.26:
	flat_load_dwordx2 v[10:11], v[0:1]
	s_waitcnt vmcnt(0) lgkmcnt(0)
	v_mul_f32_e32 v12, s11, v11
	v_mul_f32_e32 v11, s10, v11
	v_fma_f32 v12, v10, s10, -v12
	v_fmac_f32_e32 v11, s11, v10
	v_add_f32_e32 v4, v4, v12
	v_add_f32_e32 v5, v5, v11
.LBB391_27:
	flat_store_dwordx2 v[0:1], v[4:5]
.LBB391_28:
	s_or_b32 exec_lo, exec_lo, s2
	v_cmp_le_i32_e32 vcc_lo, v9, v2
	s_and_b32 s0, vcc_lo, s1
	s_and_saveexec_b32 s1, s0
	s_cbranch_execz .LBB391_32
; %bb.29:
	v_lshlrev_b64 v[2:3], 3, v[2:3]
	v_mul_f32_e32 v0, s15, v15
	v_mul_f32_e32 v1, s14, v15
	v_cmp_ne_u32_e32 vcc_lo, 1, v8
	v_fma_f32 v0, v14, s14, -v0
	v_add_co_u32 v2, s0, v6, v2
	v_fmac_f32_e32 v1, s15, v14
	v_add_co_ci_u32_e64 v3, null, v7, v3, s0
	s_cbranch_vccnz .LBB391_31
; %bb.30:
	flat_load_dwordx2 v[4:5], v[2:3]
	s_waitcnt vmcnt(0) lgkmcnt(0)
	v_mul_f32_e32 v6, s11, v5
	v_mul_f32_e32 v5, s10, v5
	v_fma_f32 v6, v4, s10, -v6
	v_fmac_f32_e32 v5, s11, v4
	v_add_f32_e32 v0, v0, v6
	v_add_f32_e32 v1, v1, v5
.LBB391_31:
	flat_store_dwordx2 v[2:3], v[0:1]
.LBB391_32:
	s_endpgm
	.section	.rodata,"a",@progbits
	.p2align	6, 0x0
	.amdhsa_kernel _ZL29rocblas_internal_gemmt_kernelIiLi16ELi32ELi8ELc84ELc84ELc76ELb0ELb0E19rocblas_complex_numIfES1_PKPKS1_PKPS1_EviT_T9_T10_S9_lSB_S9_lSA_T11_S9_li
		.amdhsa_group_segment_fixed_size 4096
		.amdhsa_private_segment_fixed_size 0
		.amdhsa_kernarg_size 100
		.amdhsa_user_sgpr_count 6
		.amdhsa_user_sgpr_private_segment_buffer 1
		.amdhsa_user_sgpr_dispatch_ptr 0
		.amdhsa_user_sgpr_queue_ptr 0
		.amdhsa_user_sgpr_kernarg_segment_ptr 1
		.amdhsa_user_sgpr_dispatch_id 0
		.amdhsa_user_sgpr_flat_scratch_init 0
		.amdhsa_user_sgpr_private_segment_size 0
		.amdhsa_wavefront_size32 1
		.amdhsa_uses_dynamic_stack 0
		.amdhsa_system_sgpr_private_segment_wavefront_offset 0
		.amdhsa_system_sgpr_workgroup_id_x 1
		.amdhsa_system_sgpr_workgroup_id_y 1
		.amdhsa_system_sgpr_workgroup_id_z 1
		.amdhsa_system_sgpr_workgroup_info 0
		.amdhsa_system_vgpr_workitem_id 1
		.amdhsa_next_free_vgpr 59
		.amdhsa_next_free_sgpr 27
		.amdhsa_reserve_vcc 1
		.amdhsa_reserve_flat_scratch 0
		.amdhsa_float_round_mode_32 0
		.amdhsa_float_round_mode_16_64 0
		.amdhsa_float_denorm_mode_32 3
		.amdhsa_float_denorm_mode_16_64 3
		.amdhsa_dx10_clamp 1
		.amdhsa_ieee_mode 1
		.amdhsa_fp16_overflow 0
		.amdhsa_workgroup_processor_mode 1
		.amdhsa_memory_ordered 1
		.amdhsa_forward_progress 1
		.amdhsa_shared_vgpr_count 0
		.amdhsa_exception_fp_ieee_invalid_op 0
		.amdhsa_exception_fp_denorm_src 0
		.amdhsa_exception_fp_ieee_div_zero 0
		.amdhsa_exception_fp_ieee_overflow 0
		.amdhsa_exception_fp_ieee_underflow 0
		.amdhsa_exception_fp_ieee_inexact 0
		.amdhsa_exception_int_div_zero 0
	.end_amdhsa_kernel
	.section	.text._ZL29rocblas_internal_gemmt_kernelIiLi16ELi32ELi8ELc84ELc84ELc76ELb0ELb0E19rocblas_complex_numIfES1_PKPKS1_PKPS1_EviT_T9_T10_S9_lSB_S9_lSA_T11_S9_li,"axG",@progbits,_ZL29rocblas_internal_gemmt_kernelIiLi16ELi32ELi8ELc84ELc84ELc76ELb0ELb0E19rocblas_complex_numIfES1_PKPKS1_PKPS1_EviT_T9_T10_S9_lSB_S9_lSA_T11_S9_li,comdat
.Lfunc_end391:
	.size	_ZL29rocblas_internal_gemmt_kernelIiLi16ELi32ELi8ELc84ELc84ELc76ELb0ELb0E19rocblas_complex_numIfES1_PKPKS1_PKPS1_EviT_T9_T10_S9_lSB_S9_lSA_T11_S9_li, .Lfunc_end391-_ZL29rocblas_internal_gemmt_kernelIiLi16ELi32ELi8ELc84ELc84ELc76ELb0ELb0E19rocblas_complex_numIfES1_PKPKS1_PKPS1_EviT_T9_T10_S9_lSB_S9_lSA_T11_S9_li
                                        ; -- End function
	.set _ZL29rocblas_internal_gemmt_kernelIiLi16ELi32ELi8ELc84ELc84ELc76ELb0ELb0E19rocblas_complex_numIfES1_PKPKS1_PKPS1_EviT_T9_T10_S9_lSB_S9_lSA_T11_S9_li.num_vgpr, 59
	.set _ZL29rocblas_internal_gemmt_kernelIiLi16ELi32ELi8ELc84ELc84ELc76ELb0ELb0E19rocblas_complex_numIfES1_PKPKS1_PKPS1_EviT_T9_T10_S9_lSB_S9_lSA_T11_S9_li.num_agpr, 0
	.set _ZL29rocblas_internal_gemmt_kernelIiLi16ELi32ELi8ELc84ELc84ELc76ELb0ELb0E19rocblas_complex_numIfES1_PKPKS1_PKPS1_EviT_T9_T10_S9_lSB_S9_lSA_T11_S9_li.numbered_sgpr, 27
	.set _ZL29rocblas_internal_gemmt_kernelIiLi16ELi32ELi8ELc84ELc84ELc76ELb0ELb0E19rocblas_complex_numIfES1_PKPKS1_PKPS1_EviT_T9_T10_S9_lSB_S9_lSA_T11_S9_li.num_named_barrier, 0
	.set _ZL29rocblas_internal_gemmt_kernelIiLi16ELi32ELi8ELc84ELc84ELc76ELb0ELb0E19rocblas_complex_numIfES1_PKPKS1_PKPS1_EviT_T9_T10_S9_lSB_S9_lSA_T11_S9_li.private_seg_size, 0
	.set _ZL29rocblas_internal_gemmt_kernelIiLi16ELi32ELi8ELc84ELc84ELc76ELb0ELb0E19rocblas_complex_numIfES1_PKPKS1_PKPS1_EviT_T9_T10_S9_lSB_S9_lSA_T11_S9_li.uses_vcc, 1
	.set _ZL29rocblas_internal_gemmt_kernelIiLi16ELi32ELi8ELc84ELc84ELc76ELb0ELb0E19rocblas_complex_numIfES1_PKPKS1_PKPS1_EviT_T9_T10_S9_lSB_S9_lSA_T11_S9_li.uses_flat_scratch, 0
	.set _ZL29rocblas_internal_gemmt_kernelIiLi16ELi32ELi8ELc84ELc84ELc76ELb0ELb0E19rocblas_complex_numIfES1_PKPKS1_PKPS1_EviT_T9_T10_S9_lSB_S9_lSA_T11_S9_li.has_dyn_sized_stack, 0
	.set _ZL29rocblas_internal_gemmt_kernelIiLi16ELi32ELi8ELc84ELc84ELc76ELb0ELb0E19rocblas_complex_numIfES1_PKPKS1_PKPS1_EviT_T9_T10_S9_lSB_S9_lSA_T11_S9_li.has_recursion, 0
	.set _ZL29rocblas_internal_gemmt_kernelIiLi16ELi32ELi8ELc84ELc84ELc76ELb0ELb0E19rocblas_complex_numIfES1_PKPKS1_PKPS1_EviT_T9_T10_S9_lSB_S9_lSA_T11_S9_li.has_indirect_call, 0
	.section	.AMDGPU.csdata,"",@progbits
; Kernel info:
; codeLenInByte = 2524
; TotalNumSgprs: 29
; NumVgprs: 59
; ScratchSize: 0
; MemoryBound: 1
; FloatMode: 240
; IeeeMode: 1
; LDSByteSize: 4096 bytes/workgroup (compile time only)
; SGPRBlocks: 0
; VGPRBlocks: 7
; NumSGPRsForWavesPerEU: 29
; NumVGPRsForWavesPerEU: 59
; Occupancy: 16
; WaveLimiterHint : 1
; COMPUTE_PGM_RSRC2:SCRATCH_EN: 0
; COMPUTE_PGM_RSRC2:USER_SGPR: 6
; COMPUTE_PGM_RSRC2:TRAP_HANDLER: 0
; COMPUTE_PGM_RSRC2:TGID_X_EN: 1
; COMPUTE_PGM_RSRC2:TGID_Y_EN: 1
; COMPUTE_PGM_RSRC2:TGID_Z_EN: 1
; COMPUTE_PGM_RSRC2:TIDIG_COMP_CNT: 1
	.section	.text._ZL29rocblas_internal_gemmt_kernelIiLi16ELi32ELi8ELc84ELc67ELc76ELb0ELb1E19rocblas_complex_numIfES1_PKPKS1_PKPS1_EviT_T9_T10_S9_lSB_S9_lSA_T11_S9_li,"axG",@progbits,_ZL29rocblas_internal_gemmt_kernelIiLi16ELi32ELi8ELc84ELc67ELc76ELb0ELb1E19rocblas_complex_numIfES1_PKPKS1_PKPS1_EviT_T9_T10_S9_lSB_S9_lSA_T11_S9_li,comdat
	.globl	_ZL29rocblas_internal_gemmt_kernelIiLi16ELi32ELi8ELc84ELc67ELc76ELb0ELb1E19rocblas_complex_numIfES1_PKPKS1_PKPS1_EviT_T9_T10_S9_lSB_S9_lSA_T11_S9_li ; -- Begin function _ZL29rocblas_internal_gemmt_kernelIiLi16ELi32ELi8ELc84ELc67ELc76ELb0ELb1E19rocblas_complex_numIfES1_PKPKS1_PKPS1_EviT_T9_T10_S9_lSB_S9_lSA_T11_S9_li
	.p2align	8
	.type	_ZL29rocblas_internal_gemmt_kernelIiLi16ELi32ELi8ELc84ELc67ELc76ELb0ELb1E19rocblas_complex_numIfES1_PKPKS1_PKPS1_EviT_T9_T10_S9_lSB_S9_lSA_T11_S9_li,@function
_ZL29rocblas_internal_gemmt_kernelIiLi16ELi32ELi8ELc84ELc67ELc76ELb0ELb1E19rocblas_complex_numIfES1_PKPKS1_PKPS1_EviT_T9_T10_S9_lSB_S9_lSA_T11_S9_li: ; @_ZL29rocblas_internal_gemmt_kernelIiLi16ELi32ELi8ELc84ELc67ELc76ELb0ELb1E19rocblas_complex_numIfES1_PKPKS1_PKPS1_EviT_T9_T10_S9_lSB_S9_lSA_T11_S9_li
; %bb.0:
	s_clause 0x1
	s_load_dwordx2 s[10:11], s[4:5], 0x40
	s_load_dwordx4 s[12:15], s[4:5], 0x0
	s_waitcnt lgkmcnt(0)
	s_and_b32 s0, s11, 0x7fffffff
	v_cmp_eq_f32_e64 s1, s10, 1.0
	s_cmp_eq_u32 s0, 0
	s_mov_b32 s0, 0
	s_cselect_b32 s20, -1, 0
	s_and_b32 s1, s1, s20
	s_andn2_b32 vcc_lo, exec_lo, s1
	s_mov_b32 s1, -1
	s_cbranch_vccnz .LBB392_4
; %bb.1:
	s_cmp_lg_u32 s13, 0
	s_cbranch_scc0 .LBB392_3
; %bb.2:
	v_cmp_neq_f32_e64 s0, s14, 0
	v_cmp_neq_f32_e64 s1, s15, 0
	s_or_b32 s0, s0, s1
.LBB392_3:
	s_mov_b32 s1, s0
.LBB392_4:
	s_and_b32 vcc_lo, exec_lo, s1
	s_cbranch_vccz .LBB392_32
; %bb.5:
	s_load_dwordx2 s[2:3], s[4:5], 0x48
	s_mov_b32 s9, 0
	v_cmp_eq_f32_e64 s16, s14, 0
	s_lshl_b64 s[0:1], s[8:9], 3
	v_cmp_eq_f32_e64 s17, s15, 0
	v_mov_b32_e32 v20, 0
	v_mov_b32_e32 v21, 0
	;; [unrolled: 1-line block ×8, first 2 shown]
	s_waitcnt lgkmcnt(0)
	s_add_u32 s2, s2, s0
	s_addc_u32 s3, s3, s1
	s_lshl_b32 s8, s6, 5
	s_load_dwordx2 s[2:3], s[2:3], 0x0
	s_lshl_b32 s21, s7, 5
	s_and_b32 s6, s16, s17
	s_cmp_lt_i32 s13, 1
	s_cselect_b32 s7, -1, 0
	s_or_b32 s6, s6, s7
	s_and_b32 vcc_lo, exec_lo, s6
	s_cbranch_vccnz .LBB392_16
; %bb.6:
	s_clause 0x4
	s_load_dword s6, s[4:5], 0x30
	s_load_dwordx4 s[16:19], s[4:5], 0x20
	s_load_dword s26, s[4:5], 0x18
	s_load_dwordx2 s[22:23], s[4:5], 0x10
	s_load_dwordx2 s[24:25], s[4:5], 0x38
	v_lshl_add_u32 v2, v1, 4, v0
	v_and_b32_e32 v8, 7, v0
	v_lshlrev_b32_e32 v12, 3, v0
	v_lshl_add_u32 v13, v1, 6, 0x800
	v_mov_b32_e32 v17, 0
	v_and_b32_e32 v4, 31, v2
	v_lshrrev_b32_e32 v5, 3, v2
	v_lshlrev_b32_e32 v6, 3, v8
	v_lshrrev_b32_e32 v9, 5, v2
	v_mov_b32_e32 v16, 0
	v_or_b32_e32 v2, s8, v4
	v_lshlrev_b32_e32 v7, 3, v4
	v_add_nc_u32_e32 v4, s8, v4
	v_add_nc_u32_e32 v3, s21, v5
	v_lshl_or_b32 v11, v5, 6, v6
	s_waitcnt lgkmcnt(0)
	s_ashr_i32 s7, s6, 31
	s_add_u32 s18, s18, s0
	v_mad_i64_i32 v[5:6], null, s26, v4, 0
	s_addc_u32 s19, s19, s1
	s_add_u32 s0, s22, s0
	v_mad_i64_i32 v[14:15], null, s6, v8, 0
	s_addc_u32 s1, s23, s1
	s_load_dwordx2 s[18:19], s[18:19], 0x0
	s_load_dwordx2 s[22:23], s[0:1], 0x0
	v_lshlrev_b64 v[5:6], 3, v[5:6]
	v_ashrrev_i32_e32 v4, 31, v3
	s_lshl_b64 s[16:17], s[16:17], 3
	v_lshl_or_b32 v10, v9, 8, v7
	v_lshlrev_b64 v[14:15], 3, v[14:15]
	v_lshlrev_b32_e32 v7, 3, v9
	v_add_co_u32 v5, s1, v5, s16
	v_add_co_ci_u32_e64 v6, null, s17, v6, s1
	s_lshl_b64 s[16:17], s[24:25], 3
	v_cmp_gt_i32_e64 s0, s12, v3
	v_lshlrev_b64 v[3:4], 3, v[3:4]
	v_add_co_u32 v14, s1, v14, s16
	v_add_co_ci_u32_e64 v15, null, s17, v15, s1
	v_add_co_u32 v5, s1, v5, v7
	v_add_co_ci_u32_e64 v6, null, 0, v6, s1
	;; [unrolled: 2-line block ×3, first 2 shown]
	s_waitcnt lgkmcnt(0)
	v_add_co_u32 v4, s1, s22, v5
	v_cmp_gt_i32_e32 vcc_lo, s12, v2
	v_add_co_ci_u32_e64 v5, null, s23, v6, s1
	v_add_co_u32 v6, s1, s18, v3
	v_add_nc_u32_e32 v11, 0x800, v11
	v_mov_b32_e32 v2, 0
	v_add_co_ci_u32_e64 v7, null, s19, v7, s1
	v_mov_b32_e32 v15, 0
	v_mov_b32_e32 v14, 0
	;; [unrolled: 1-line block ×6, first 2 shown]
	s_lshl_b64 s[6:7], s[6:7], 6
	s_xor_b32 s1, vcc_lo, -1
	s_xor_b32 s0, s0, -1
	s_branch .LBB392_8
.LBB392_7:                              ;   in Loop: Header=BB392_8 Depth=1
	s_or_b32 exec_lo, exec_lo, s16
	ds_write_b32 v11, v3 offset:4
	s_waitcnt lgkmcnt(0)
	s_barrier
	buffer_gl0_inv
	ds_read_b128 v[22:25], v13
	ds_read2_b64 v[26:29], v12 offset1:16
	ds_read_b128 v[30:33], v13 offset:1024
	ds_read_b128 v[34:37], v13 offset:16
	;; [unrolled: 1-line block ×4, first 2 shown]
	ds_read2_b64 v[46:49], v12 offset0:32 offset1:48
	ds_read_b128 v[50:53], v13 offset:1040
	v_add_co_u32 v4, vcc_lo, v4, 64
	v_add_co_ci_u32_e64 v5, null, 0, v5, vcc_lo
	v_add_co_u32 v6, vcc_lo, v6, s6
	v_add_co_ci_u32_e64 v7, null, s7, v7, vcc_lo
	s_add_i32 s9, s9, 8
	s_cmp_lt_i32 s9, s13
	s_waitcnt lgkmcnt(6)
	v_mul_f32_e32 v3, v23, v27
	v_mul_f32_e32 v54, v22, v27
	;; [unrolled: 1-line block ×4, first 2 shown]
	s_waitcnt lgkmcnt(5)
	v_mul_f32_e32 v57, v31, v27
	v_mul_f32_e32 v27, v30, v27
	;; [unrolled: 1-line block ×3, first 2 shown]
	v_fma_f32 v3, v22, v26, -v3
	v_fmac_f32_e32 v54, v23, v26
	v_fma_f32 v22, v22, v28, -v55
	v_fmac_f32_e32 v56, v23, v28
	;; [unrolled: 2-line block ×3, first 2 shown]
	v_mul_f32_e32 v29, v30, v29
	v_fma_f32 v26, v30, v28, -v58
	v_add_f32_e32 v3, v20, v3
	v_add_f32_e32 v20, v21, v54
	;; [unrolled: 1-line block ×6, first 2 shown]
	s_waitcnt lgkmcnt(1)
	v_mul_f32_e32 v30, v25, v47
	ds_read2_b64 v[16:19], v12 offset0:64 offset1:80
	v_fmac_f32_e32 v29, v31, v28
	v_add_f32_e32 v14, v14, v26
	v_mul_f32_e32 v26, v24, v47
	v_fma_f32 v28, v24, v46, -v30
	v_mul_f32_e32 v30, v25, v49
	v_add_f32_e32 v15, v15, v29
	v_mul_f32_e32 v29, v24, v49
	v_fmac_f32_e32 v26, v25, v46
	v_add_f32_e32 v3, v3, v28
	v_fma_f32 v24, v24, v48, -v30
	v_mul_f32_e32 v28, v33, v47
	v_fmac_f32_e32 v29, v25, v48
	v_add_f32_e32 v26, v20, v26
	v_mul_f32_e32 v20, v32, v47
	v_add_f32_e32 v24, v21, v24
	v_fma_f32 v21, v32, v46, -v28
	v_mul_f32_e32 v25, v33, v49
	v_add_f32_e32 v28, v22, v29
	v_fmac_f32_e32 v20, v33, v46
	v_mul_f32_e32 v29, v32, v49
	v_add_f32_e32 v30, v23, v21
	v_fma_f32 v21, v32, v48, -v25
	s_waitcnt lgkmcnt(0)
	v_mul_f32_e32 v22, v35, v17
	v_add_f32_e32 v25, v27, v20
	v_fmac_f32_e32 v29, v33, v48
	v_mul_f32_e32 v27, v34, v17
	v_add_f32_e32 v14, v14, v21
	v_fma_f32 v31, v34, v16, -v22
	v_mul_f32_e32 v32, v35, v19
	ds_read2_b64 v[20:23], v12 offset0:96 offset1:112
	v_fmac_f32_e32 v27, v35, v16
	v_add_f32_e32 v29, v15, v29
	v_add_f32_e32 v3, v3, v31
	v_mul_f32_e32 v15, v34, v19
	v_fma_f32 v31, v34, v18, -v32
	v_add_f32_e32 v26, v26, v27
	v_mul_f32_e32 v27, v51, v17
	v_mul_f32_e32 v17, v50, v17
	v_fmac_f32_e32 v15, v35, v18
	v_add_f32_e32 v24, v24, v31
	v_mul_f32_e32 v31, v51, v19
	v_mul_f32_e32 v19, v50, v19
	v_fmac_f32_e32 v17, v51, v16
	v_add_f32_e32 v28, v28, v15
	v_fma_f32 v27, v50, v16, -v27
	v_fma_f32 v15, v50, v18, -v31
	v_fmac_f32_e32 v19, v51, v18
	v_add_f32_e32 v31, v25, v17
	s_waitcnt lgkmcnt(0)
	v_mul_f32_e32 v18, v37, v21
	v_add_f32_e32 v32, v14, v15
	ds_read2_b64 v[14:17], v12 offset0:128 offset1:144
	v_add_f32_e32 v30, v30, v27
	v_mul_f32_e32 v25, v36, v21
	v_fma_f32 v18, v36, v20, -v18
	v_mul_f32_e32 v27, v37, v23
	v_add_f32_e32 v29, v29, v19
	v_mul_f32_e32 v19, v36, v23
	v_fmac_f32_e32 v25, v37, v20
	v_add_f32_e32 v3, v3, v18
	v_mul_f32_e32 v18, v53, v21
	v_fma_f32 v27, v36, v22, -v27
	v_fmac_f32_e32 v19, v37, v22
	v_mul_f32_e32 v21, v52, v21
	v_mul_f32_e32 v35, v53, v23
	v_fma_f32 v18, v52, v20, -v18
	v_add_f32_e32 v33, v26, v25
	v_add_f32_e32 v34, v24, v27
	ds_read_b128 v[24:27], v13 offset:1056
	v_add_f32_e32 v36, v28, v19
	v_fmac_f32_e32 v21, v53, v20
	v_mul_f32_e32 v23, v52, v23
	v_fma_f32 v19, v52, v22, -v35
	v_add_f32_e32 v35, v30, v18
	s_waitcnt lgkmcnt(1)
	v_mul_f32_e32 v18, v39, v15
	v_add_f32_e32 v37, v31, v21
	v_fmac_f32_e32 v23, v53, v22
	v_add_f32_e32 v22, v32, v19
	v_mul_f32_e32 v32, v38, v15
	v_fma_f32 v28, v38, v14, -v18
	ds_read2_b64 v[18:21], v12 offset0:160 offset1:176
	v_mul_f32_e32 v30, v39, v17
	v_mul_f32_e32 v46, v38, v17
	v_fmac_f32_e32 v32, v39, v14
	v_add_f32_e32 v23, v29, v23
	v_add_f32_e32 v3, v3, v28
	v_fma_f32 v38, v38, v16, -v30
	ds_read_b128 v[28:31], v13 offset:1072
	s_waitcnt lgkmcnt(2)
	v_mul_f32_e32 v47, v25, v15
	v_add_f32_e32 v32, v33, v32
	v_mul_f32_e32 v15, v24, v15
	v_add_f32_e32 v33, v34, v38
	v_mul_f32_e32 v38, v25, v17
	v_fmac_f32_e32 v46, v39, v16
	v_fma_f32 v34, v24, v14, -v47
	v_fmac_f32_e32 v15, v25, v14
	v_mul_f32_e32 v39, v24, v17
	v_fma_f32 v14, v24, v16, -v38
	v_add_f32_e32 v36, v36, v46
	v_add_f32_e32 v34, v35, v34
	s_waitcnt lgkmcnt(1)
	v_mul_f32_e32 v17, v41, v19
	v_add_f32_e32 v24, v37, v15
	v_fmac_f32_e32 v39, v25, v16
	v_mul_f32_e32 v25, v40, v19
	v_add_f32_e32 v22, v22, v14
	v_fma_f32 v35, v40, v18, -v17
	ds_read2_b64 v[14:17], v12 offset0:192 offset1:208
	v_mul_f32_e32 v37, v41, v21
	v_fmac_f32_e32 v25, v41, v18
	v_add_f32_e32 v38, v23, v39
	v_add_f32_e32 v3, v3, v35
	v_mul_f32_e32 v23, v40, v21
	v_fma_f32 v35, v40, v20, -v37
	v_add_f32_e32 v32, v32, v25
	v_mul_f32_e32 v25, v27, v19
	v_mul_f32_e32 v19, v26, v19
	v_fmac_f32_e32 v23, v41, v20
	v_add_f32_e32 v33, v33, v35
	v_mul_f32_e32 v35, v27, v21
	v_fma_f32 v25, v26, v18, -v25
	v_fmac_f32_e32 v19, v27, v18
	v_add_f32_e32 v18, v36, v23
	v_mul_f32_e32 v21, v26, v21
	v_fma_f32 v23, v26, v20, -v35
	v_add_f32_e32 v26, v34, v25
	v_add_f32_e32 v19, v24, v19
	s_waitcnt lgkmcnt(0)
	v_mul_f32_e32 v34, v43, v15
	v_fmac_f32_e32 v21, v27, v20
	v_add_f32_e32 v20, v22, v23
	ds_read2_b64 v[22:25], v12 offset0:224 offset1:240
	v_mul_f32_e32 v27, v42, v15
	v_fma_f32 v34, v42, v14, -v34
	v_mul_f32_e32 v35, v43, v17
	v_mul_f32_e32 v36, v42, v17
	v_add_f32_e32 v21, v38, v21
	v_fmac_f32_e32 v27, v43, v14
	v_add_f32_e32 v3, v3, v34
	v_mul_f32_e32 v34, v29, v15
	v_fma_f32 v35, v42, v16, -v35
	v_fmac_f32_e32 v36, v43, v16
	v_add_f32_e32 v27, v32, v27
	v_mul_f32_e32 v15, v28, v15
	v_fma_f32 v32, v28, v14, -v34
	v_mul_f32_e32 v34, v29, v17
	v_add_f32_e32 v33, v33, v35
	v_add_f32_e32 v35, v18, v36
	v_fmac_f32_e32 v15, v29, v14
	v_add_f32_e32 v14, v26, v32
	v_mul_f32_e32 v17, v28, v17
	v_fma_f32 v18, v28, v16, -v34
	s_waitcnt lgkmcnt(0)
	v_mul_f32_e32 v26, v45, v23
	v_mul_f32_e32 v28, v44, v23
	v_add_f32_e32 v15, v19, v15
	v_fmac_f32_e32 v17, v29, v16
	v_add_f32_e32 v29, v20, v18
	v_fma_f32 v16, v44, v22, -v26
	v_mul_f32_e32 v18, v45, v25
	v_mul_f32_e32 v19, v44, v25
	v_add_f32_e32 v26, v21, v17
	v_mul_f32_e32 v17, v30, v23
	v_add_f32_e32 v20, v3, v16
	v_fma_f32 v3, v44, v24, -v18
	v_mul_f32_e32 v16, v31, v23
	v_mul_f32_e32 v23, v31, v25
	;; [unrolled: 1-line block ×3, first 2 shown]
	v_fmac_f32_e32 v28, v45, v22
	v_fmac_f32_e32 v19, v45, v24
	v_add_f32_e32 v18, v33, v3
	v_fma_f32 v3, v30, v22, -v16
	v_fmac_f32_e32 v17, v31, v22
	v_fma_f32 v22, v30, v24, -v23
	v_fmac_f32_e32 v25, v31, v24
	v_add_f32_e32 v21, v27, v28
	v_add_f32_e32 v19, v35, v19
	;; [unrolled: 1-line block ×6, first 2 shown]
	s_barrier
	buffer_gl0_inv
	s_cbranch_scc0 .LBB392_16
.LBB392_8:                              ; =>This Inner Loop Header: Depth=1
	v_add_nc_u32_e32 v3, s9, v9
	v_cmp_le_i32_e32 vcc_lo, s13, v3
	s_or_b32 s16, s1, vcc_lo
	s_and_saveexec_b32 s17, s16
	s_xor_b32 s16, exec_lo, s17
; %bb.9:                                ;   in Loop: Header=BB392_8 Depth=1
	v_mov_b32_e32 v3, v2
	ds_write_b64 v10, v[2:3]
; %bb.10:                               ;   in Loop: Header=BB392_8 Depth=1
	s_andn2_saveexec_b32 s16, s16
	s_cbranch_execz .LBB392_12
; %bb.11:                               ;   in Loop: Header=BB392_8 Depth=1
	flat_load_dwordx2 v[22:23], v[4:5]
	s_waitcnt vmcnt(0) lgkmcnt(0)
	ds_write_b64 v10, v[22:23]
.LBB392_12:                             ;   in Loop: Header=BB392_8 Depth=1
	s_or_b32 exec_lo, exec_lo, s16
	v_add_nc_u32_e32 v3, s9, v8
	v_cmp_le_i32_e32 vcc_lo, s13, v3
	s_or_b32 s16, vcc_lo, s0
	s_and_saveexec_b32 s17, s16
	s_xor_b32 s16, exec_lo, s17
; %bb.13:                               ;   in Loop: Header=BB392_8 Depth=1
	ds_write_b32 v11, v2
; %bb.14:                               ;   in Loop: Header=BB392_8 Depth=1
	s_or_saveexec_b32 s16, s16
	v_mov_b32_e32 v3, 0
	s_xor_b32 exec_lo, exec_lo, s16
	s_cbranch_execz .LBB392_7
; %bb.15:                               ;   in Loop: Header=BB392_8 Depth=1
	flat_load_dwordx2 v[22:23], v[6:7]
	s_waitcnt vmcnt(0) lgkmcnt(0)
	v_xor_b32_e32 v3, 0x80000000, v23
	ds_write_b32 v11, v22
	s_branch .LBB392_7
.LBB392_16:
	s_clause 0x1
	s_load_dword s6, s[4:5], 0x50
	s_load_dwordx2 s[4:5], s[4:5], 0x58
	v_add_nc_u32_e32 v9, s21, v1
	v_add_nc_u32_e32 v0, s8, v0
	v_cmp_neq_f32_e64 s7, s10, 0
	v_cmp_le_i32_e32 vcc_lo, v9, v0
	v_cmp_gt_i32_e64 s0, s12, v0
	s_waitcnt lgkmcnt(0)
	v_mad_i64_i32 v[1:2], null, v9, s6, 0
	s_lshl_b64 s[4:5], s[4:5], 3
	s_add_u32 s4, s2, s4
	s_addc_u32 s3, s3, s5
	s_xor_b32 s2, s20, -1
	s_and_b32 s5, vcc_lo, s0
	v_lshlrev_b64 v[2:3], 3, v[1:2]
	s_or_b32 s2, s7, s2
	v_ashrrev_i32_e32 v1, 31, v0
	v_cndmask_b32_e64 v8, 0, 1, s2
	v_add_co_u32 v6, s1, s4, v2
	v_add_co_ci_u32_e64 v7, null, s3, v3, s1
	s_and_saveexec_b32 s1, s5
	s_cbranch_execz .LBB392_20
; %bb.17:
	v_lshlrev_b64 v[4:5], 3, v[0:1]
	v_mul_f32_e32 v2, s15, v21
	v_mul_f32_e32 v3, s14, v21
	v_fma_f32 v2, v20, s14, -v2
	v_add_co_u32 v4, vcc_lo, v6, v4
	v_fmac_f32_e32 v3, s15, v20
	v_add_co_ci_u32_e64 v5, null, v7, v5, vcc_lo
	s_andn2_b32 vcc_lo, exec_lo, s2
	s_cbranch_vccnz .LBB392_19
; %bb.18:
	flat_load_dwordx2 v[10:11], v[4:5]
	s_waitcnt vmcnt(0) lgkmcnt(0)
	v_mul_f32_e32 v12, s11, v11
	v_mul_f32_e32 v11, s10, v11
	v_fma_f32 v12, v10, s10, -v12
	v_fmac_f32_e32 v11, s11, v10
	v_add_f32_e32 v2, v2, v12
	v_add_f32_e32 v3, v3, v11
.LBB392_19:
	flat_store_dwordx2 v[4:5], v[2:3]
.LBB392_20:
	s_or_b32 exec_lo, exec_lo, s1
	v_add_nc_u32_e32 v2, 16, v0
	v_cmp_le_i32_e32 vcc_lo, v9, v2
	v_cmp_gt_i32_e64 s1, s12, v2
	v_ashrrev_i32_e32 v3, 31, v2
	s_and_b32 s2, vcc_lo, s1
	s_and_saveexec_b32 s5, s2
	s_cbranch_execz .LBB392_24
; %bb.21:
	v_lshlrev_b64 v[10:11], 3, v[2:3]
	v_mul_f32_e32 v4, s15, v19
	v_mul_f32_e32 v5, s14, v19
	v_cmp_ne_u32_e32 vcc_lo, 1, v8
	v_fma_f32 v4, v18, s14, -v4
	v_add_co_u32 v6, s2, v6, v10
	v_fmac_f32_e32 v5, s15, v18
	v_add_co_ci_u32_e64 v7, null, v7, v11, s2
	s_cbranch_vccnz .LBB392_23
; %bb.22:
	flat_load_dwordx2 v[10:11], v[6:7]
	s_waitcnt vmcnt(0) lgkmcnt(0)
	v_mul_f32_e32 v12, s11, v11
	v_mul_f32_e32 v11, s10, v11
	v_fma_f32 v12, v10, s10, -v12
	v_fmac_f32_e32 v11, s11, v10
	v_add_f32_e32 v4, v4, v12
	v_add_f32_e32 v5, v5, v11
.LBB392_23:
	flat_store_dwordx2 v[6:7], v[4:5]
.LBB392_24:
	s_or_b32 exec_lo, exec_lo, s5
	v_add_nc_u32_e32 v9, 16, v9
	v_mad_i64_i32 v[4:5], null, v9, s6, 0
	v_cmp_le_i32_e32 vcc_lo, v9, v0
	s_and_b32 s0, vcc_lo, s0
	v_lshlrev_b64 v[4:5], 3, v[4:5]
	v_add_co_u32 v6, s2, s4, v4
	v_add_co_ci_u32_e64 v7, null, s3, v5, s2
	s_and_saveexec_b32 s2, s0
	s_cbranch_execz .LBB392_28
; %bb.25:
	v_lshlrev_b64 v[0:1], 3, v[0:1]
	v_mul_f32_e32 v4, s15, v17
	v_mul_f32_e32 v5, s14, v17
	v_cmp_ne_u32_e32 vcc_lo, 1, v8
	v_fma_f32 v4, v16, s14, -v4
	v_add_co_u32 v0, s0, v6, v0
	v_fmac_f32_e32 v5, s15, v16
	v_add_co_ci_u32_e64 v1, null, v7, v1, s0
	s_cbranch_vccnz .LBB392_27
; %bb.26:
	flat_load_dwordx2 v[10:11], v[0:1]
	s_waitcnt vmcnt(0) lgkmcnt(0)
	v_mul_f32_e32 v12, s11, v11
	v_mul_f32_e32 v11, s10, v11
	v_fma_f32 v12, v10, s10, -v12
	v_fmac_f32_e32 v11, s11, v10
	v_add_f32_e32 v4, v4, v12
	v_add_f32_e32 v5, v5, v11
.LBB392_27:
	flat_store_dwordx2 v[0:1], v[4:5]
.LBB392_28:
	s_or_b32 exec_lo, exec_lo, s2
	v_cmp_le_i32_e32 vcc_lo, v9, v2
	s_and_b32 s0, vcc_lo, s1
	s_and_saveexec_b32 s1, s0
	s_cbranch_execz .LBB392_32
; %bb.29:
	v_lshlrev_b64 v[2:3], 3, v[2:3]
	v_mul_f32_e32 v0, s15, v15
	v_mul_f32_e32 v1, s14, v15
	v_cmp_ne_u32_e32 vcc_lo, 1, v8
	v_fma_f32 v0, v14, s14, -v0
	v_add_co_u32 v2, s0, v6, v2
	v_fmac_f32_e32 v1, s15, v14
	v_add_co_ci_u32_e64 v3, null, v7, v3, s0
	s_cbranch_vccnz .LBB392_31
; %bb.30:
	flat_load_dwordx2 v[4:5], v[2:3]
	s_waitcnt vmcnt(0) lgkmcnt(0)
	v_mul_f32_e32 v6, s11, v5
	v_mul_f32_e32 v5, s10, v5
	v_fma_f32 v6, v4, s10, -v6
	v_fmac_f32_e32 v5, s11, v4
	v_add_f32_e32 v0, v0, v6
	v_add_f32_e32 v1, v1, v5
.LBB392_31:
	flat_store_dwordx2 v[2:3], v[0:1]
.LBB392_32:
	s_endpgm
	.section	.rodata,"a",@progbits
	.p2align	6, 0x0
	.amdhsa_kernel _ZL29rocblas_internal_gemmt_kernelIiLi16ELi32ELi8ELc84ELc67ELc76ELb0ELb1E19rocblas_complex_numIfES1_PKPKS1_PKPS1_EviT_T9_T10_S9_lSB_S9_lSA_T11_S9_li
		.amdhsa_group_segment_fixed_size 4096
		.amdhsa_private_segment_fixed_size 0
		.amdhsa_kernarg_size 100
		.amdhsa_user_sgpr_count 6
		.amdhsa_user_sgpr_private_segment_buffer 1
		.amdhsa_user_sgpr_dispatch_ptr 0
		.amdhsa_user_sgpr_queue_ptr 0
		.amdhsa_user_sgpr_kernarg_segment_ptr 1
		.amdhsa_user_sgpr_dispatch_id 0
		.amdhsa_user_sgpr_flat_scratch_init 0
		.amdhsa_user_sgpr_private_segment_size 0
		.amdhsa_wavefront_size32 1
		.amdhsa_uses_dynamic_stack 0
		.amdhsa_system_sgpr_private_segment_wavefront_offset 0
		.amdhsa_system_sgpr_workgroup_id_x 1
		.amdhsa_system_sgpr_workgroup_id_y 1
		.amdhsa_system_sgpr_workgroup_id_z 1
		.amdhsa_system_sgpr_workgroup_info 0
		.amdhsa_system_vgpr_workitem_id 1
		.amdhsa_next_free_vgpr 59
		.amdhsa_next_free_sgpr 27
		.amdhsa_reserve_vcc 1
		.amdhsa_reserve_flat_scratch 0
		.amdhsa_float_round_mode_32 0
		.amdhsa_float_round_mode_16_64 0
		.amdhsa_float_denorm_mode_32 3
		.amdhsa_float_denorm_mode_16_64 3
		.amdhsa_dx10_clamp 1
		.amdhsa_ieee_mode 1
		.amdhsa_fp16_overflow 0
		.amdhsa_workgroup_processor_mode 1
		.amdhsa_memory_ordered 1
		.amdhsa_forward_progress 1
		.amdhsa_shared_vgpr_count 0
		.amdhsa_exception_fp_ieee_invalid_op 0
		.amdhsa_exception_fp_denorm_src 0
		.amdhsa_exception_fp_ieee_div_zero 0
		.amdhsa_exception_fp_ieee_overflow 0
		.amdhsa_exception_fp_ieee_underflow 0
		.amdhsa_exception_fp_ieee_inexact 0
		.amdhsa_exception_int_div_zero 0
	.end_amdhsa_kernel
	.section	.text._ZL29rocblas_internal_gemmt_kernelIiLi16ELi32ELi8ELc84ELc67ELc76ELb0ELb1E19rocblas_complex_numIfES1_PKPKS1_PKPS1_EviT_T9_T10_S9_lSB_S9_lSA_T11_S9_li,"axG",@progbits,_ZL29rocblas_internal_gemmt_kernelIiLi16ELi32ELi8ELc84ELc67ELc76ELb0ELb1E19rocblas_complex_numIfES1_PKPKS1_PKPS1_EviT_T9_T10_S9_lSB_S9_lSA_T11_S9_li,comdat
.Lfunc_end392:
	.size	_ZL29rocblas_internal_gemmt_kernelIiLi16ELi32ELi8ELc84ELc67ELc76ELb0ELb1E19rocblas_complex_numIfES1_PKPKS1_PKPS1_EviT_T9_T10_S9_lSB_S9_lSA_T11_S9_li, .Lfunc_end392-_ZL29rocblas_internal_gemmt_kernelIiLi16ELi32ELi8ELc84ELc67ELc76ELb0ELb1E19rocblas_complex_numIfES1_PKPKS1_PKPS1_EviT_T9_T10_S9_lSB_S9_lSA_T11_S9_li
                                        ; -- End function
	.set _ZL29rocblas_internal_gemmt_kernelIiLi16ELi32ELi8ELc84ELc67ELc76ELb0ELb1E19rocblas_complex_numIfES1_PKPKS1_PKPS1_EviT_T9_T10_S9_lSB_S9_lSA_T11_S9_li.num_vgpr, 59
	.set _ZL29rocblas_internal_gemmt_kernelIiLi16ELi32ELi8ELc84ELc67ELc76ELb0ELb1E19rocblas_complex_numIfES1_PKPKS1_PKPS1_EviT_T9_T10_S9_lSB_S9_lSA_T11_S9_li.num_agpr, 0
	.set _ZL29rocblas_internal_gemmt_kernelIiLi16ELi32ELi8ELc84ELc67ELc76ELb0ELb1E19rocblas_complex_numIfES1_PKPKS1_PKPS1_EviT_T9_T10_S9_lSB_S9_lSA_T11_S9_li.numbered_sgpr, 27
	.set _ZL29rocblas_internal_gemmt_kernelIiLi16ELi32ELi8ELc84ELc67ELc76ELb0ELb1E19rocblas_complex_numIfES1_PKPKS1_PKPS1_EviT_T9_T10_S9_lSB_S9_lSA_T11_S9_li.num_named_barrier, 0
	.set _ZL29rocblas_internal_gemmt_kernelIiLi16ELi32ELi8ELc84ELc67ELc76ELb0ELb1E19rocblas_complex_numIfES1_PKPKS1_PKPS1_EviT_T9_T10_S9_lSB_S9_lSA_T11_S9_li.private_seg_size, 0
	.set _ZL29rocblas_internal_gemmt_kernelIiLi16ELi32ELi8ELc84ELc67ELc76ELb0ELb1E19rocblas_complex_numIfES1_PKPKS1_PKPS1_EviT_T9_T10_S9_lSB_S9_lSA_T11_S9_li.uses_vcc, 1
	.set _ZL29rocblas_internal_gemmt_kernelIiLi16ELi32ELi8ELc84ELc67ELc76ELb0ELb1E19rocblas_complex_numIfES1_PKPKS1_PKPS1_EviT_T9_T10_S9_lSB_S9_lSA_T11_S9_li.uses_flat_scratch, 0
	.set _ZL29rocblas_internal_gemmt_kernelIiLi16ELi32ELi8ELc84ELc67ELc76ELb0ELb1E19rocblas_complex_numIfES1_PKPKS1_PKPS1_EviT_T9_T10_S9_lSB_S9_lSA_T11_S9_li.has_dyn_sized_stack, 0
	.set _ZL29rocblas_internal_gemmt_kernelIiLi16ELi32ELi8ELc84ELc67ELc76ELb0ELb1E19rocblas_complex_numIfES1_PKPKS1_PKPS1_EviT_T9_T10_S9_lSB_S9_lSA_T11_S9_li.has_recursion, 0
	.set _ZL29rocblas_internal_gemmt_kernelIiLi16ELi32ELi8ELc84ELc67ELc76ELb0ELb1E19rocblas_complex_numIfES1_PKPKS1_PKPS1_EviT_T9_T10_S9_lSB_S9_lSA_T11_S9_li.has_indirect_call, 0
	.section	.AMDGPU.csdata,"",@progbits
; Kernel info:
; codeLenInByte = 2544
; TotalNumSgprs: 29
; NumVgprs: 59
; ScratchSize: 0
; MemoryBound: 1
; FloatMode: 240
; IeeeMode: 1
; LDSByteSize: 4096 bytes/workgroup (compile time only)
; SGPRBlocks: 0
; VGPRBlocks: 7
; NumSGPRsForWavesPerEU: 29
; NumVGPRsForWavesPerEU: 59
; Occupancy: 16
; WaveLimiterHint : 1
; COMPUTE_PGM_RSRC2:SCRATCH_EN: 0
; COMPUTE_PGM_RSRC2:USER_SGPR: 6
; COMPUTE_PGM_RSRC2:TRAP_HANDLER: 0
; COMPUTE_PGM_RSRC2:TGID_X_EN: 1
; COMPUTE_PGM_RSRC2:TGID_Y_EN: 1
; COMPUTE_PGM_RSRC2:TGID_Z_EN: 1
; COMPUTE_PGM_RSRC2:TIDIG_COMP_CNT: 1
	.section	.text._ZL29rocblas_internal_gemmt_kernelIiLi16ELi32ELi8ELc67ELc78ELc76ELb1ELb0E19rocblas_complex_numIfES1_PKPKS1_PKPS1_EviT_T9_T10_S9_lSB_S9_lSA_T11_S9_li,"axG",@progbits,_ZL29rocblas_internal_gemmt_kernelIiLi16ELi32ELi8ELc67ELc78ELc76ELb1ELb0E19rocblas_complex_numIfES1_PKPKS1_PKPS1_EviT_T9_T10_S9_lSB_S9_lSA_T11_S9_li,comdat
	.globl	_ZL29rocblas_internal_gemmt_kernelIiLi16ELi32ELi8ELc67ELc78ELc76ELb1ELb0E19rocblas_complex_numIfES1_PKPKS1_PKPS1_EviT_T9_T10_S9_lSB_S9_lSA_T11_S9_li ; -- Begin function _ZL29rocblas_internal_gemmt_kernelIiLi16ELi32ELi8ELc67ELc78ELc76ELb1ELb0E19rocblas_complex_numIfES1_PKPKS1_PKPS1_EviT_T9_T10_S9_lSB_S9_lSA_T11_S9_li
	.p2align	8
	.type	_ZL29rocblas_internal_gemmt_kernelIiLi16ELi32ELi8ELc67ELc78ELc76ELb1ELb0E19rocblas_complex_numIfES1_PKPKS1_PKPS1_EviT_T9_T10_S9_lSB_S9_lSA_T11_S9_li,@function
_ZL29rocblas_internal_gemmt_kernelIiLi16ELi32ELi8ELc67ELc78ELc76ELb1ELb0E19rocblas_complex_numIfES1_PKPKS1_PKPS1_EviT_T9_T10_S9_lSB_S9_lSA_T11_S9_li: ; @_ZL29rocblas_internal_gemmt_kernelIiLi16ELi32ELi8ELc67ELc78ELc76ELb1ELb0E19rocblas_complex_numIfES1_PKPKS1_PKPS1_EviT_T9_T10_S9_lSB_S9_lSA_T11_S9_li
; %bb.0:
	s_clause 0x1
	s_load_dwordx2 s[10:11], s[4:5], 0x40
	s_load_dwordx4 s[12:15], s[4:5], 0x0
	s_waitcnt lgkmcnt(0)
	s_and_b32 s0, s11, 0x7fffffff
	v_cmp_eq_f32_e64 s1, s10, 1.0
	s_cmp_eq_u32 s0, 0
	s_mov_b32 s0, 0
	s_cselect_b32 s20, -1, 0
	s_and_b32 s1, s1, s20
	s_andn2_b32 vcc_lo, exec_lo, s1
	s_mov_b32 s1, -1
	s_cbranch_vccnz .LBB393_4
; %bb.1:
	s_cmp_lg_u32 s13, 0
	s_cbranch_scc0 .LBB393_3
; %bb.2:
	v_cmp_neq_f32_e64 s0, s14, 0
	v_cmp_neq_f32_e64 s1, s15, 0
	s_or_b32 s0, s0, s1
.LBB393_3:
	s_mov_b32 s1, s0
.LBB393_4:
	s_and_b32 vcc_lo, exec_lo, s1
	s_cbranch_vccz .LBB393_32
; %bb.5:
	s_load_dwordx2 s[2:3], s[4:5], 0x48
	s_mov_b32 s9, 0
	v_cmp_eq_f32_e64 s16, s14, 0
	s_lshl_b64 s[0:1], s[8:9], 3
	v_cmp_eq_f32_e64 s8, s15, 0
	v_mov_b32_e32 v20, 0
	v_mov_b32_e32 v21, 0
	;; [unrolled: 1-line block ×8, first 2 shown]
	s_waitcnt lgkmcnt(0)
	s_add_u32 s2, s2, s0
	s_addc_u32 s3, s3, s1
	s_lshl_b32 s6, s6, 5
	s_load_dwordx2 s[2:3], s[2:3], 0x0
	s_lshl_b32 s7, s7, 5
	s_and_b32 s8, s16, s8
	s_cmp_lt_i32 s13, 1
	s_cselect_b32 s16, -1, 0
	s_or_b32 s8, s8, s16
	s_and_b32 vcc_lo, exec_lo, s8
	s_cbranch_vccnz .LBB393_16
; %bb.6:
	s_clause 0x4
	s_load_dwordx4 s[16:19], s[4:5], 0x20
	s_load_dword s8, s[4:5], 0x18
	s_load_dwordx2 s[22:23], s[4:5], 0x10
	s_load_dword s21, s[4:5], 0x30
	s_load_dwordx2 s[24:25], s[4:5], 0x38
	v_lshl_add_u32 v2, v1, 4, v0
	v_and_b32_e32 v8, 7, v0
	v_lshlrev_b32_e32 v12, 3, v0
	v_lshl_add_u32 v13, v1, 6, 0x800
	v_mov_b32_e32 v15, 0
	v_and_b32_e32 v3, 31, v2
	v_lshrrev_b32_e32 v4, 3, v2
	v_lshrrev_b32_e32 v9, 5, v2
	v_lshlrev_b32_e32 v6, 3, v8
	v_mov_b32_e32 v17, 0
	v_or_b32_e32 v2, s6, v3
	v_lshlrev_b32_e32 v10, 3, v3
	v_add_nc_u32_e32 v3, s6, v3
	v_add_nc_u32_e32 v7, s7, v4
	v_lshl_or_b32 v11, v4, 6, v6
	v_cmp_gt_i32_e32 vcc_lo, s12, v2
	s_waitcnt lgkmcnt(0)
	s_add_u32 s18, s18, s0
	v_mad_i64_i32 v[2:3], null, s8, v3, 0
	s_addc_u32 s19, s19, s1
	s_add_u32 s0, s22, s0
	v_mad_i64_i32 v[4:5], null, s21, v7, 0
	s_addc_u32 s1, s23, s1
	s_load_dwordx2 s[18:19], s[18:19], 0x0
	s_load_dwordx2 s[22:23], s[0:1], 0x0
	v_lshlrev_b64 v[2:3], 3, v[2:3]
	s_lshl_b64 s[16:17], s[16:17], 3
	v_cmp_gt_i32_e64 s0, s12, v7
	v_lshlrev_b32_e32 v14, 3, v9
	v_lshlrev_b64 v[4:5], 3, v[4:5]
	v_lshl_or_b32 v10, v9, 8, v10
	v_add_co_u32 v7, s1, v2, s16
	v_add_co_ci_u32_e64 v3, null, s17, v3, s1
	s_lshl_b64 s[16:17], s[24:25], 3
	v_add_nc_u32_e32 v11, 0x800, v11
	v_add_co_u32 v4, s1, v4, s16
	v_add_co_ci_u32_e64 v5, null, s17, v5, s1
	v_add_co_u32 v7, s1, v7, v14
	v_add_co_ci_u32_e64 v3, null, 0, v3, s1
	;; [unrolled: 2-line block ×3, first 2 shown]
	s_waitcnt lgkmcnt(0)
	v_add_co_u32 v4, s1, s22, v7
	v_add_co_ci_u32_e64 v5, null, s23, v3, s1
	v_add_co_u32 v6, s1, s18, v6
	v_mov_b32_e32 v2, 0
	v_add_co_ci_u32_e64 v7, null, s19, v14, s1
	v_mov_b32_e32 v14, 0
	v_mov_b32_e32 v16, 0
	;; [unrolled: 1-line block ×6, first 2 shown]
	s_xor_b32 s1, vcc_lo, -1
	s_xor_b32 s0, s0, -1
	s_branch .LBB393_8
.LBB393_7:                              ;   in Loop: Header=BB393_8 Depth=1
	s_or_b32 exec_lo, exec_lo, s8
	s_waitcnt lgkmcnt(0)
	s_barrier
	buffer_gl0_inv
	ds_read_b128 v[22:25], v13
	ds_read2_b64 v[26:29], v12 offset1:16
	ds_read_b128 v[30:33], v13 offset:1024
	ds_read_b128 v[34:37], v13 offset:16
	;; [unrolled: 1-line block ×4, first 2 shown]
	ds_read2_b64 v[46:49], v12 offset0:32 offset1:48
	ds_read_b128 v[50:53], v13 offset:1040
	v_add_co_u32 v4, vcc_lo, v4, 64
	v_add_co_ci_u32_e64 v5, null, 0, v5, vcc_lo
	v_add_co_u32 v6, vcc_lo, v6, 64
	v_add_co_ci_u32_e64 v7, null, 0, v7, vcc_lo
	s_add_i32 s9, s9, 8
	s_cmp_lt_i32 s9, s13
	s_waitcnt lgkmcnt(6)
	v_mul_f32_e32 v3, v23, v27
	v_mul_f32_e32 v54, v22, v27
	;; [unrolled: 1-line block ×4, first 2 shown]
	s_waitcnt lgkmcnt(5)
	v_mul_f32_e32 v57, v31, v27
	v_mul_f32_e32 v27, v30, v27
	;; [unrolled: 1-line block ×3, first 2 shown]
	v_fma_f32 v3, v22, v26, -v3
	v_fmac_f32_e32 v54, v23, v26
	v_fma_f32 v22, v22, v28, -v55
	v_fmac_f32_e32 v56, v23, v28
	v_fma_f32 v23, v30, v26, -v57
	v_fmac_f32_e32 v27, v31, v26
	v_mul_f32_e32 v29, v30, v29
	v_fma_f32 v26, v30, v28, -v58
	v_add_f32_e32 v3, v20, v3
	v_add_f32_e32 v20, v21, v54
	;; [unrolled: 1-line block ×6, first 2 shown]
	s_waitcnt lgkmcnt(1)
	v_mul_f32_e32 v30, v25, v47
	ds_read2_b64 v[16:19], v12 offset0:64 offset1:80
	v_fmac_f32_e32 v29, v31, v28
	v_add_f32_e32 v14, v14, v26
	v_mul_f32_e32 v26, v24, v47
	v_fma_f32 v28, v24, v46, -v30
	v_mul_f32_e32 v30, v25, v49
	v_add_f32_e32 v15, v15, v29
	v_mul_f32_e32 v29, v24, v49
	v_fmac_f32_e32 v26, v25, v46
	v_add_f32_e32 v3, v3, v28
	v_fma_f32 v24, v24, v48, -v30
	v_mul_f32_e32 v28, v33, v47
	v_fmac_f32_e32 v29, v25, v48
	v_add_f32_e32 v26, v20, v26
	v_mul_f32_e32 v20, v32, v47
	v_add_f32_e32 v24, v21, v24
	v_fma_f32 v21, v32, v46, -v28
	v_mul_f32_e32 v25, v33, v49
	v_add_f32_e32 v28, v22, v29
	v_fmac_f32_e32 v20, v33, v46
	v_mul_f32_e32 v29, v32, v49
	v_add_f32_e32 v30, v23, v21
	v_fma_f32 v21, v32, v48, -v25
	s_waitcnt lgkmcnt(0)
	v_mul_f32_e32 v22, v35, v17
	v_add_f32_e32 v25, v27, v20
	v_fmac_f32_e32 v29, v33, v48
	v_mul_f32_e32 v27, v34, v17
	v_add_f32_e32 v14, v14, v21
	v_fma_f32 v31, v34, v16, -v22
	v_mul_f32_e32 v32, v35, v19
	ds_read2_b64 v[20:23], v12 offset0:96 offset1:112
	v_fmac_f32_e32 v27, v35, v16
	v_add_f32_e32 v29, v15, v29
	v_add_f32_e32 v3, v3, v31
	v_mul_f32_e32 v15, v34, v19
	v_fma_f32 v31, v34, v18, -v32
	v_add_f32_e32 v26, v26, v27
	v_mul_f32_e32 v27, v51, v17
	v_mul_f32_e32 v17, v50, v17
	v_fmac_f32_e32 v15, v35, v18
	v_add_f32_e32 v24, v24, v31
	v_mul_f32_e32 v31, v51, v19
	v_mul_f32_e32 v19, v50, v19
	v_fmac_f32_e32 v17, v51, v16
	v_add_f32_e32 v28, v28, v15
	v_fma_f32 v27, v50, v16, -v27
	v_fma_f32 v15, v50, v18, -v31
	v_fmac_f32_e32 v19, v51, v18
	v_add_f32_e32 v31, v25, v17
	s_waitcnt lgkmcnt(0)
	v_mul_f32_e32 v18, v37, v21
	v_add_f32_e32 v32, v14, v15
	ds_read2_b64 v[14:17], v12 offset0:128 offset1:144
	v_add_f32_e32 v30, v30, v27
	v_mul_f32_e32 v25, v36, v21
	v_fma_f32 v18, v36, v20, -v18
	v_mul_f32_e32 v27, v37, v23
	v_add_f32_e32 v29, v29, v19
	v_mul_f32_e32 v19, v36, v23
	v_fmac_f32_e32 v25, v37, v20
	v_add_f32_e32 v3, v3, v18
	v_mul_f32_e32 v18, v53, v21
	v_fma_f32 v27, v36, v22, -v27
	v_fmac_f32_e32 v19, v37, v22
	v_mul_f32_e32 v21, v52, v21
	v_mul_f32_e32 v35, v53, v23
	v_fma_f32 v18, v52, v20, -v18
	v_add_f32_e32 v33, v26, v25
	v_add_f32_e32 v34, v24, v27
	ds_read_b128 v[24:27], v13 offset:1056
	v_add_f32_e32 v36, v28, v19
	v_fmac_f32_e32 v21, v53, v20
	v_mul_f32_e32 v23, v52, v23
	v_fma_f32 v19, v52, v22, -v35
	v_add_f32_e32 v35, v30, v18
	s_waitcnt lgkmcnt(1)
	v_mul_f32_e32 v18, v39, v15
	v_add_f32_e32 v37, v31, v21
	v_fmac_f32_e32 v23, v53, v22
	v_add_f32_e32 v22, v32, v19
	v_mul_f32_e32 v32, v38, v15
	v_fma_f32 v28, v38, v14, -v18
	ds_read2_b64 v[18:21], v12 offset0:160 offset1:176
	v_mul_f32_e32 v30, v39, v17
	v_mul_f32_e32 v46, v38, v17
	v_fmac_f32_e32 v32, v39, v14
	v_add_f32_e32 v23, v29, v23
	v_add_f32_e32 v3, v3, v28
	v_fma_f32 v38, v38, v16, -v30
	ds_read_b128 v[28:31], v13 offset:1072
	s_waitcnt lgkmcnt(2)
	v_mul_f32_e32 v47, v25, v15
	v_add_f32_e32 v32, v33, v32
	v_mul_f32_e32 v15, v24, v15
	v_add_f32_e32 v33, v34, v38
	v_mul_f32_e32 v38, v25, v17
	v_fmac_f32_e32 v46, v39, v16
	v_fma_f32 v34, v24, v14, -v47
	v_fmac_f32_e32 v15, v25, v14
	v_mul_f32_e32 v39, v24, v17
	v_fma_f32 v14, v24, v16, -v38
	v_add_f32_e32 v36, v36, v46
	v_add_f32_e32 v34, v35, v34
	s_waitcnt lgkmcnt(1)
	v_mul_f32_e32 v17, v41, v19
	v_add_f32_e32 v24, v37, v15
	v_fmac_f32_e32 v39, v25, v16
	v_mul_f32_e32 v25, v40, v19
	v_add_f32_e32 v22, v22, v14
	v_fma_f32 v35, v40, v18, -v17
	ds_read2_b64 v[14:17], v12 offset0:192 offset1:208
	v_mul_f32_e32 v37, v41, v21
	v_fmac_f32_e32 v25, v41, v18
	v_add_f32_e32 v38, v23, v39
	v_add_f32_e32 v3, v3, v35
	v_mul_f32_e32 v23, v40, v21
	v_fma_f32 v35, v40, v20, -v37
	v_add_f32_e32 v32, v32, v25
	v_mul_f32_e32 v25, v27, v19
	v_mul_f32_e32 v19, v26, v19
	v_fmac_f32_e32 v23, v41, v20
	v_add_f32_e32 v33, v33, v35
	v_mul_f32_e32 v35, v27, v21
	v_fma_f32 v25, v26, v18, -v25
	v_fmac_f32_e32 v19, v27, v18
	v_add_f32_e32 v18, v36, v23
	v_mul_f32_e32 v21, v26, v21
	v_fma_f32 v23, v26, v20, -v35
	v_add_f32_e32 v26, v34, v25
	v_add_f32_e32 v19, v24, v19
	s_waitcnt lgkmcnt(0)
	v_mul_f32_e32 v34, v43, v15
	v_fmac_f32_e32 v21, v27, v20
	v_add_f32_e32 v20, v22, v23
	ds_read2_b64 v[22:25], v12 offset0:224 offset1:240
	v_mul_f32_e32 v27, v42, v15
	v_fma_f32 v34, v42, v14, -v34
	v_mul_f32_e32 v35, v43, v17
	v_mul_f32_e32 v36, v42, v17
	v_add_f32_e32 v21, v38, v21
	v_fmac_f32_e32 v27, v43, v14
	v_add_f32_e32 v3, v3, v34
	v_mul_f32_e32 v34, v29, v15
	v_fma_f32 v35, v42, v16, -v35
	v_fmac_f32_e32 v36, v43, v16
	v_add_f32_e32 v27, v32, v27
	v_mul_f32_e32 v15, v28, v15
	v_fma_f32 v32, v28, v14, -v34
	v_mul_f32_e32 v34, v29, v17
	v_add_f32_e32 v33, v33, v35
	v_add_f32_e32 v35, v18, v36
	v_fmac_f32_e32 v15, v29, v14
	v_add_f32_e32 v14, v26, v32
	v_mul_f32_e32 v17, v28, v17
	v_fma_f32 v18, v28, v16, -v34
	s_waitcnt lgkmcnt(0)
	v_mul_f32_e32 v26, v45, v23
	v_mul_f32_e32 v28, v44, v23
	v_add_f32_e32 v15, v19, v15
	v_fmac_f32_e32 v17, v29, v16
	v_add_f32_e32 v29, v20, v18
	v_fma_f32 v16, v44, v22, -v26
	v_mul_f32_e32 v18, v45, v25
	v_mul_f32_e32 v19, v44, v25
	v_add_f32_e32 v26, v21, v17
	v_mul_f32_e32 v17, v30, v23
	v_add_f32_e32 v20, v3, v16
	v_fma_f32 v3, v44, v24, -v18
	v_mul_f32_e32 v16, v31, v23
	v_mul_f32_e32 v23, v31, v25
	v_mul_f32_e32 v25, v30, v25
	v_fmac_f32_e32 v28, v45, v22
	v_fmac_f32_e32 v19, v45, v24
	v_add_f32_e32 v18, v33, v3
	v_fma_f32 v3, v30, v22, -v16
	v_fmac_f32_e32 v17, v31, v22
	v_fma_f32 v22, v30, v24, -v23
	v_fmac_f32_e32 v25, v31, v24
	v_add_f32_e32 v21, v27, v28
	v_add_f32_e32 v19, v35, v19
	;; [unrolled: 1-line block ×6, first 2 shown]
	s_barrier
	buffer_gl0_inv
	s_cbranch_scc0 .LBB393_16
.LBB393_8:                              ; =>This Inner Loop Header: Depth=1
	v_add_nc_u32_e32 v3, s9, v9
	v_cmp_le_i32_e32 vcc_lo, s13, v3
	s_or_b32 s8, s1, vcc_lo
	s_and_saveexec_b32 s16, s8
	s_xor_b32 s8, exec_lo, s16
; %bb.9:                                ;   in Loop: Header=BB393_8 Depth=1
	ds_write_b32 v10, v2
; %bb.10:                               ;   in Loop: Header=BB393_8 Depth=1
	s_or_saveexec_b32 s8, s8
	v_mov_b32_e32 v3, 0
	s_xor_b32 exec_lo, exec_lo, s8
	s_cbranch_execz .LBB393_12
; %bb.11:                               ;   in Loop: Header=BB393_8 Depth=1
	flat_load_dwordx2 v[22:23], v[4:5]
	s_waitcnt vmcnt(0) lgkmcnt(0)
	v_xor_b32_e32 v3, 0x80000000, v23
	ds_write_b32 v10, v22
.LBB393_12:                             ;   in Loop: Header=BB393_8 Depth=1
	s_or_b32 exec_lo, exec_lo, s8
	v_add_nc_u32_e32 v22, s9, v8
	ds_write_b32 v10, v3 offset:4
	v_cmp_le_i32_e32 vcc_lo, s13, v22
	s_or_b32 s8, vcc_lo, s0
	s_and_saveexec_b32 s16, s8
	s_xor_b32 s8, exec_lo, s16
; %bb.13:                               ;   in Loop: Header=BB393_8 Depth=1
	v_mov_b32_e32 v3, v2
	ds_write_b64 v11, v[2:3]
; %bb.14:                               ;   in Loop: Header=BB393_8 Depth=1
	s_andn2_saveexec_b32 s8, s8
	s_cbranch_execz .LBB393_7
; %bb.15:                               ;   in Loop: Header=BB393_8 Depth=1
	flat_load_dwordx2 v[22:23], v[6:7]
	s_waitcnt vmcnt(0) lgkmcnt(0)
	ds_write_b64 v11, v[22:23]
	s_branch .LBB393_7
.LBB393_16:
	s_clause 0x1
	s_load_dword s8, s[4:5], 0x50
	s_load_dwordx2 s[4:5], s[4:5], 0x58
	v_add_nc_u32_e32 v9, s7, v1
	v_add_nc_u32_e32 v0, s6, v0
	v_cmp_neq_f32_e64 s6, s10, 0
	v_cmp_le_i32_e32 vcc_lo, v9, v0
	v_cmp_gt_i32_e64 s0, s12, v0
	s_waitcnt lgkmcnt(0)
	v_mad_i64_i32 v[1:2], null, v9, s8, 0
	s_lshl_b64 s[4:5], s[4:5], 3
	s_add_u32 s4, s2, s4
	s_addc_u32 s3, s3, s5
	s_xor_b32 s2, s20, -1
	s_and_b32 s5, vcc_lo, s0
	v_lshlrev_b64 v[2:3], 3, v[1:2]
	s_or_b32 s2, s6, s2
	v_ashrrev_i32_e32 v1, 31, v0
	v_cndmask_b32_e64 v8, 0, 1, s2
	v_add_co_u32 v6, s1, s4, v2
	v_add_co_ci_u32_e64 v7, null, s3, v3, s1
	s_and_saveexec_b32 s1, s5
	s_cbranch_execz .LBB393_20
; %bb.17:
	v_lshlrev_b64 v[4:5], 3, v[0:1]
	v_mul_f32_e32 v2, s15, v21
	v_mul_f32_e32 v3, s14, v21
	v_fma_f32 v2, v20, s14, -v2
	v_add_co_u32 v4, vcc_lo, v6, v4
	v_fmac_f32_e32 v3, s15, v20
	v_add_co_ci_u32_e64 v5, null, v7, v5, vcc_lo
	s_andn2_b32 vcc_lo, exec_lo, s2
	s_cbranch_vccnz .LBB393_19
; %bb.18:
	flat_load_dwordx2 v[10:11], v[4:5]
	s_waitcnt vmcnt(0) lgkmcnt(0)
	v_mul_f32_e32 v12, s11, v11
	v_mul_f32_e32 v11, s10, v11
	v_fma_f32 v12, v10, s10, -v12
	v_fmac_f32_e32 v11, s11, v10
	v_add_f32_e32 v2, v2, v12
	v_add_f32_e32 v3, v3, v11
.LBB393_19:
	flat_store_dwordx2 v[4:5], v[2:3]
.LBB393_20:
	s_or_b32 exec_lo, exec_lo, s1
	v_add_nc_u32_e32 v2, 16, v0
	v_cmp_le_i32_e32 vcc_lo, v9, v2
	v_cmp_gt_i32_e64 s1, s12, v2
	v_ashrrev_i32_e32 v3, 31, v2
	s_and_b32 s2, vcc_lo, s1
	s_and_saveexec_b32 s5, s2
	s_cbranch_execz .LBB393_24
; %bb.21:
	v_lshlrev_b64 v[10:11], 3, v[2:3]
	v_mul_f32_e32 v4, s15, v19
	v_mul_f32_e32 v5, s14, v19
	v_cmp_ne_u32_e32 vcc_lo, 1, v8
	v_fma_f32 v4, v18, s14, -v4
	v_add_co_u32 v6, s2, v6, v10
	v_fmac_f32_e32 v5, s15, v18
	v_add_co_ci_u32_e64 v7, null, v7, v11, s2
	s_cbranch_vccnz .LBB393_23
; %bb.22:
	flat_load_dwordx2 v[10:11], v[6:7]
	s_waitcnt vmcnt(0) lgkmcnt(0)
	v_mul_f32_e32 v12, s11, v11
	v_mul_f32_e32 v11, s10, v11
	v_fma_f32 v12, v10, s10, -v12
	v_fmac_f32_e32 v11, s11, v10
	v_add_f32_e32 v4, v4, v12
	v_add_f32_e32 v5, v5, v11
.LBB393_23:
	flat_store_dwordx2 v[6:7], v[4:5]
.LBB393_24:
	s_or_b32 exec_lo, exec_lo, s5
	v_add_nc_u32_e32 v9, 16, v9
	v_mad_i64_i32 v[4:5], null, v9, s8, 0
	v_cmp_le_i32_e32 vcc_lo, v9, v0
	s_and_b32 s0, vcc_lo, s0
	v_lshlrev_b64 v[4:5], 3, v[4:5]
	v_add_co_u32 v6, s2, s4, v4
	v_add_co_ci_u32_e64 v7, null, s3, v5, s2
	s_and_saveexec_b32 s2, s0
	s_cbranch_execz .LBB393_28
; %bb.25:
	v_lshlrev_b64 v[0:1], 3, v[0:1]
	v_mul_f32_e32 v4, s15, v17
	v_mul_f32_e32 v5, s14, v17
	v_cmp_ne_u32_e32 vcc_lo, 1, v8
	v_fma_f32 v4, v16, s14, -v4
	v_add_co_u32 v0, s0, v6, v0
	v_fmac_f32_e32 v5, s15, v16
	v_add_co_ci_u32_e64 v1, null, v7, v1, s0
	s_cbranch_vccnz .LBB393_27
; %bb.26:
	flat_load_dwordx2 v[10:11], v[0:1]
	s_waitcnt vmcnt(0) lgkmcnt(0)
	v_mul_f32_e32 v12, s11, v11
	v_mul_f32_e32 v11, s10, v11
	v_fma_f32 v12, v10, s10, -v12
	v_fmac_f32_e32 v11, s11, v10
	v_add_f32_e32 v4, v4, v12
	v_add_f32_e32 v5, v5, v11
.LBB393_27:
	flat_store_dwordx2 v[0:1], v[4:5]
.LBB393_28:
	s_or_b32 exec_lo, exec_lo, s2
	v_cmp_le_i32_e32 vcc_lo, v9, v2
	s_and_b32 s0, vcc_lo, s1
	s_and_saveexec_b32 s1, s0
	s_cbranch_execz .LBB393_32
; %bb.29:
	v_lshlrev_b64 v[2:3], 3, v[2:3]
	v_mul_f32_e32 v0, s15, v15
	v_mul_f32_e32 v1, s14, v15
	v_cmp_ne_u32_e32 vcc_lo, 1, v8
	v_fma_f32 v0, v14, s14, -v0
	v_add_co_u32 v2, s0, v6, v2
	v_fmac_f32_e32 v1, s15, v14
	v_add_co_ci_u32_e64 v3, null, v7, v3, s0
	s_cbranch_vccnz .LBB393_31
; %bb.30:
	flat_load_dwordx2 v[4:5], v[2:3]
	s_waitcnt vmcnt(0) lgkmcnt(0)
	v_mul_f32_e32 v6, s11, v5
	v_mul_f32_e32 v5, s10, v5
	v_fma_f32 v6, v4, s10, -v6
	v_fmac_f32_e32 v5, s11, v4
	v_add_f32_e32 v0, v0, v6
	v_add_f32_e32 v1, v1, v5
.LBB393_31:
	flat_store_dwordx2 v[2:3], v[0:1]
.LBB393_32:
	s_endpgm
	.section	.rodata,"a",@progbits
	.p2align	6, 0x0
	.amdhsa_kernel _ZL29rocblas_internal_gemmt_kernelIiLi16ELi32ELi8ELc67ELc78ELc76ELb1ELb0E19rocblas_complex_numIfES1_PKPKS1_PKPS1_EviT_T9_T10_S9_lSB_S9_lSA_T11_S9_li
		.amdhsa_group_segment_fixed_size 4096
		.amdhsa_private_segment_fixed_size 0
		.amdhsa_kernarg_size 100
		.amdhsa_user_sgpr_count 6
		.amdhsa_user_sgpr_private_segment_buffer 1
		.amdhsa_user_sgpr_dispatch_ptr 0
		.amdhsa_user_sgpr_queue_ptr 0
		.amdhsa_user_sgpr_kernarg_segment_ptr 1
		.amdhsa_user_sgpr_dispatch_id 0
		.amdhsa_user_sgpr_flat_scratch_init 0
		.amdhsa_user_sgpr_private_segment_size 0
		.amdhsa_wavefront_size32 1
		.amdhsa_uses_dynamic_stack 0
		.amdhsa_system_sgpr_private_segment_wavefront_offset 0
		.amdhsa_system_sgpr_workgroup_id_x 1
		.amdhsa_system_sgpr_workgroup_id_y 1
		.amdhsa_system_sgpr_workgroup_id_z 1
		.amdhsa_system_sgpr_workgroup_info 0
		.amdhsa_system_vgpr_workitem_id 1
		.amdhsa_next_free_vgpr 59
		.amdhsa_next_free_sgpr 26
		.amdhsa_reserve_vcc 1
		.amdhsa_reserve_flat_scratch 0
		.amdhsa_float_round_mode_32 0
		.amdhsa_float_round_mode_16_64 0
		.amdhsa_float_denorm_mode_32 3
		.amdhsa_float_denorm_mode_16_64 3
		.amdhsa_dx10_clamp 1
		.amdhsa_ieee_mode 1
		.amdhsa_fp16_overflow 0
		.amdhsa_workgroup_processor_mode 1
		.amdhsa_memory_ordered 1
		.amdhsa_forward_progress 1
		.amdhsa_shared_vgpr_count 0
		.amdhsa_exception_fp_ieee_invalid_op 0
		.amdhsa_exception_fp_denorm_src 0
		.amdhsa_exception_fp_ieee_div_zero 0
		.amdhsa_exception_fp_ieee_overflow 0
		.amdhsa_exception_fp_ieee_underflow 0
		.amdhsa_exception_fp_ieee_inexact 0
		.amdhsa_exception_int_div_zero 0
	.end_amdhsa_kernel
	.section	.text._ZL29rocblas_internal_gemmt_kernelIiLi16ELi32ELi8ELc67ELc78ELc76ELb1ELb0E19rocblas_complex_numIfES1_PKPKS1_PKPS1_EviT_T9_T10_S9_lSB_S9_lSA_T11_S9_li,"axG",@progbits,_ZL29rocblas_internal_gemmt_kernelIiLi16ELi32ELi8ELc67ELc78ELc76ELb1ELb0E19rocblas_complex_numIfES1_PKPKS1_PKPS1_EviT_T9_T10_S9_lSB_S9_lSA_T11_S9_li,comdat
.Lfunc_end393:
	.size	_ZL29rocblas_internal_gemmt_kernelIiLi16ELi32ELi8ELc67ELc78ELc76ELb1ELb0E19rocblas_complex_numIfES1_PKPKS1_PKPS1_EviT_T9_T10_S9_lSB_S9_lSA_T11_S9_li, .Lfunc_end393-_ZL29rocblas_internal_gemmt_kernelIiLi16ELi32ELi8ELc67ELc78ELc76ELb1ELb0E19rocblas_complex_numIfES1_PKPKS1_PKPS1_EviT_T9_T10_S9_lSB_S9_lSA_T11_S9_li
                                        ; -- End function
	.set _ZL29rocblas_internal_gemmt_kernelIiLi16ELi32ELi8ELc67ELc78ELc76ELb1ELb0E19rocblas_complex_numIfES1_PKPKS1_PKPS1_EviT_T9_T10_S9_lSB_S9_lSA_T11_S9_li.num_vgpr, 59
	.set _ZL29rocblas_internal_gemmt_kernelIiLi16ELi32ELi8ELc67ELc78ELc76ELb1ELb0E19rocblas_complex_numIfES1_PKPKS1_PKPS1_EviT_T9_T10_S9_lSB_S9_lSA_T11_S9_li.num_agpr, 0
	.set _ZL29rocblas_internal_gemmt_kernelIiLi16ELi32ELi8ELc67ELc78ELc76ELb1ELb0E19rocblas_complex_numIfES1_PKPKS1_PKPS1_EviT_T9_T10_S9_lSB_S9_lSA_T11_S9_li.numbered_sgpr, 26
	.set _ZL29rocblas_internal_gemmt_kernelIiLi16ELi32ELi8ELc67ELc78ELc76ELb1ELb0E19rocblas_complex_numIfES1_PKPKS1_PKPS1_EviT_T9_T10_S9_lSB_S9_lSA_T11_S9_li.num_named_barrier, 0
	.set _ZL29rocblas_internal_gemmt_kernelIiLi16ELi32ELi8ELc67ELc78ELc76ELb1ELb0E19rocblas_complex_numIfES1_PKPKS1_PKPS1_EviT_T9_T10_S9_lSB_S9_lSA_T11_S9_li.private_seg_size, 0
	.set _ZL29rocblas_internal_gemmt_kernelIiLi16ELi32ELi8ELc67ELc78ELc76ELb1ELb0E19rocblas_complex_numIfES1_PKPKS1_PKPS1_EviT_T9_T10_S9_lSB_S9_lSA_T11_S9_li.uses_vcc, 1
	.set _ZL29rocblas_internal_gemmt_kernelIiLi16ELi32ELi8ELc67ELc78ELc76ELb1ELb0E19rocblas_complex_numIfES1_PKPKS1_PKPS1_EviT_T9_T10_S9_lSB_S9_lSA_T11_S9_li.uses_flat_scratch, 0
	.set _ZL29rocblas_internal_gemmt_kernelIiLi16ELi32ELi8ELc67ELc78ELc76ELb1ELb0E19rocblas_complex_numIfES1_PKPKS1_PKPS1_EviT_T9_T10_S9_lSB_S9_lSA_T11_S9_li.has_dyn_sized_stack, 0
	.set _ZL29rocblas_internal_gemmt_kernelIiLi16ELi32ELi8ELc67ELc78ELc76ELb1ELb0E19rocblas_complex_numIfES1_PKPKS1_PKPS1_EviT_T9_T10_S9_lSB_S9_lSA_T11_S9_li.has_recursion, 0
	.set _ZL29rocblas_internal_gemmt_kernelIiLi16ELi32ELi8ELc67ELc78ELc76ELb1ELb0E19rocblas_complex_numIfES1_PKPKS1_PKPS1_EviT_T9_T10_S9_lSB_S9_lSA_T11_S9_li.has_indirect_call, 0
	.section	.AMDGPU.csdata,"",@progbits
; Kernel info:
; codeLenInByte = 2524
; TotalNumSgprs: 28
; NumVgprs: 59
; ScratchSize: 0
; MemoryBound: 1
; FloatMode: 240
; IeeeMode: 1
; LDSByteSize: 4096 bytes/workgroup (compile time only)
; SGPRBlocks: 0
; VGPRBlocks: 7
; NumSGPRsForWavesPerEU: 28
; NumVGPRsForWavesPerEU: 59
; Occupancy: 16
; WaveLimiterHint : 1
; COMPUTE_PGM_RSRC2:SCRATCH_EN: 0
; COMPUTE_PGM_RSRC2:USER_SGPR: 6
; COMPUTE_PGM_RSRC2:TRAP_HANDLER: 0
; COMPUTE_PGM_RSRC2:TGID_X_EN: 1
; COMPUTE_PGM_RSRC2:TGID_Y_EN: 1
; COMPUTE_PGM_RSRC2:TGID_Z_EN: 1
; COMPUTE_PGM_RSRC2:TIDIG_COMP_CNT: 1
	.section	.text._ZL29rocblas_internal_gemmt_kernelIiLi16ELi32ELi8ELc67ELc84ELc76ELb1ELb0E19rocblas_complex_numIfES1_PKPKS1_PKPS1_EviT_T9_T10_S9_lSB_S9_lSA_T11_S9_li,"axG",@progbits,_ZL29rocblas_internal_gemmt_kernelIiLi16ELi32ELi8ELc67ELc84ELc76ELb1ELb0E19rocblas_complex_numIfES1_PKPKS1_PKPS1_EviT_T9_T10_S9_lSB_S9_lSA_T11_S9_li,comdat
	.globl	_ZL29rocblas_internal_gemmt_kernelIiLi16ELi32ELi8ELc67ELc84ELc76ELb1ELb0E19rocblas_complex_numIfES1_PKPKS1_PKPS1_EviT_T9_T10_S9_lSB_S9_lSA_T11_S9_li ; -- Begin function _ZL29rocblas_internal_gemmt_kernelIiLi16ELi32ELi8ELc67ELc84ELc76ELb1ELb0E19rocblas_complex_numIfES1_PKPKS1_PKPS1_EviT_T9_T10_S9_lSB_S9_lSA_T11_S9_li
	.p2align	8
	.type	_ZL29rocblas_internal_gemmt_kernelIiLi16ELi32ELi8ELc67ELc84ELc76ELb1ELb0E19rocblas_complex_numIfES1_PKPKS1_PKPS1_EviT_T9_T10_S9_lSB_S9_lSA_T11_S9_li,@function
_ZL29rocblas_internal_gemmt_kernelIiLi16ELi32ELi8ELc67ELc84ELc76ELb1ELb0E19rocblas_complex_numIfES1_PKPKS1_PKPS1_EviT_T9_T10_S9_lSB_S9_lSA_T11_S9_li: ; @_ZL29rocblas_internal_gemmt_kernelIiLi16ELi32ELi8ELc67ELc84ELc76ELb1ELb0E19rocblas_complex_numIfES1_PKPKS1_PKPS1_EviT_T9_T10_S9_lSB_S9_lSA_T11_S9_li
; %bb.0:
	s_clause 0x1
	s_load_dwordx2 s[10:11], s[4:5], 0x40
	s_load_dwordx4 s[12:15], s[4:5], 0x0
	s_waitcnt lgkmcnt(0)
	s_and_b32 s0, s11, 0x7fffffff
	v_cmp_eq_f32_e64 s1, s10, 1.0
	s_cmp_eq_u32 s0, 0
	s_mov_b32 s0, 0
	s_cselect_b32 s20, -1, 0
	s_and_b32 s1, s1, s20
	s_andn2_b32 vcc_lo, exec_lo, s1
	s_mov_b32 s1, -1
	s_cbranch_vccnz .LBB394_4
; %bb.1:
	s_cmp_lg_u32 s13, 0
	s_cbranch_scc0 .LBB394_3
; %bb.2:
	v_cmp_neq_f32_e64 s0, s14, 0
	v_cmp_neq_f32_e64 s1, s15, 0
	s_or_b32 s0, s0, s1
.LBB394_3:
	s_mov_b32 s1, s0
.LBB394_4:
	s_and_b32 vcc_lo, exec_lo, s1
	s_cbranch_vccz .LBB394_32
; %bb.5:
	s_load_dwordx2 s[2:3], s[4:5], 0x48
	s_mov_b32 s9, 0
	v_cmp_eq_f32_e64 s16, s14, 0
	s_lshl_b64 s[0:1], s[8:9], 3
	v_cmp_eq_f32_e64 s17, s15, 0
	v_mov_b32_e32 v20, 0
	v_mov_b32_e32 v21, 0
	;; [unrolled: 1-line block ×8, first 2 shown]
	s_waitcnt lgkmcnt(0)
	s_add_u32 s2, s2, s0
	s_addc_u32 s3, s3, s1
	s_lshl_b32 s8, s6, 5
	s_load_dwordx2 s[2:3], s[2:3], 0x0
	s_lshl_b32 s21, s7, 5
	s_and_b32 s6, s16, s17
	s_cmp_lt_i32 s13, 1
	s_cselect_b32 s7, -1, 0
	s_or_b32 s6, s6, s7
	s_and_b32 vcc_lo, exec_lo, s6
	s_cbranch_vccnz .LBB394_16
; %bb.6:
	s_clause 0x4
	s_load_dword s6, s[4:5], 0x30
	s_load_dwordx4 s[16:19], s[4:5], 0x20
	s_load_dword s26, s[4:5], 0x18
	s_load_dwordx2 s[22:23], s[4:5], 0x10
	s_load_dwordx2 s[24:25], s[4:5], 0x38
	v_lshl_add_u32 v2, v1, 4, v0
	v_and_b32_e32 v8, 7, v0
	v_lshlrev_b32_e32 v12, 3, v0
	v_lshl_add_u32 v13, v1, 6, 0x800
	v_mov_b32_e32 v17, 0
	v_and_b32_e32 v4, 31, v2
	v_lshrrev_b32_e32 v5, 3, v2
	v_lshlrev_b32_e32 v6, 3, v8
	v_lshrrev_b32_e32 v9, 5, v2
	v_mov_b32_e32 v16, 0
	v_or_b32_e32 v2, s8, v4
	v_lshlrev_b32_e32 v7, 3, v4
	v_add_nc_u32_e32 v4, s8, v4
	v_add_nc_u32_e32 v3, s21, v5
	v_lshl_or_b32 v11, v5, 6, v6
	s_waitcnt lgkmcnt(0)
	s_ashr_i32 s7, s6, 31
	s_add_u32 s18, s18, s0
	v_mad_i64_i32 v[5:6], null, s26, v4, 0
	s_addc_u32 s19, s19, s1
	s_add_u32 s0, s22, s0
	v_mad_i64_i32 v[14:15], null, s6, v8, 0
	s_addc_u32 s1, s23, s1
	s_load_dwordx2 s[18:19], s[18:19], 0x0
	s_load_dwordx2 s[22:23], s[0:1], 0x0
	v_lshlrev_b64 v[5:6], 3, v[5:6]
	v_ashrrev_i32_e32 v4, 31, v3
	s_lshl_b64 s[16:17], s[16:17], 3
	v_lshl_or_b32 v10, v9, 8, v7
	v_lshlrev_b64 v[14:15], 3, v[14:15]
	v_lshlrev_b32_e32 v7, 3, v9
	v_add_co_u32 v5, s1, v5, s16
	v_add_co_ci_u32_e64 v6, null, s17, v6, s1
	s_lshl_b64 s[16:17], s[24:25], 3
	v_cmp_gt_i32_e64 s0, s12, v3
	v_lshlrev_b64 v[3:4], 3, v[3:4]
	v_add_co_u32 v14, s1, v14, s16
	v_add_co_ci_u32_e64 v15, null, s17, v15, s1
	v_add_co_u32 v5, s1, v5, v7
	v_add_co_ci_u32_e64 v6, null, 0, v6, s1
	;; [unrolled: 2-line block ×3, first 2 shown]
	s_waitcnt lgkmcnt(0)
	v_add_co_u32 v4, s1, s22, v5
	v_cmp_gt_i32_e32 vcc_lo, s12, v2
	v_add_co_ci_u32_e64 v5, null, s23, v6, s1
	v_add_co_u32 v6, s1, s18, v3
	v_add_nc_u32_e32 v11, 0x800, v11
	v_mov_b32_e32 v2, 0
	v_add_co_ci_u32_e64 v7, null, s19, v7, s1
	v_mov_b32_e32 v15, 0
	v_mov_b32_e32 v14, 0
	v_mov_b32_e32 v19, 0
	v_mov_b32_e32 v18, 0
	v_mov_b32_e32 v21, 0
	v_mov_b32_e32 v20, 0
	s_lshl_b64 s[6:7], s[6:7], 6
	s_xor_b32 s1, vcc_lo, -1
	s_xor_b32 s0, s0, -1
	s_branch .LBB394_8
.LBB394_7:                              ;   in Loop: Header=BB394_8 Depth=1
	s_or_b32 exec_lo, exec_lo, s16
	s_waitcnt lgkmcnt(0)
	s_barrier
	buffer_gl0_inv
	ds_read_b128 v[22:25], v13
	ds_read2_b64 v[26:29], v12 offset1:16
	ds_read_b128 v[30:33], v13 offset:1024
	ds_read_b128 v[34:37], v13 offset:16
	;; [unrolled: 1-line block ×4, first 2 shown]
	ds_read2_b64 v[46:49], v12 offset0:32 offset1:48
	ds_read_b128 v[50:53], v13 offset:1040
	v_add_co_u32 v4, vcc_lo, v4, 64
	v_add_co_ci_u32_e64 v5, null, 0, v5, vcc_lo
	v_add_co_u32 v6, vcc_lo, v6, s6
	v_add_co_ci_u32_e64 v7, null, s7, v7, vcc_lo
	s_add_i32 s9, s9, 8
	s_cmp_lt_i32 s9, s13
	s_waitcnt lgkmcnt(6)
	v_mul_f32_e32 v3, v23, v27
	v_mul_f32_e32 v54, v22, v27
	;; [unrolled: 1-line block ×4, first 2 shown]
	s_waitcnt lgkmcnt(5)
	v_mul_f32_e32 v57, v31, v27
	v_mul_f32_e32 v27, v30, v27
	;; [unrolled: 1-line block ×3, first 2 shown]
	v_fma_f32 v3, v22, v26, -v3
	v_fmac_f32_e32 v54, v23, v26
	v_fma_f32 v22, v22, v28, -v55
	v_fmac_f32_e32 v56, v23, v28
	;; [unrolled: 2-line block ×3, first 2 shown]
	v_mul_f32_e32 v29, v30, v29
	v_fma_f32 v26, v30, v28, -v58
	v_add_f32_e32 v3, v20, v3
	v_add_f32_e32 v20, v21, v54
	;; [unrolled: 1-line block ×6, first 2 shown]
	s_waitcnt lgkmcnt(1)
	v_mul_f32_e32 v30, v25, v47
	ds_read2_b64 v[16:19], v12 offset0:64 offset1:80
	v_fmac_f32_e32 v29, v31, v28
	v_add_f32_e32 v14, v14, v26
	v_mul_f32_e32 v26, v24, v47
	v_fma_f32 v28, v24, v46, -v30
	v_mul_f32_e32 v30, v25, v49
	v_add_f32_e32 v15, v15, v29
	v_mul_f32_e32 v29, v24, v49
	v_fmac_f32_e32 v26, v25, v46
	v_add_f32_e32 v3, v3, v28
	v_fma_f32 v24, v24, v48, -v30
	v_mul_f32_e32 v28, v33, v47
	v_fmac_f32_e32 v29, v25, v48
	v_add_f32_e32 v26, v20, v26
	v_mul_f32_e32 v20, v32, v47
	v_add_f32_e32 v24, v21, v24
	v_fma_f32 v21, v32, v46, -v28
	v_mul_f32_e32 v25, v33, v49
	v_add_f32_e32 v28, v22, v29
	v_fmac_f32_e32 v20, v33, v46
	v_mul_f32_e32 v29, v32, v49
	v_add_f32_e32 v30, v23, v21
	v_fma_f32 v21, v32, v48, -v25
	s_waitcnt lgkmcnt(0)
	v_mul_f32_e32 v22, v35, v17
	v_add_f32_e32 v25, v27, v20
	v_fmac_f32_e32 v29, v33, v48
	v_mul_f32_e32 v27, v34, v17
	v_add_f32_e32 v14, v14, v21
	v_fma_f32 v31, v34, v16, -v22
	v_mul_f32_e32 v32, v35, v19
	ds_read2_b64 v[20:23], v12 offset0:96 offset1:112
	v_fmac_f32_e32 v27, v35, v16
	v_add_f32_e32 v29, v15, v29
	v_add_f32_e32 v3, v3, v31
	v_mul_f32_e32 v15, v34, v19
	v_fma_f32 v31, v34, v18, -v32
	v_add_f32_e32 v26, v26, v27
	v_mul_f32_e32 v27, v51, v17
	v_mul_f32_e32 v17, v50, v17
	v_fmac_f32_e32 v15, v35, v18
	v_add_f32_e32 v24, v24, v31
	v_mul_f32_e32 v31, v51, v19
	v_mul_f32_e32 v19, v50, v19
	v_fmac_f32_e32 v17, v51, v16
	v_add_f32_e32 v28, v28, v15
	v_fma_f32 v27, v50, v16, -v27
	v_fma_f32 v15, v50, v18, -v31
	v_fmac_f32_e32 v19, v51, v18
	v_add_f32_e32 v31, v25, v17
	s_waitcnt lgkmcnt(0)
	v_mul_f32_e32 v18, v37, v21
	v_add_f32_e32 v32, v14, v15
	ds_read2_b64 v[14:17], v12 offset0:128 offset1:144
	v_add_f32_e32 v30, v30, v27
	v_mul_f32_e32 v25, v36, v21
	v_fma_f32 v18, v36, v20, -v18
	v_mul_f32_e32 v27, v37, v23
	v_add_f32_e32 v29, v29, v19
	v_mul_f32_e32 v19, v36, v23
	v_fmac_f32_e32 v25, v37, v20
	v_add_f32_e32 v3, v3, v18
	v_mul_f32_e32 v18, v53, v21
	v_fma_f32 v27, v36, v22, -v27
	v_fmac_f32_e32 v19, v37, v22
	v_mul_f32_e32 v21, v52, v21
	v_mul_f32_e32 v35, v53, v23
	v_fma_f32 v18, v52, v20, -v18
	v_add_f32_e32 v33, v26, v25
	v_add_f32_e32 v34, v24, v27
	ds_read_b128 v[24:27], v13 offset:1056
	v_add_f32_e32 v36, v28, v19
	v_fmac_f32_e32 v21, v53, v20
	v_mul_f32_e32 v23, v52, v23
	v_fma_f32 v19, v52, v22, -v35
	v_add_f32_e32 v35, v30, v18
	s_waitcnt lgkmcnt(1)
	v_mul_f32_e32 v18, v39, v15
	v_add_f32_e32 v37, v31, v21
	v_fmac_f32_e32 v23, v53, v22
	v_add_f32_e32 v22, v32, v19
	v_mul_f32_e32 v32, v38, v15
	v_fma_f32 v28, v38, v14, -v18
	ds_read2_b64 v[18:21], v12 offset0:160 offset1:176
	v_mul_f32_e32 v30, v39, v17
	v_mul_f32_e32 v46, v38, v17
	v_fmac_f32_e32 v32, v39, v14
	v_add_f32_e32 v23, v29, v23
	v_add_f32_e32 v3, v3, v28
	v_fma_f32 v38, v38, v16, -v30
	ds_read_b128 v[28:31], v13 offset:1072
	s_waitcnt lgkmcnt(2)
	v_mul_f32_e32 v47, v25, v15
	v_add_f32_e32 v32, v33, v32
	v_mul_f32_e32 v15, v24, v15
	v_add_f32_e32 v33, v34, v38
	v_mul_f32_e32 v38, v25, v17
	v_fmac_f32_e32 v46, v39, v16
	v_fma_f32 v34, v24, v14, -v47
	v_fmac_f32_e32 v15, v25, v14
	v_mul_f32_e32 v39, v24, v17
	v_fma_f32 v14, v24, v16, -v38
	v_add_f32_e32 v36, v36, v46
	v_add_f32_e32 v34, v35, v34
	s_waitcnt lgkmcnt(1)
	v_mul_f32_e32 v17, v41, v19
	v_add_f32_e32 v24, v37, v15
	v_fmac_f32_e32 v39, v25, v16
	v_mul_f32_e32 v25, v40, v19
	v_add_f32_e32 v22, v22, v14
	v_fma_f32 v35, v40, v18, -v17
	ds_read2_b64 v[14:17], v12 offset0:192 offset1:208
	v_mul_f32_e32 v37, v41, v21
	v_fmac_f32_e32 v25, v41, v18
	v_add_f32_e32 v38, v23, v39
	v_add_f32_e32 v3, v3, v35
	v_mul_f32_e32 v23, v40, v21
	v_fma_f32 v35, v40, v20, -v37
	v_add_f32_e32 v32, v32, v25
	v_mul_f32_e32 v25, v27, v19
	v_mul_f32_e32 v19, v26, v19
	v_fmac_f32_e32 v23, v41, v20
	v_add_f32_e32 v33, v33, v35
	v_mul_f32_e32 v35, v27, v21
	v_fma_f32 v25, v26, v18, -v25
	v_fmac_f32_e32 v19, v27, v18
	v_add_f32_e32 v18, v36, v23
	v_mul_f32_e32 v21, v26, v21
	v_fma_f32 v23, v26, v20, -v35
	v_add_f32_e32 v26, v34, v25
	v_add_f32_e32 v19, v24, v19
	s_waitcnt lgkmcnt(0)
	v_mul_f32_e32 v34, v43, v15
	v_fmac_f32_e32 v21, v27, v20
	v_add_f32_e32 v20, v22, v23
	ds_read2_b64 v[22:25], v12 offset0:224 offset1:240
	v_mul_f32_e32 v27, v42, v15
	v_fma_f32 v34, v42, v14, -v34
	v_mul_f32_e32 v35, v43, v17
	v_mul_f32_e32 v36, v42, v17
	v_add_f32_e32 v21, v38, v21
	v_fmac_f32_e32 v27, v43, v14
	v_add_f32_e32 v3, v3, v34
	v_mul_f32_e32 v34, v29, v15
	v_fma_f32 v35, v42, v16, -v35
	v_fmac_f32_e32 v36, v43, v16
	v_add_f32_e32 v27, v32, v27
	v_mul_f32_e32 v15, v28, v15
	v_fma_f32 v32, v28, v14, -v34
	v_mul_f32_e32 v34, v29, v17
	v_add_f32_e32 v33, v33, v35
	v_add_f32_e32 v35, v18, v36
	v_fmac_f32_e32 v15, v29, v14
	v_add_f32_e32 v14, v26, v32
	v_mul_f32_e32 v17, v28, v17
	v_fma_f32 v18, v28, v16, -v34
	s_waitcnt lgkmcnt(0)
	v_mul_f32_e32 v26, v45, v23
	v_mul_f32_e32 v28, v44, v23
	v_add_f32_e32 v15, v19, v15
	v_fmac_f32_e32 v17, v29, v16
	v_add_f32_e32 v29, v20, v18
	v_fma_f32 v16, v44, v22, -v26
	v_mul_f32_e32 v18, v45, v25
	v_mul_f32_e32 v19, v44, v25
	v_add_f32_e32 v26, v21, v17
	v_mul_f32_e32 v17, v30, v23
	v_add_f32_e32 v20, v3, v16
	v_fma_f32 v3, v44, v24, -v18
	v_mul_f32_e32 v16, v31, v23
	v_mul_f32_e32 v23, v31, v25
	;; [unrolled: 1-line block ×3, first 2 shown]
	v_fmac_f32_e32 v28, v45, v22
	v_fmac_f32_e32 v19, v45, v24
	v_add_f32_e32 v18, v33, v3
	v_fma_f32 v3, v30, v22, -v16
	v_fmac_f32_e32 v17, v31, v22
	v_fma_f32 v22, v30, v24, -v23
	v_fmac_f32_e32 v25, v31, v24
	v_add_f32_e32 v21, v27, v28
	v_add_f32_e32 v19, v35, v19
	;; [unrolled: 1-line block ×6, first 2 shown]
	s_barrier
	buffer_gl0_inv
	s_cbranch_scc0 .LBB394_16
.LBB394_8:                              ; =>This Inner Loop Header: Depth=1
	v_add_nc_u32_e32 v3, s9, v9
	v_cmp_le_i32_e32 vcc_lo, s13, v3
	s_or_b32 s16, s1, vcc_lo
	s_and_saveexec_b32 s17, s16
	s_xor_b32 s16, exec_lo, s17
; %bb.9:                                ;   in Loop: Header=BB394_8 Depth=1
	ds_write_b32 v10, v2
; %bb.10:                               ;   in Loop: Header=BB394_8 Depth=1
	s_or_saveexec_b32 s16, s16
	v_mov_b32_e32 v3, 0
	s_xor_b32 exec_lo, exec_lo, s16
	s_cbranch_execz .LBB394_12
; %bb.11:                               ;   in Loop: Header=BB394_8 Depth=1
	flat_load_dwordx2 v[22:23], v[4:5]
	s_waitcnt vmcnt(0) lgkmcnt(0)
	v_xor_b32_e32 v3, 0x80000000, v23
	ds_write_b32 v10, v22
.LBB394_12:                             ;   in Loop: Header=BB394_8 Depth=1
	s_or_b32 exec_lo, exec_lo, s16
	v_add_nc_u32_e32 v22, s9, v8
	ds_write_b32 v10, v3 offset:4
	v_cmp_le_i32_e32 vcc_lo, s13, v22
	s_or_b32 s16, vcc_lo, s0
	s_and_saveexec_b32 s17, s16
	s_xor_b32 s16, exec_lo, s17
; %bb.13:                               ;   in Loop: Header=BB394_8 Depth=1
	v_mov_b32_e32 v3, v2
	ds_write_b64 v11, v[2:3]
; %bb.14:                               ;   in Loop: Header=BB394_8 Depth=1
	s_andn2_saveexec_b32 s16, s16
	s_cbranch_execz .LBB394_7
; %bb.15:                               ;   in Loop: Header=BB394_8 Depth=1
	flat_load_dwordx2 v[22:23], v[6:7]
	s_waitcnt vmcnt(0) lgkmcnt(0)
	ds_write_b64 v11, v[22:23]
	s_branch .LBB394_7
.LBB394_16:
	s_clause 0x1
	s_load_dword s6, s[4:5], 0x50
	s_load_dwordx2 s[4:5], s[4:5], 0x58
	v_add_nc_u32_e32 v9, s21, v1
	v_add_nc_u32_e32 v0, s8, v0
	v_cmp_neq_f32_e64 s7, s10, 0
	v_cmp_le_i32_e32 vcc_lo, v9, v0
	v_cmp_gt_i32_e64 s0, s12, v0
	s_waitcnt lgkmcnt(0)
	v_mad_i64_i32 v[1:2], null, v9, s6, 0
	s_lshl_b64 s[4:5], s[4:5], 3
	s_add_u32 s4, s2, s4
	s_addc_u32 s3, s3, s5
	s_xor_b32 s2, s20, -1
	s_and_b32 s5, vcc_lo, s0
	v_lshlrev_b64 v[2:3], 3, v[1:2]
	s_or_b32 s2, s7, s2
	v_ashrrev_i32_e32 v1, 31, v0
	v_cndmask_b32_e64 v8, 0, 1, s2
	v_add_co_u32 v6, s1, s4, v2
	v_add_co_ci_u32_e64 v7, null, s3, v3, s1
	s_and_saveexec_b32 s1, s5
	s_cbranch_execz .LBB394_20
; %bb.17:
	v_lshlrev_b64 v[4:5], 3, v[0:1]
	v_mul_f32_e32 v2, s15, v21
	v_mul_f32_e32 v3, s14, v21
	v_fma_f32 v2, v20, s14, -v2
	v_add_co_u32 v4, vcc_lo, v6, v4
	v_fmac_f32_e32 v3, s15, v20
	v_add_co_ci_u32_e64 v5, null, v7, v5, vcc_lo
	s_andn2_b32 vcc_lo, exec_lo, s2
	s_cbranch_vccnz .LBB394_19
; %bb.18:
	flat_load_dwordx2 v[10:11], v[4:5]
	s_waitcnt vmcnt(0) lgkmcnt(0)
	v_mul_f32_e32 v12, s11, v11
	v_mul_f32_e32 v11, s10, v11
	v_fma_f32 v12, v10, s10, -v12
	v_fmac_f32_e32 v11, s11, v10
	v_add_f32_e32 v2, v2, v12
	v_add_f32_e32 v3, v3, v11
.LBB394_19:
	flat_store_dwordx2 v[4:5], v[2:3]
.LBB394_20:
	s_or_b32 exec_lo, exec_lo, s1
	v_add_nc_u32_e32 v2, 16, v0
	v_cmp_le_i32_e32 vcc_lo, v9, v2
	v_cmp_gt_i32_e64 s1, s12, v2
	v_ashrrev_i32_e32 v3, 31, v2
	s_and_b32 s2, vcc_lo, s1
	s_and_saveexec_b32 s5, s2
	s_cbranch_execz .LBB394_24
; %bb.21:
	v_lshlrev_b64 v[10:11], 3, v[2:3]
	v_mul_f32_e32 v4, s15, v19
	v_mul_f32_e32 v5, s14, v19
	v_cmp_ne_u32_e32 vcc_lo, 1, v8
	v_fma_f32 v4, v18, s14, -v4
	v_add_co_u32 v6, s2, v6, v10
	v_fmac_f32_e32 v5, s15, v18
	v_add_co_ci_u32_e64 v7, null, v7, v11, s2
	s_cbranch_vccnz .LBB394_23
; %bb.22:
	flat_load_dwordx2 v[10:11], v[6:7]
	s_waitcnt vmcnt(0) lgkmcnt(0)
	v_mul_f32_e32 v12, s11, v11
	v_mul_f32_e32 v11, s10, v11
	v_fma_f32 v12, v10, s10, -v12
	v_fmac_f32_e32 v11, s11, v10
	v_add_f32_e32 v4, v4, v12
	v_add_f32_e32 v5, v5, v11
.LBB394_23:
	flat_store_dwordx2 v[6:7], v[4:5]
.LBB394_24:
	s_or_b32 exec_lo, exec_lo, s5
	v_add_nc_u32_e32 v9, 16, v9
	v_mad_i64_i32 v[4:5], null, v9, s6, 0
	v_cmp_le_i32_e32 vcc_lo, v9, v0
	s_and_b32 s0, vcc_lo, s0
	v_lshlrev_b64 v[4:5], 3, v[4:5]
	v_add_co_u32 v6, s2, s4, v4
	v_add_co_ci_u32_e64 v7, null, s3, v5, s2
	s_and_saveexec_b32 s2, s0
	s_cbranch_execz .LBB394_28
; %bb.25:
	v_lshlrev_b64 v[0:1], 3, v[0:1]
	v_mul_f32_e32 v4, s15, v17
	v_mul_f32_e32 v5, s14, v17
	v_cmp_ne_u32_e32 vcc_lo, 1, v8
	v_fma_f32 v4, v16, s14, -v4
	v_add_co_u32 v0, s0, v6, v0
	v_fmac_f32_e32 v5, s15, v16
	v_add_co_ci_u32_e64 v1, null, v7, v1, s0
	s_cbranch_vccnz .LBB394_27
; %bb.26:
	flat_load_dwordx2 v[10:11], v[0:1]
	s_waitcnt vmcnt(0) lgkmcnt(0)
	v_mul_f32_e32 v12, s11, v11
	v_mul_f32_e32 v11, s10, v11
	v_fma_f32 v12, v10, s10, -v12
	v_fmac_f32_e32 v11, s11, v10
	v_add_f32_e32 v4, v4, v12
	v_add_f32_e32 v5, v5, v11
.LBB394_27:
	flat_store_dwordx2 v[0:1], v[4:5]
.LBB394_28:
	s_or_b32 exec_lo, exec_lo, s2
	v_cmp_le_i32_e32 vcc_lo, v9, v2
	s_and_b32 s0, vcc_lo, s1
	s_and_saveexec_b32 s1, s0
	s_cbranch_execz .LBB394_32
; %bb.29:
	v_lshlrev_b64 v[2:3], 3, v[2:3]
	v_mul_f32_e32 v0, s15, v15
	v_mul_f32_e32 v1, s14, v15
	v_cmp_ne_u32_e32 vcc_lo, 1, v8
	v_fma_f32 v0, v14, s14, -v0
	v_add_co_u32 v2, s0, v6, v2
	v_fmac_f32_e32 v1, s15, v14
	v_add_co_ci_u32_e64 v3, null, v7, v3, s0
	s_cbranch_vccnz .LBB394_31
; %bb.30:
	flat_load_dwordx2 v[4:5], v[2:3]
	s_waitcnt vmcnt(0) lgkmcnt(0)
	v_mul_f32_e32 v6, s11, v5
	v_mul_f32_e32 v5, s10, v5
	v_fma_f32 v6, v4, s10, -v6
	v_fmac_f32_e32 v5, s11, v4
	v_add_f32_e32 v0, v0, v6
	v_add_f32_e32 v1, v1, v5
.LBB394_31:
	flat_store_dwordx2 v[2:3], v[0:1]
.LBB394_32:
	s_endpgm
	.section	.rodata,"a",@progbits
	.p2align	6, 0x0
	.amdhsa_kernel _ZL29rocblas_internal_gemmt_kernelIiLi16ELi32ELi8ELc67ELc84ELc76ELb1ELb0E19rocblas_complex_numIfES1_PKPKS1_PKPS1_EviT_T9_T10_S9_lSB_S9_lSA_T11_S9_li
		.amdhsa_group_segment_fixed_size 4096
		.amdhsa_private_segment_fixed_size 0
		.amdhsa_kernarg_size 100
		.amdhsa_user_sgpr_count 6
		.amdhsa_user_sgpr_private_segment_buffer 1
		.amdhsa_user_sgpr_dispatch_ptr 0
		.amdhsa_user_sgpr_queue_ptr 0
		.amdhsa_user_sgpr_kernarg_segment_ptr 1
		.amdhsa_user_sgpr_dispatch_id 0
		.amdhsa_user_sgpr_flat_scratch_init 0
		.amdhsa_user_sgpr_private_segment_size 0
		.amdhsa_wavefront_size32 1
		.amdhsa_uses_dynamic_stack 0
		.amdhsa_system_sgpr_private_segment_wavefront_offset 0
		.amdhsa_system_sgpr_workgroup_id_x 1
		.amdhsa_system_sgpr_workgroup_id_y 1
		.amdhsa_system_sgpr_workgroup_id_z 1
		.amdhsa_system_sgpr_workgroup_info 0
		.amdhsa_system_vgpr_workitem_id 1
		.amdhsa_next_free_vgpr 59
		.amdhsa_next_free_sgpr 27
		.amdhsa_reserve_vcc 1
		.amdhsa_reserve_flat_scratch 0
		.amdhsa_float_round_mode_32 0
		.amdhsa_float_round_mode_16_64 0
		.amdhsa_float_denorm_mode_32 3
		.amdhsa_float_denorm_mode_16_64 3
		.amdhsa_dx10_clamp 1
		.amdhsa_ieee_mode 1
		.amdhsa_fp16_overflow 0
		.amdhsa_workgroup_processor_mode 1
		.amdhsa_memory_ordered 1
		.amdhsa_forward_progress 1
		.amdhsa_shared_vgpr_count 0
		.amdhsa_exception_fp_ieee_invalid_op 0
		.amdhsa_exception_fp_denorm_src 0
		.amdhsa_exception_fp_ieee_div_zero 0
		.amdhsa_exception_fp_ieee_overflow 0
		.amdhsa_exception_fp_ieee_underflow 0
		.amdhsa_exception_fp_ieee_inexact 0
		.amdhsa_exception_int_div_zero 0
	.end_amdhsa_kernel
	.section	.text._ZL29rocblas_internal_gemmt_kernelIiLi16ELi32ELi8ELc67ELc84ELc76ELb1ELb0E19rocblas_complex_numIfES1_PKPKS1_PKPS1_EviT_T9_T10_S9_lSB_S9_lSA_T11_S9_li,"axG",@progbits,_ZL29rocblas_internal_gemmt_kernelIiLi16ELi32ELi8ELc67ELc84ELc76ELb1ELb0E19rocblas_complex_numIfES1_PKPKS1_PKPS1_EviT_T9_T10_S9_lSB_S9_lSA_T11_S9_li,comdat
.Lfunc_end394:
	.size	_ZL29rocblas_internal_gemmt_kernelIiLi16ELi32ELi8ELc67ELc84ELc76ELb1ELb0E19rocblas_complex_numIfES1_PKPKS1_PKPS1_EviT_T9_T10_S9_lSB_S9_lSA_T11_S9_li, .Lfunc_end394-_ZL29rocblas_internal_gemmt_kernelIiLi16ELi32ELi8ELc67ELc84ELc76ELb1ELb0E19rocblas_complex_numIfES1_PKPKS1_PKPS1_EviT_T9_T10_S9_lSB_S9_lSA_T11_S9_li
                                        ; -- End function
	.set _ZL29rocblas_internal_gemmt_kernelIiLi16ELi32ELi8ELc67ELc84ELc76ELb1ELb0E19rocblas_complex_numIfES1_PKPKS1_PKPS1_EviT_T9_T10_S9_lSB_S9_lSA_T11_S9_li.num_vgpr, 59
	.set _ZL29rocblas_internal_gemmt_kernelIiLi16ELi32ELi8ELc67ELc84ELc76ELb1ELb0E19rocblas_complex_numIfES1_PKPKS1_PKPS1_EviT_T9_T10_S9_lSB_S9_lSA_T11_S9_li.num_agpr, 0
	.set _ZL29rocblas_internal_gemmt_kernelIiLi16ELi32ELi8ELc67ELc84ELc76ELb1ELb0E19rocblas_complex_numIfES1_PKPKS1_PKPS1_EviT_T9_T10_S9_lSB_S9_lSA_T11_S9_li.numbered_sgpr, 27
	.set _ZL29rocblas_internal_gemmt_kernelIiLi16ELi32ELi8ELc67ELc84ELc76ELb1ELb0E19rocblas_complex_numIfES1_PKPKS1_PKPS1_EviT_T9_T10_S9_lSB_S9_lSA_T11_S9_li.num_named_barrier, 0
	.set _ZL29rocblas_internal_gemmt_kernelIiLi16ELi32ELi8ELc67ELc84ELc76ELb1ELb0E19rocblas_complex_numIfES1_PKPKS1_PKPS1_EviT_T9_T10_S9_lSB_S9_lSA_T11_S9_li.private_seg_size, 0
	.set _ZL29rocblas_internal_gemmt_kernelIiLi16ELi32ELi8ELc67ELc84ELc76ELb1ELb0E19rocblas_complex_numIfES1_PKPKS1_PKPS1_EviT_T9_T10_S9_lSB_S9_lSA_T11_S9_li.uses_vcc, 1
	.set _ZL29rocblas_internal_gemmt_kernelIiLi16ELi32ELi8ELc67ELc84ELc76ELb1ELb0E19rocblas_complex_numIfES1_PKPKS1_PKPS1_EviT_T9_T10_S9_lSB_S9_lSA_T11_S9_li.uses_flat_scratch, 0
	.set _ZL29rocblas_internal_gemmt_kernelIiLi16ELi32ELi8ELc67ELc84ELc76ELb1ELb0E19rocblas_complex_numIfES1_PKPKS1_PKPS1_EviT_T9_T10_S9_lSB_S9_lSA_T11_S9_li.has_dyn_sized_stack, 0
	.set _ZL29rocblas_internal_gemmt_kernelIiLi16ELi32ELi8ELc67ELc84ELc76ELb1ELb0E19rocblas_complex_numIfES1_PKPKS1_PKPS1_EviT_T9_T10_S9_lSB_S9_lSA_T11_S9_li.has_recursion, 0
	.set _ZL29rocblas_internal_gemmt_kernelIiLi16ELi32ELi8ELc67ELc84ELc76ELb1ELb0E19rocblas_complex_numIfES1_PKPKS1_PKPS1_EviT_T9_T10_S9_lSB_S9_lSA_T11_S9_li.has_indirect_call, 0
	.section	.AMDGPU.csdata,"",@progbits
; Kernel info:
; codeLenInByte = 2544
; TotalNumSgprs: 29
; NumVgprs: 59
; ScratchSize: 0
; MemoryBound: 1
; FloatMode: 240
; IeeeMode: 1
; LDSByteSize: 4096 bytes/workgroup (compile time only)
; SGPRBlocks: 0
; VGPRBlocks: 7
; NumSGPRsForWavesPerEU: 29
; NumVGPRsForWavesPerEU: 59
; Occupancy: 16
; WaveLimiterHint : 1
; COMPUTE_PGM_RSRC2:SCRATCH_EN: 0
; COMPUTE_PGM_RSRC2:USER_SGPR: 6
; COMPUTE_PGM_RSRC2:TRAP_HANDLER: 0
; COMPUTE_PGM_RSRC2:TGID_X_EN: 1
; COMPUTE_PGM_RSRC2:TGID_Y_EN: 1
; COMPUTE_PGM_RSRC2:TGID_Z_EN: 1
; COMPUTE_PGM_RSRC2:TIDIG_COMP_CNT: 1
	.section	.text._ZL29rocblas_internal_gemmt_kernelIiLi16ELi32ELi8ELc67ELc67ELc76ELb1ELb1E19rocblas_complex_numIfES1_PKPKS1_PKPS1_EviT_T9_T10_S9_lSB_S9_lSA_T11_S9_li,"axG",@progbits,_ZL29rocblas_internal_gemmt_kernelIiLi16ELi32ELi8ELc67ELc67ELc76ELb1ELb1E19rocblas_complex_numIfES1_PKPKS1_PKPS1_EviT_T9_T10_S9_lSB_S9_lSA_T11_S9_li,comdat
	.globl	_ZL29rocblas_internal_gemmt_kernelIiLi16ELi32ELi8ELc67ELc67ELc76ELb1ELb1E19rocblas_complex_numIfES1_PKPKS1_PKPS1_EviT_T9_T10_S9_lSB_S9_lSA_T11_S9_li ; -- Begin function _ZL29rocblas_internal_gemmt_kernelIiLi16ELi32ELi8ELc67ELc67ELc76ELb1ELb1E19rocblas_complex_numIfES1_PKPKS1_PKPS1_EviT_T9_T10_S9_lSB_S9_lSA_T11_S9_li
	.p2align	8
	.type	_ZL29rocblas_internal_gemmt_kernelIiLi16ELi32ELi8ELc67ELc67ELc76ELb1ELb1E19rocblas_complex_numIfES1_PKPKS1_PKPS1_EviT_T9_T10_S9_lSB_S9_lSA_T11_S9_li,@function
_ZL29rocblas_internal_gemmt_kernelIiLi16ELi32ELi8ELc67ELc67ELc76ELb1ELb1E19rocblas_complex_numIfES1_PKPKS1_PKPS1_EviT_T9_T10_S9_lSB_S9_lSA_T11_S9_li: ; @_ZL29rocblas_internal_gemmt_kernelIiLi16ELi32ELi8ELc67ELc67ELc76ELb1ELb1E19rocblas_complex_numIfES1_PKPKS1_PKPS1_EviT_T9_T10_S9_lSB_S9_lSA_T11_S9_li
; %bb.0:
	s_clause 0x1
	s_load_dwordx2 s[10:11], s[4:5], 0x40
	s_load_dwordx4 s[12:15], s[4:5], 0x0
	s_waitcnt lgkmcnt(0)
	s_and_b32 s0, s11, 0x7fffffff
	v_cmp_eq_f32_e64 s1, s10, 1.0
	s_cmp_eq_u32 s0, 0
	s_mov_b32 s0, 0
	s_cselect_b32 s20, -1, 0
	s_and_b32 s1, s1, s20
	s_andn2_b32 vcc_lo, exec_lo, s1
	s_mov_b32 s1, -1
	s_cbranch_vccnz .LBB395_4
; %bb.1:
	s_cmp_lg_u32 s13, 0
	s_cbranch_scc0 .LBB395_3
; %bb.2:
	v_cmp_neq_f32_e64 s0, s14, 0
	v_cmp_neq_f32_e64 s1, s15, 0
	s_or_b32 s0, s0, s1
.LBB395_3:
	s_mov_b32 s1, s0
.LBB395_4:
	s_and_b32 vcc_lo, exec_lo, s1
	s_cbranch_vccz .LBB395_32
; %bb.5:
	s_load_dwordx2 s[2:3], s[4:5], 0x48
	s_mov_b32 s9, 0
	v_cmp_eq_f32_e64 s16, s14, 0
	s_lshl_b64 s[0:1], s[8:9], 3
	v_cmp_eq_f32_e64 s17, s15, 0
	v_mov_b32_e32 v19, 0
	v_mov_b32_e32 v20, 0
	;; [unrolled: 1-line block ×8, first 2 shown]
	s_waitcnt lgkmcnt(0)
	s_add_u32 s2, s2, s0
	s_addc_u32 s3, s3, s1
	s_lshl_b32 s8, s6, 5
	s_load_dwordx2 s[2:3], s[2:3], 0x0
	s_lshl_b32 s21, s7, 5
	s_and_b32 s6, s16, s17
	s_cmp_lt_i32 s13, 1
	s_cselect_b32 s7, -1, 0
	s_or_b32 s6, s6, s7
	s_and_b32 vcc_lo, exec_lo, s6
	s_cbranch_vccnz .LBB395_16
; %bb.6:
	s_clause 0x4
	s_load_dword s6, s[4:5], 0x30
	s_load_dwordx4 s[16:19], s[4:5], 0x20
	s_load_dword s26, s[4:5], 0x18
	s_load_dwordx2 s[22:23], s[4:5], 0x10
	s_load_dwordx2 s[24:25], s[4:5], 0x38
	v_lshl_add_u32 v2, v1, 4, v0
	v_and_b32_e32 v6, 7, v0
	v_lshl_add_u32 v11, v1, 6, 0x800
	v_mov_b32_e32 v16, 0
	v_mov_b32_e32 v18, 0
	v_and_b32_e32 v3, 31, v2
	v_lshrrev_b32_e32 v4, 3, v2
	v_lshlrev_b32_e32 v5, 3, v6
	v_lshrrev_b32_e32 v7, 5, v2
	v_mov_b32_e32 v17, 0
	v_or_b32_e32 v8, s8, v3
	v_lshlrev_b32_e32 v9, 3, v3
	v_add_nc_u32_e32 v3, s8, v3
	v_add_nc_u32_e32 v2, s21, v4
	v_lshl_or_b32 v10, v4, 6, v5
	s_waitcnt lgkmcnt(0)
	s_ashr_i32 s7, s6, 31
	s_add_u32 s18, s18, s0
	v_mad_i64_i32 v[4:5], null, s26, v3, 0
	s_addc_u32 s19, s19, s1
	s_add_u32 s0, s22, s0
	v_mad_i64_i32 v[12:13], null, s6, v6, 0
	s_addc_u32 s1, s23, s1
	s_load_dwordx2 s[18:19], s[18:19], 0x0
	s_load_dwordx2 s[22:23], s[0:1], 0x0
	v_lshlrev_b64 v[4:5], 3, v[4:5]
	v_ashrrev_i32_e32 v3, 31, v2
	s_lshl_b64 s[16:17], s[16:17], 3
	v_lshlrev_b32_e32 v15, 3, v7
	v_lshlrev_b64 v[13:14], 3, v[12:13]
	v_cmp_gt_i32_e64 s0, s12, v2
	v_add_co_u32 v4, s1, v4, s16
	v_add_co_ci_u32_e64 v5, null, s17, v5, s1
	s_lshl_b64 s[16:17], s[24:25], 3
	v_lshlrev_b64 v[2:3], 3, v[2:3]
	v_add_co_u32 v13, s1, v13, s16
	v_add_co_ci_u32_e64 v14, null, s17, v14, s1
	v_add_co_u32 v4, s1, v4, v15
	v_add_co_ci_u32_e64 v5, null, 0, v5, s1
	;; [unrolled: 2-line block ×3, first 2 shown]
	s_waitcnt lgkmcnt(0)
	v_add_co_u32 v2, s1, s22, v4
	v_cmp_gt_i32_e32 vcc_lo, s12, v8
	v_add_co_ci_u32_e64 v3, null, s23, v5, s1
	v_add_co_u32 v4, s1, s18, v13
	v_lshl_or_b32 v8, v7, 8, v9
	v_add_nc_u32_e32 v9, 0x800, v10
	v_lshlrev_b32_e32 v10, 3, v0
	v_mov_b32_e32 v12, 0
	v_add_co_ci_u32_e64 v5, null, s19, v14, s1
	v_mov_b32_e32 v14, 0
	v_mov_b32_e32 v13, 0
	;; [unrolled: 1-line block ×5, first 2 shown]
	s_lshl_b64 s[6:7], s[6:7], 6
	s_xor_b32 s1, vcc_lo, -1
	s_xor_b32 s0, s0, -1
	s_branch .LBB395_8
.LBB395_7:                              ;   in Loop: Header=BB395_8 Depth=1
	s_or_b32 exec_lo, exec_lo, s16
	ds_write_b32 v9, v21 offset:4
	s_waitcnt lgkmcnt(0)
	s_barrier
	buffer_gl0_inv
	ds_read_b128 v[21:24], v11
	ds_read2_b64 v[25:28], v10 offset1:16
	ds_read_b128 v[29:32], v11 offset:1024
	ds_read_b128 v[33:36], v11 offset:16
	;; [unrolled: 1-line block ×4, first 2 shown]
	ds_read2_b64 v[45:48], v10 offset0:32 offset1:48
	ds_read_b128 v[49:52], v11 offset:1040
	v_add_co_u32 v2, vcc_lo, v2, 64
	v_add_co_ci_u32_e64 v3, null, 0, v3, vcc_lo
	v_add_co_u32 v4, vcc_lo, v4, s6
	v_add_co_ci_u32_e64 v5, null, s7, v5, vcc_lo
	s_add_i32 s9, s9, 8
	s_cmp_lt_i32 s9, s13
	s_waitcnt lgkmcnt(6)
	v_mul_f32_e32 v53, v22, v26
	v_mul_f32_e32 v54, v21, v26
	;; [unrolled: 1-line block ×4, first 2 shown]
	s_waitcnt lgkmcnt(5)
	v_mul_f32_e32 v57, v30, v26
	v_mul_f32_e32 v26, v29, v26
	;; [unrolled: 1-line block ×3, first 2 shown]
	v_fma_f32 v53, v21, v25, -v53
	v_fmac_f32_e32 v54, v22, v25
	v_fma_f32 v21, v21, v27, -v55
	v_fmac_f32_e32 v56, v22, v27
	;; [unrolled: 2-line block ×3, first 2 shown]
	v_mul_f32_e32 v28, v29, v28
	v_fma_f32 v25, v29, v27, -v58
	v_add_f32_e32 v19, v19, v53
	v_add_f32_e32 v21, v17, v21
	;; [unrolled: 1-line block ×5, first 2 shown]
	s_waitcnt lgkmcnt(1)
	v_mul_f32_e32 v53, v24, v46
	ds_read2_b64 v[15:18], v10 offset0:64 offset1:80
	v_fmac_f32_e32 v28, v30, v27
	v_add_f32_e32 v13, v13, v25
	v_mul_f32_e32 v25, v23, v46
	v_fma_f32 v27, v23, v45, -v53
	v_mul_f32_e32 v30, v24, v48
	v_add_f32_e32 v20, v20, v54
	v_add_f32_e32 v14, v14, v28
	v_fmac_f32_e32 v25, v24, v45
	v_mul_f32_e32 v28, v23, v48
	v_add_f32_e32 v27, v19, v27
	v_fma_f32 v19, v23, v47, -v30
	v_mul_f32_e32 v23, v32, v46
	v_add_f32_e32 v25, v20, v25
	v_fmac_f32_e32 v28, v24, v47
	v_mul_f32_e32 v20, v31, v46
	v_add_f32_e32 v24, v21, v19
	v_fma_f32 v19, v31, v45, -v23
	v_mul_f32_e32 v21, v32, v48
	v_add_f32_e32 v23, v29, v28
	v_fmac_f32_e32 v20, v32, v45
	v_mul_f32_e32 v28, v31, v48
	v_add_f32_e32 v29, v22, v19
	v_fma_f32 v19, v31, v47, -v21
	s_waitcnt lgkmcnt(0)
	v_mul_f32_e32 v21, v34, v16
	v_add_f32_e32 v26, v26, v20
	v_fmac_f32_e32 v28, v32, v47
	v_mul_f32_e32 v30, v33, v16
	v_add_f32_e32 v13, v13, v19
	v_fma_f32 v31, v33, v15, -v21
	v_mul_f32_e32 v32, v34, v18
	ds_read2_b64 v[19:22], v10 offset0:96 offset1:112
	v_fmac_f32_e32 v30, v34, v15
	v_add_f32_e32 v28, v14, v28
	v_add_f32_e32 v27, v27, v31
	v_mul_f32_e32 v14, v33, v18
	v_fma_f32 v31, v33, v17, -v32
	v_add_f32_e32 v25, v25, v30
	v_mul_f32_e32 v30, v50, v16
	v_mul_f32_e32 v16, v49, v16
	v_fmac_f32_e32 v14, v34, v17
	v_add_f32_e32 v24, v24, v31
	v_mul_f32_e32 v31, v50, v18
	v_fma_f32 v30, v49, v15, -v30
	v_fmac_f32_e32 v16, v50, v15
	v_mul_f32_e32 v18, v49, v18
	v_add_f32_e32 v32, v23, v14
	v_fma_f32 v14, v49, v17, -v31
	v_add_f32_e32 v29, v29, v30
	v_add_f32_e32 v30, v26, v16
	v_fmac_f32_e32 v18, v50, v17
	s_waitcnt lgkmcnt(0)
	v_mul_f32_e32 v17, v36, v20
	v_add_f32_e32 v31, v13, v14
	ds_read2_b64 v[13:16], v10 offset0:128 offset1:144
	v_mul_f32_e32 v23, v35, v20
	v_mul_f32_e32 v26, v36, v22
	v_fma_f32 v17, v35, v19, -v17
	v_add_f32_e32 v28, v28, v18
	v_mul_f32_e32 v18, v35, v22
	v_fmac_f32_e32 v23, v36, v19
	v_fma_f32 v26, v35, v21, -v26
	v_add_f32_e32 v27, v27, v17
	v_mul_f32_e32 v17, v52, v20
	v_fmac_f32_e32 v18, v36, v21
	v_mul_f32_e32 v20, v51, v20
	v_mul_f32_e32 v35, v52, v22
	v_add_f32_e32 v33, v25, v23
	v_fma_f32 v17, v51, v19, -v17
	v_add_f32_e32 v34, v24, v26
	ds_read_b128 v[23:26], v11 offset:1056
	v_add_f32_e32 v32, v32, v18
	v_fmac_f32_e32 v20, v52, v19
	v_mul_f32_e32 v22, v51, v22
	v_fma_f32 v18, v51, v21, -v35
	v_add_f32_e32 v35, v29, v17
	s_waitcnt lgkmcnt(1)
	v_mul_f32_e32 v17, v38, v14
	v_add_f32_e32 v36, v30, v20
	v_fmac_f32_e32 v22, v52, v21
	v_add_f32_e32 v21, v31, v18
	v_mul_f32_e32 v31, v37, v14
	v_fma_f32 v29, v37, v13, -v17
	ds_read2_b64 v[17:20], v10 offset0:160 offset1:176
	v_mul_f32_e32 v30, v38, v16
	v_mul_f32_e32 v46, v37, v16
	v_fmac_f32_e32 v31, v38, v13
	v_add_f32_e32 v22, v28, v22
	v_add_f32_e32 v45, v27, v29
	v_fma_f32 v37, v37, v15, -v30
	ds_read_b128 v[27:30], v11 offset:1072
	s_waitcnt lgkmcnt(2)
	v_mul_f32_e32 v47, v24, v14
	v_add_f32_e32 v31, v33, v31
	v_mul_f32_e32 v14, v23, v14
	v_add_f32_e32 v33, v34, v37
	v_mul_f32_e32 v37, v24, v16
	v_fmac_f32_e32 v46, v38, v15
	v_fma_f32 v34, v23, v13, -v47
	v_fmac_f32_e32 v14, v24, v13
	v_mul_f32_e32 v38, v23, v16
	v_fma_f32 v13, v23, v15, -v37
	v_add_f32_e32 v32, v32, v46
	v_add_f32_e32 v34, v35, v34
	s_waitcnt lgkmcnt(1)
	v_mul_f32_e32 v16, v40, v18
	v_add_f32_e32 v23, v36, v14
	v_fmac_f32_e32 v38, v24, v15
	v_mul_f32_e32 v24, v39, v18
	v_add_f32_e32 v21, v21, v13
	v_fma_f32 v35, v39, v17, -v16
	ds_read2_b64 v[13:16], v10 offset0:192 offset1:208
	v_mul_f32_e32 v36, v40, v20
	v_fmac_f32_e32 v24, v40, v17
	v_add_f32_e32 v37, v22, v38
	v_mul_f32_e32 v22, v39, v20
	v_add_f32_e32 v35, v45, v35
	v_fma_f32 v36, v39, v19, -v36
	v_add_f32_e32 v31, v31, v24
	v_mul_f32_e32 v24, v26, v18
	v_mul_f32_e32 v18, v25, v18
	v_fmac_f32_e32 v22, v40, v19
	v_add_f32_e32 v33, v33, v36
	v_mul_f32_e32 v36, v26, v20
	v_fma_f32 v24, v25, v17, -v24
	v_fmac_f32_e32 v18, v26, v17
	v_add_f32_e32 v17, v32, v22
	v_mul_f32_e32 v20, v25, v20
	v_fma_f32 v22, v25, v19, -v36
	v_add_f32_e32 v25, v34, v24
	v_add_f32_e32 v18, v23, v18
	s_waitcnt lgkmcnt(0)
	v_mul_f32_e32 v32, v42, v14
	v_fmac_f32_e32 v20, v26, v19
	v_add_f32_e32 v19, v21, v22
	ds_read2_b64 v[21:24], v10 offset0:224 offset1:240
	v_mul_f32_e32 v26, v41, v14
	v_fma_f32 v32, v41, v13, -v32
	v_mul_f32_e32 v34, v42, v16
	v_mul_f32_e32 v36, v41, v16
	v_add_f32_e32 v20, v37, v20
	v_fmac_f32_e32 v26, v42, v13
	v_add_f32_e32 v32, v35, v32
	v_mul_f32_e32 v35, v28, v14
	v_fma_f32 v34, v41, v15, -v34
	v_fmac_f32_e32 v36, v42, v15
	v_add_f32_e32 v26, v31, v26
	v_mul_f32_e32 v14, v27, v14
	v_fma_f32 v31, v27, v13, -v35
	v_add_f32_e32 v33, v33, v34
	v_mul_f32_e32 v34, v28, v16
	v_add_f32_e32 v35, v17, v36
	v_fmac_f32_e32 v14, v28, v13
	v_add_f32_e32 v13, v25, v31
	v_mul_f32_e32 v16, v27, v16
	v_fma_f32 v17, v27, v15, -v34
	s_waitcnt lgkmcnt(0)
	v_mul_f32_e32 v25, v44, v22
	v_mul_f32_e32 v27, v43, v22
	v_add_f32_e32 v14, v18, v14
	v_fmac_f32_e32 v16, v28, v15
	v_add_f32_e32 v28, v19, v17
	v_fma_f32 v15, v43, v21, -v25
	v_fmac_f32_e32 v27, v44, v21
	v_mul_f32_e32 v17, v44, v24
	v_mul_f32_e32 v18, v43, v24
	v_add_f32_e32 v25, v20, v16
	v_add_f32_e32 v19, v32, v15
	;; [unrolled: 1-line block ×3, first 2 shown]
	v_fma_f32 v15, v43, v23, -v17
	v_mul_f32_e32 v16, v30, v22
	v_mul_f32_e32 v22, v29, v22
	;; [unrolled: 1-line block ×4, first 2 shown]
	v_fmac_f32_e32 v18, v44, v23
	v_add_f32_e32 v17, v33, v15
	v_fma_f32 v15, v29, v21, -v16
	v_fmac_f32_e32 v22, v30, v21
	v_fma_f32 v21, v29, v23, -v26
	v_fmac_f32_e32 v24, v30, v23
	v_add_f32_e32 v18, v35, v18
	v_add_f32_e32 v15, v13, v15
	v_add_f32_e32 v16, v14, v22
	v_add_f32_e32 v13, v28, v21
	v_add_f32_e32 v14, v25, v24
	s_barrier
	buffer_gl0_inv
	s_cbranch_scc0 .LBB395_16
.LBB395_8:                              ; =>This Inner Loop Header: Depth=1
	v_add_nc_u32_e32 v21, s9, v7
	v_cmp_le_i32_e32 vcc_lo, s13, v21
	s_or_b32 s16, s1, vcc_lo
	s_and_saveexec_b32 s17, s16
	s_xor_b32 s16, exec_lo, s17
; %bb.9:                                ;   in Loop: Header=BB395_8 Depth=1
	ds_write_b32 v8, v12
; %bb.10:                               ;   in Loop: Header=BB395_8 Depth=1
	s_or_saveexec_b32 s16, s16
	v_mov_b32_e32 v21, 0
	s_xor_b32 exec_lo, exec_lo, s16
	s_cbranch_execz .LBB395_12
; %bb.11:                               ;   in Loop: Header=BB395_8 Depth=1
	flat_load_dwordx2 v[22:23], v[2:3]
	s_waitcnt vmcnt(0) lgkmcnt(0)
	v_xor_b32_e32 v21, 0x80000000, v23
	ds_write_b32 v8, v22
.LBB395_12:                             ;   in Loop: Header=BB395_8 Depth=1
	s_or_b32 exec_lo, exec_lo, s16
	v_add_nc_u32_e32 v22, s9, v6
	ds_write_b32 v8, v21 offset:4
	v_cmp_le_i32_e32 vcc_lo, s13, v22
	s_or_b32 s16, vcc_lo, s0
	s_and_saveexec_b32 s17, s16
	s_xor_b32 s16, exec_lo, s17
; %bb.13:                               ;   in Loop: Header=BB395_8 Depth=1
	ds_write_b32 v9, v12
; %bb.14:                               ;   in Loop: Header=BB395_8 Depth=1
	s_or_saveexec_b32 s16, s16
	v_mov_b32_e32 v21, 0
	s_xor_b32 exec_lo, exec_lo, s16
	s_cbranch_execz .LBB395_7
; %bb.15:                               ;   in Loop: Header=BB395_8 Depth=1
	flat_load_dwordx2 v[22:23], v[4:5]
	s_waitcnt vmcnt(0) lgkmcnt(0)
	v_xor_b32_e32 v21, 0x80000000, v23
	ds_write_b32 v9, v22
	s_branch .LBB395_7
.LBB395_16:
	s_clause 0x1
	s_load_dword s6, s[4:5], 0x50
	s_load_dwordx2 s[4:5], s[4:5], 0x58
	v_add_nc_u32_e32 v9, s21, v1
	v_add_nc_u32_e32 v0, s8, v0
	v_cmp_neq_f32_e64 s7, s10, 0
	v_cmp_le_i32_e32 vcc_lo, v9, v0
	v_cmp_gt_i32_e64 s0, s12, v0
	s_waitcnt lgkmcnt(0)
	v_mad_i64_i32 v[1:2], null, v9, s6, 0
	s_lshl_b64 s[4:5], s[4:5], 3
	s_add_u32 s4, s2, s4
	s_addc_u32 s3, s3, s5
	s_xor_b32 s2, s20, -1
	s_and_b32 s5, vcc_lo, s0
	v_lshlrev_b64 v[2:3], 3, v[1:2]
	s_or_b32 s2, s7, s2
	v_ashrrev_i32_e32 v1, 31, v0
	v_cndmask_b32_e64 v8, 0, 1, s2
	v_add_co_u32 v6, s1, s4, v2
	v_add_co_ci_u32_e64 v7, null, s3, v3, s1
	s_and_saveexec_b32 s1, s5
	s_cbranch_execz .LBB395_20
; %bb.17:
	v_lshlrev_b64 v[4:5], 3, v[0:1]
	v_mul_f32_e32 v2, s15, v20
	v_mul_f32_e32 v3, s14, v20
	v_fma_f32 v2, v19, s14, -v2
	v_add_co_u32 v4, vcc_lo, v6, v4
	v_fmac_f32_e32 v3, s15, v19
	v_add_co_ci_u32_e64 v5, null, v7, v5, vcc_lo
	s_andn2_b32 vcc_lo, exec_lo, s2
	s_cbranch_vccnz .LBB395_19
; %bb.18:
	flat_load_dwordx2 v[10:11], v[4:5]
	s_waitcnt vmcnt(0) lgkmcnt(0)
	v_mul_f32_e32 v12, s11, v11
	v_mul_f32_e32 v11, s10, v11
	v_fma_f32 v12, v10, s10, -v12
	v_fmac_f32_e32 v11, s11, v10
	v_add_f32_e32 v2, v2, v12
	v_add_f32_e32 v3, v3, v11
.LBB395_19:
	flat_store_dwordx2 v[4:5], v[2:3]
.LBB395_20:
	s_or_b32 exec_lo, exec_lo, s1
	v_add_nc_u32_e32 v2, 16, v0
	v_cmp_le_i32_e32 vcc_lo, v9, v2
	v_cmp_gt_i32_e64 s1, s12, v2
	v_ashrrev_i32_e32 v3, 31, v2
	s_and_b32 s2, vcc_lo, s1
	s_and_saveexec_b32 s5, s2
	s_cbranch_execz .LBB395_24
; %bb.21:
	v_lshlrev_b64 v[10:11], 3, v[2:3]
	v_mul_f32_e32 v4, s15, v18
	v_mul_f32_e32 v5, s14, v18
	v_cmp_ne_u32_e32 vcc_lo, 1, v8
	v_fma_f32 v4, v17, s14, -v4
	v_add_co_u32 v6, s2, v6, v10
	v_fmac_f32_e32 v5, s15, v17
	v_add_co_ci_u32_e64 v7, null, v7, v11, s2
	s_cbranch_vccnz .LBB395_23
; %bb.22:
	flat_load_dwordx2 v[10:11], v[6:7]
	s_waitcnt vmcnt(0) lgkmcnt(0)
	v_mul_f32_e32 v12, s11, v11
	v_mul_f32_e32 v11, s10, v11
	v_fma_f32 v12, v10, s10, -v12
	v_fmac_f32_e32 v11, s11, v10
	v_add_f32_e32 v4, v4, v12
	v_add_f32_e32 v5, v5, v11
.LBB395_23:
	flat_store_dwordx2 v[6:7], v[4:5]
.LBB395_24:
	s_or_b32 exec_lo, exec_lo, s5
	v_add_nc_u32_e32 v9, 16, v9
	v_mad_i64_i32 v[4:5], null, v9, s6, 0
	v_cmp_le_i32_e32 vcc_lo, v9, v0
	s_and_b32 s0, vcc_lo, s0
	v_lshlrev_b64 v[4:5], 3, v[4:5]
	v_add_co_u32 v6, s2, s4, v4
	v_add_co_ci_u32_e64 v7, null, s3, v5, s2
	s_and_saveexec_b32 s2, s0
	s_cbranch_execz .LBB395_28
; %bb.25:
	v_lshlrev_b64 v[0:1], 3, v[0:1]
	v_mul_f32_e32 v4, s15, v16
	v_mul_f32_e32 v5, s14, v16
	v_cmp_ne_u32_e32 vcc_lo, 1, v8
	v_fma_f32 v4, v15, s14, -v4
	v_add_co_u32 v0, s0, v6, v0
	v_fmac_f32_e32 v5, s15, v15
	v_add_co_ci_u32_e64 v1, null, v7, v1, s0
	s_cbranch_vccnz .LBB395_27
; %bb.26:
	flat_load_dwordx2 v[10:11], v[0:1]
	s_waitcnt vmcnt(0) lgkmcnt(0)
	v_mul_f32_e32 v12, s11, v11
	v_mul_f32_e32 v11, s10, v11
	v_fma_f32 v12, v10, s10, -v12
	v_fmac_f32_e32 v11, s11, v10
	v_add_f32_e32 v4, v4, v12
	v_add_f32_e32 v5, v5, v11
.LBB395_27:
	flat_store_dwordx2 v[0:1], v[4:5]
.LBB395_28:
	s_or_b32 exec_lo, exec_lo, s2
	v_cmp_le_i32_e32 vcc_lo, v9, v2
	s_and_b32 s0, vcc_lo, s1
	s_and_saveexec_b32 s1, s0
	s_cbranch_execz .LBB395_32
; %bb.29:
	v_lshlrev_b64 v[2:3], 3, v[2:3]
	v_mul_f32_e32 v0, s15, v14
	v_mul_f32_e32 v1, s14, v14
	v_cmp_ne_u32_e32 vcc_lo, 1, v8
	v_fma_f32 v0, v13, s14, -v0
	v_add_co_u32 v2, s0, v6, v2
	v_fmac_f32_e32 v1, s15, v13
	v_add_co_ci_u32_e64 v3, null, v7, v3, s0
	s_cbranch_vccnz .LBB395_31
; %bb.30:
	flat_load_dwordx2 v[4:5], v[2:3]
	s_waitcnt vmcnt(0) lgkmcnt(0)
	v_mul_f32_e32 v6, s11, v5
	v_mul_f32_e32 v5, s10, v5
	v_fma_f32 v6, v4, s10, -v6
	v_fmac_f32_e32 v5, s11, v4
	v_add_f32_e32 v0, v0, v6
	v_add_f32_e32 v1, v1, v5
.LBB395_31:
	flat_store_dwordx2 v[2:3], v[0:1]
.LBB395_32:
	s_endpgm
	.section	.rodata,"a",@progbits
	.p2align	6, 0x0
	.amdhsa_kernel _ZL29rocblas_internal_gemmt_kernelIiLi16ELi32ELi8ELc67ELc67ELc76ELb1ELb1E19rocblas_complex_numIfES1_PKPKS1_PKPS1_EviT_T9_T10_S9_lSB_S9_lSA_T11_S9_li
		.amdhsa_group_segment_fixed_size 4096
		.amdhsa_private_segment_fixed_size 0
		.amdhsa_kernarg_size 100
		.amdhsa_user_sgpr_count 6
		.amdhsa_user_sgpr_private_segment_buffer 1
		.amdhsa_user_sgpr_dispatch_ptr 0
		.amdhsa_user_sgpr_queue_ptr 0
		.amdhsa_user_sgpr_kernarg_segment_ptr 1
		.amdhsa_user_sgpr_dispatch_id 0
		.amdhsa_user_sgpr_flat_scratch_init 0
		.amdhsa_user_sgpr_private_segment_size 0
		.amdhsa_wavefront_size32 1
		.amdhsa_uses_dynamic_stack 0
		.amdhsa_system_sgpr_private_segment_wavefront_offset 0
		.amdhsa_system_sgpr_workgroup_id_x 1
		.amdhsa_system_sgpr_workgroup_id_y 1
		.amdhsa_system_sgpr_workgroup_id_z 1
		.amdhsa_system_sgpr_workgroup_info 0
		.amdhsa_system_vgpr_workitem_id 1
		.amdhsa_next_free_vgpr 59
		.amdhsa_next_free_sgpr 27
		.amdhsa_reserve_vcc 1
		.amdhsa_reserve_flat_scratch 0
		.amdhsa_float_round_mode_32 0
		.amdhsa_float_round_mode_16_64 0
		.amdhsa_float_denorm_mode_32 3
		.amdhsa_float_denorm_mode_16_64 3
		.amdhsa_dx10_clamp 1
		.amdhsa_ieee_mode 1
		.amdhsa_fp16_overflow 0
		.amdhsa_workgroup_processor_mode 1
		.amdhsa_memory_ordered 1
		.amdhsa_forward_progress 1
		.amdhsa_shared_vgpr_count 0
		.amdhsa_exception_fp_ieee_invalid_op 0
		.amdhsa_exception_fp_denorm_src 0
		.amdhsa_exception_fp_ieee_div_zero 0
		.amdhsa_exception_fp_ieee_overflow 0
		.amdhsa_exception_fp_ieee_underflow 0
		.amdhsa_exception_fp_ieee_inexact 0
		.amdhsa_exception_int_div_zero 0
	.end_amdhsa_kernel
	.section	.text._ZL29rocblas_internal_gemmt_kernelIiLi16ELi32ELi8ELc67ELc67ELc76ELb1ELb1E19rocblas_complex_numIfES1_PKPKS1_PKPS1_EviT_T9_T10_S9_lSB_S9_lSA_T11_S9_li,"axG",@progbits,_ZL29rocblas_internal_gemmt_kernelIiLi16ELi32ELi8ELc67ELc67ELc76ELb1ELb1E19rocblas_complex_numIfES1_PKPKS1_PKPS1_EviT_T9_T10_S9_lSB_S9_lSA_T11_S9_li,comdat
.Lfunc_end395:
	.size	_ZL29rocblas_internal_gemmt_kernelIiLi16ELi32ELi8ELc67ELc67ELc76ELb1ELb1E19rocblas_complex_numIfES1_PKPKS1_PKPS1_EviT_T9_T10_S9_lSB_S9_lSA_T11_S9_li, .Lfunc_end395-_ZL29rocblas_internal_gemmt_kernelIiLi16ELi32ELi8ELc67ELc67ELc76ELb1ELb1E19rocblas_complex_numIfES1_PKPKS1_PKPS1_EviT_T9_T10_S9_lSB_S9_lSA_T11_S9_li
                                        ; -- End function
	.set _ZL29rocblas_internal_gemmt_kernelIiLi16ELi32ELi8ELc67ELc67ELc76ELb1ELb1E19rocblas_complex_numIfES1_PKPKS1_PKPS1_EviT_T9_T10_S9_lSB_S9_lSA_T11_S9_li.num_vgpr, 59
	.set _ZL29rocblas_internal_gemmt_kernelIiLi16ELi32ELi8ELc67ELc67ELc76ELb1ELb1E19rocblas_complex_numIfES1_PKPKS1_PKPS1_EviT_T9_T10_S9_lSB_S9_lSA_T11_S9_li.num_agpr, 0
	.set _ZL29rocblas_internal_gemmt_kernelIiLi16ELi32ELi8ELc67ELc67ELc76ELb1ELb1E19rocblas_complex_numIfES1_PKPKS1_PKPS1_EviT_T9_T10_S9_lSB_S9_lSA_T11_S9_li.numbered_sgpr, 27
	.set _ZL29rocblas_internal_gemmt_kernelIiLi16ELi32ELi8ELc67ELc67ELc76ELb1ELb1E19rocblas_complex_numIfES1_PKPKS1_PKPS1_EviT_T9_T10_S9_lSB_S9_lSA_T11_S9_li.num_named_barrier, 0
	.set _ZL29rocblas_internal_gemmt_kernelIiLi16ELi32ELi8ELc67ELc67ELc76ELb1ELb1E19rocblas_complex_numIfES1_PKPKS1_PKPS1_EviT_T9_T10_S9_lSB_S9_lSA_T11_S9_li.private_seg_size, 0
	.set _ZL29rocblas_internal_gemmt_kernelIiLi16ELi32ELi8ELc67ELc67ELc76ELb1ELb1E19rocblas_complex_numIfES1_PKPKS1_PKPS1_EviT_T9_T10_S9_lSB_S9_lSA_T11_S9_li.uses_vcc, 1
	.set _ZL29rocblas_internal_gemmt_kernelIiLi16ELi32ELi8ELc67ELc67ELc76ELb1ELb1E19rocblas_complex_numIfES1_PKPKS1_PKPS1_EviT_T9_T10_S9_lSB_S9_lSA_T11_S9_li.uses_flat_scratch, 0
	.set _ZL29rocblas_internal_gemmt_kernelIiLi16ELi32ELi8ELc67ELc67ELc76ELb1ELb1E19rocblas_complex_numIfES1_PKPKS1_PKPS1_EviT_T9_T10_S9_lSB_S9_lSA_T11_S9_li.has_dyn_sized_stack, 0
	.set _ZL29rocblas_internal_gemmt_kernelIiLi16ELi32ELi8ELc67ELc67ELc76ELb1ELb1E19rocblas_complex_numIfES1_PKPKS1_PKPS1_EviT_T9_T10_S9_lSB_S9_lSA_T11_S9_li.has_recursion, 0
	.set _ZL29rocblas_internal_gemmt_kernelIiLi16ELi32ELi8ELc67ELc67ELc76ELb1ELb1E19rocblas_complex_numIfES1_PKPKS1_PKPS1_EviT_T9_T10_S9_lSB_S9_lSA_T11_S9_li.has_indirect_call, 0
	.section	.AMDGPU.csdata,"",@progbits
; Kernel info:
; codeLenInByte = 2564
; TotalNumSgprs: 29
; NumVgprs: 59
; ScratchSize: 0
; MemoryBound: 0
; FloatMode: 240
; IeeeMode: 1
; LDSByteSize: 4096 bytes/workgroup (compile time only)
; SGPRBlocks: 0
; VGPRBlocks: 7
; NumSGPRsForWavesPerEU: 29
; NumVGPRsForWavesPerEU: 59
; Occupancy: 16
; WaveLimiterHint : 1
; COMPUTE_PGM_RSRC2:SCRATCH_EN: 0
; COMPUTE_PGM_RSRC2:USER_SGPR: 6
; COMPUTE_PGM_RSRC2:TRAP_HANDLER: 0
; COMPUTE_PGM_RSRC2:TGID_X_EN: 1
; COMPUTE_PGM_RSRC2:TGID_Y_EN: 1
; COMPUTE_PGM_RSRC2:TGID_Z_EN: 1
; COMPUTE_PGM_RSRC2:TIDIG_COMP_CNT: 1
	.section	.text._ZL29rocblas_internal_gemmt_kernelIiLi16ELi32ELi8ELc78ELc78ELc85ELb0ELb0E19rocblas_complex_numIdEPKS1_PKS3_PKPS1_EviT_T9_T10_S9_lSB_S9_lSA_T11_S9_li,"axG",@progbits,_ZL29rocblas_internal_gemmt_kernelIiLi16ELi32ELi8ELc78ELc78ELc85ELb0ELb0E19rocblas_complex_numIdEPKS1_PKS3_PKPS1_EviT_T9_T10_S9_lSB_S9_lSA_T11_S9_li,comdat
	.globl	_ZL29rocblas_internal_gemmt_kernelIiLi16ELi32ELi8ELc78ELc78ELc85ELb0ELb0E19rocblas_complex_numIdEPKS1_PKS3_PKPS1_EviT_T9_T10_S9_lSB_S9_lSA_T11_S9_li ; -- Begin function _ZL29rocblas_internal_gemmt_kernelIiLi16ELi32ELi8ELc78ELc78ELc85ELb0ELb0E19rocblas_complex_numIdEPKS1_PKS3_PKPS1_EviT_T9_T10_S9_lSB_S9_lSA_T11_S9_li
	.p2align	8
	.type	_ZL29rocblas_internal_gemmt_kernelIiLi16ELi32ELi8ELc78ELc78ELc85ELb0ELb0E19rocblas_complex_numIdEPKS1_PKS3_PKPS1_EviT_T9_T10_S9_lSB_S9_lSA_T11_S9_li,@function
_ZL29rocblas_internal_gemmt_kernelIiLi16ELi32ELi8ELc78ELc78ELc85ELb0ELb0E19rocblas_complex_numIdEPKS1_PKS3_PKPS1_EviT_T9_T10_S9_lSB_S9_lSA_T11_S9_li: ; @_ZL29rocblas_internal_gemmt_kernelIiLi16ELi32ELi8ELc78ELc78ELc85ELb0ELb0E19rocblas_complex_numIdEPKS1_PKS3_PKPS1_EviT_T9_T10_S9_lSB_S9_lSA_T11_S9_li
; %bb.0:
	s_load_dwordx4 s[20:23], s[4:5], 0x38
	s_waitcnt lgkmcnt(0)
	s_load_dwordx4 s[12:15], s[22:23], 0x0
	s_clause 0x1
	s_load_dwordx4 s[0:3], s[4:5], 0x8
	s_load_dwordx2 s[10:11], s[4:5], 0x0
	s_waitcnt lgkmcnt(0)
	s_load_dwordx4 s[16:19], s[0:1], 0x0
	v_cmp_eq_f64_e64 s9, s[12:13], 1.0
	v_cmp_eq_f64_e64 s30, s[14:15], 0
	s_and_b32 s0, s9, s30
	s_andn2_b32 vcc_lo, exec_lo, s0
	s_mov_b32 s0, -1
	s_cbranch_vccnz .LBB396_3
; %bb.1:
	s_cmp_lg_u32 s11, 0
	s_cbranch_scc0 .LBB396_31
; %bb.2:
	s_waitcnt lgkmcnt(0)
	v_cmp_neq_f64_e64 s0, s[16:17], 0
	v_cmp_neq_f64_e64 s1, s[18:19], 0
	s_or_b32 s0, s0, s1
.LBB396_3:
	s_and_b32 vcc_lo, exec_lo, s0
	s_cbranch_vccz .LBB396_32
; %bb.4:
	s_load_dwordx2 s[0:1], s[4:5], 0x48
	s_waitcnt lgkmcnt(0)
	v_cmp_eq_f64_e64 s24, s[16:17], 0
	v_cmp_eq_f64_e64 s25, s[18:19], 0
	s_mov_b32 s9, 0
	v_mov_b32_e32 v22, 0
	s_lshl_b64 s[28:29], s[8:9], 3
	v_mov_b32_e32 v24, 0
	v_mov_b32_e32 v18, 0
	;; [unrolled: 1-line block ×14, first 2 shown]
	s_add_u32 s0, s0, s28
	s_addc_u32 s1, s1, s29
	s_lshl_b32 s8, s6, 5
	s_load_dwordx2 s[22:23], s[0:1], 0x0
	s_lshl_b32 s31, s7, 5
	s_and_b32 s0, s24, s25
	s_cmp_lt_i32 s11, 1
	v_mov_b32_e32 v7, 0
	s_cselect_b32 s1, -1, 0
	s_or_b32 s0, s0, s1
	s_and_b32 vcc_lo, exec_lo, s0
	s_cbranch_vccnz .LBB396_15
; %bb.5:
	s_clause 0x2
	s_load_dword s6, s[4:5], 0x18
	s_load_dword s1, s[4:5], 0x30
	s_load_dwordx4 s[24:27], s[4:5], 0x20
	v_lshl_add_u32 v2, v1, 4, v0
	v_and_b32_e32 v26, 7, v0
	v_mov_b32_e32 v16, 0
	v_mov_b32_e32 v14, 0
	;; [unrolled: 1-line block ×3, first 2 shown]
	v_and_b32_e32 v6, 31, v2
	v_lshrrev_b32_e32 v3, 3, v2
	v_lshrrev_b32_e32 v27, 5, v2
	v_lshlrev_b32_e32 v8, 4, v26
	v_mov_b32_e32 v18, 0
	v_or_b32_e32 v2, s8, v6
	v_lshlrev_b32_e32 v4, 4, v6
	v_add_nc_u32_e32 v5, s31, v3
	v_lshl_or_b32 v7, v3, 7, v8
	v_add_nc_u32_e32 v6, s8, v6
	v_cmp_gt_i32_e32 vcc_lo, s10, v2
	v_lshl_or_b32 v28, v27, 9, v4
	v_cmp_gt_i32_e64 s0, s10, v5
	s_waitcnt lgkmcnt(0)
	v_mad_i64_i32 v[2:3], null, v27, s6, 0
	s_ashr_i32 s7, s6, 31
	s_add_u32 s26, s26, s28
	s_addc_u32 s27, s27, s29
	v_mad_i64_i32 v[4:5], null, s1, v5, 0
	s_add_u32 s2, s2, s28
	s_addc_u32 s3, s3, s29
	s_load_dwordx2 s[26:27], s[26:27], 0x0
	s_load_dwordx2 s[2:3], s[2:3], 0x0
	v_lshlrev_b64 v[2:3], 4, v[2:3]
	v_add_nc_u32_e32 v29, 0x1000, v7
	v_ashrrev_i32_e32 v7, 31, v6
	s_lshl_b64 s[24:25], s[24:25], 4
	v_lshlrev_b64 v[4:5], 4, v[4:5]
	s_lshl_b64 s[20:21], s[20:21], 4
	v_add_co_u32 v9, s1, v2, s24
	v_add_co_ci_u32_e64 v10, null, s25, v3, s1
	v_lshlrev_b64 v[2:3], 4, v[6:7]
	v_add_co_u32 v4, s1, v4, s20
	v_add_co_ci_u32_e64 v5, null, s21, v5, s1
	v_mov_b32_e32 v6, 0
	v_add_co_u32 v2, s1, v9, v2
	v_add_co_ci_u32_e64 v3, null, v10, v3, s1
	v_add_co_u32 v4, s1, v4, v8
	v_add_co_ci_u32_e64 v5, null, 0, v5, s1
	s_waitcnt lgkmcnt(0)
	v_add_co_u32 v10, s1, s2, v2
	v_add_co_ci_u32_e64 v11, null, s3, v3, s1
	v_add_co_u32 v12, s1, s26, v4
	v_mov_b32_e32 v8, 0
	v_mov_b32_e32 v24, 0
	;; [unrolled: 1-line block ×3, first 2 shown]
	v_lshlrev_b32_e32 v30, 4, v0
	v_lshl_add_u32 v31, v1, 7, 0x1000
	v_add_co_ci_u32_e64 v13, null, s27, v5, s1
	v_mov_b32_e32 v7, 0
	v_mov_b32_e32 v9, 0
	;; [unrolled: 1-line block ×9, first 2 shown]
	s_lshl_b64 s[2:3], s[6:7], 7
	s_xor_b32 s1, vcc_lo, -1
	s_xor_b32 s0, s0, -1
	s_branch .LBB396_7
.LBB396_6:                              ;   in Loop: Header=BB396_7 Depth=1
	s_or_b32 exec_lo, exec_lo, s6
	s_waitcnt lgkmcnt(0)
	s_barrier
	buffer_gl0_inv
	ds_read_b128 v[32:35], v31
	ds_read_b128 v[36:39], v30
	ds_read_b128 v[40:43], v30 offset:256
	ds_read_b128 v[44:47], v31 offset:2048
	;; [unrolled: 1-line block ×12, first 2 shown]
	v_add_co_u32 v10, vcc_lo, v10, s2
	v_add_co_ci_u32_e64 v11, null, s3, v11, vcc_lo
	v_add_co_u32 v12, vcc_lo, 0x80, v12
	v_add_co_ci_u32_e64 v13, null, 0, v13, vcc_lo
	s_waitcnt lgkmcnt(12)
	v_mul_f64 v[3:4], v[34:35], v[38:39]
	v_mul_f64 v[88:89], v[32:33], v[38:39]
	s_waitcnt lgkmcnt(11)
	v_mul_f64 v[90:91], v[34:35], v[42:43]
	v_mul_f64 v[92:93], v[32:33], v[42:43]
	;; [unrolled: 3-line block ×3, first 2 shown]
	v_mul_f64 v[96:97], v[46:47], v[42:43]
	v_mul_f64 v[42:43], v[44:45], v[42:43]
	s_waitcnt lgkmcnt(8)
	v_mul_f64 v[98:99], v[50:51], v[54:55]
	v_mul_f64 v[100:101], v[48:49], v[54:55]
	s_waitcnt lgkmcnt(7)
	;; [unrolled: 3-line block ×3, first 2 shown]
	v_mul_f64 v[106:107], v[62:63], v[54:55]
	v_mul_f64 v[54:55], v[60:61], v[54:55]
	;; [unrolled: 1-line block ×4, first 2 shown]
	s_waitcnt lgkmcnt(4)
	v_mul_f64 v[110:111], v[66:67], v[70:71]
	v_mul_f64 v[112:113], v[64:65], v[70:71]
	s_waitcnt lgkmcnt(3)
	v_mul_f64 v[114:115], v[66:67], v[74:75]
	v_mul_f64 v[116:117], v[64:65], v[74:75]
	;; [unrolled: 3-line block ×3, first 2 shown]
	v_fma_f64 v[3:4], v[32:33], v[36:37], -v[3:4]
	v_fma_f64 v[88:89], v[34:35], v[36:37], v[88:89]
	v_fma_f64 v[90:91], v[32:33], v[40:41], -v[90:91]
	v_fma_f64 v[92:93], v[34:35], v[40:41], v[92:93]
	;; [unrolled: 2-line block ×4, first 2 shown]
	v_mul_f64 v[124:125], v[78:79], v[74:75]
	v_mul_f64 v[74:75], v[76:77], v[74:75]
	ds_read_b128 v[32:35], v30 offset:1536
	ds_read_b128 v[36:39], v30 offset:1792
	v_fma_f64 v[98:99], v[48:49], v[52:53], -v[98:99]
	v_fma_f64 v[100:101], v[50:51], v[52:53], v[100:101]
	v_fma_f64 v[102:103], v[48:49], v[56:57], -v[102:103]
	v_fma_f64 v[104:105], v[50:51], v[56:57], v[104:105]
	;; [unrolled: 2-line block ×7, first 2 shown]
	v_add_f64 v[22:23], v[22:23], v[3:4]
	v_add_f64 v[24:25], v[88:89], v[24:25]
	;; [unrolled: 1-line block ×4, first 2 shown]
	s_waitcnt lgkmcnt(1)
	v_mul_f64 v[110:111], v[82:83], v[34:35]
	v_mul_f64 v[112:113], v[80:81], v[34:35]
	s_waitcnt lgkmcnt(0)
	v_mul_f64 v[70:71], v[82:83], v[38:39]
	v_fma_f64 v[76:77], v[76:77], v[72:73], -v[124:125]
	v_fma_f64 v[72:73], v[78:79], v[72:73], v[74:75]
	v_add_f64 v[74:75], v[14:15], v[94:95]
	v_add_f64 v[78:79], v[120:121], v[16:17]
	;; [unrolled: 1-line block ×4, first 2 shown]
	ds_read_b128 v[40:43], v31 offset:64
	ds_read_b128 v[44:47], v30 offset:2048
	ds_read_b128 v[48:51], v30 offset:2304
	v_mul_f64 v[114:115], v[80:81], v[38:39]
	v_mul_f64 v[116:117], v[86:87], v[34:35]
	;; [unrolled: 1-line block ×5, first 2 shown]
	ds_read_b128 v[52:55], v31 offset:2112
	ds_read_b128 v[14:17], v31 offset:2128
	v_add_f64 v[98:99], v[22:23], v[98:99]
	v_add_f64 v[100:101], v[100:101], v[24:25]
	;; [unrolled: 1-line block ×4, first 2 shown]
	v_fma_f64 v[92:93], v[80:81], v[32:33], -v[110:111]
	v_fma_f64 v[94:95], v[82:83], v[32:33], v[112:113]
	v_fma_f64 v[70:71], v[80:81], v[36:37], -v[70:71]
	ds_read_b128 v[18:21], v30 offset:2560
	ds_read_b128 v[3:6], v31 offset:80
	ds_read_b128 v[22:25], v30 offset:2816
	v_add_f64 v[74:75], v[74:75], v[106:107]
	s_waitcnt lgkmcnt(6)
	v_mul_f64 v[80:81], v[42:43], v[46:47]
	v_mul_f64 v[96:97], v[40:41], v[46:47]
	s_waitcnt lgkmcnt(5)
	v_mul_f64 v[110:111], v[42:43], v[50:51]
	v_mul_f64 v[112:113], v[40:41], v[50:51]
	v_add_f64 v[78:79], v[126:127], v[78:79]
	v_add_f64 v[7:8], v[8:9], v[60:61]
	;; [unrolled: 1-line block ×3, first 2 shown]
	v_fma_f64 v[82:83], v[82:83], v[36:37], v[114:115]
	s_waitcnt lgkmcnt(4)
	v_mul_f64 v[114:115], v[54:55], v[46:47]
	v_mul_f64 v[46:47], v[52:53], v[46:47]
	v_fma_f64 v[60:61], v[84:85], v[32:33], -v[116:117]
	v_fma_f64 v[88:89], v[86:87], v[32:33], v[34:35]
	v_fma_f64 v[84:85], v[84:85], v[36:37], -v[90:91]
	v_fma_f64 v[86:87], v[86:87], v[36:37], v[38:39]
	v_add_f64 v[58:59], v[98:99], v[58:59]
	v_add_f64 v[62:63], v[62:63], v[100:101]
	;; [unrolled: 1-line block ×4, first 2 shown]
	s_waitcnt lgkmcnt(0)
	v_mul_f64 v[98:99], v[3:4], v[24:25]
	v_mul_f64 v[100:101], v[16:17], v[20:21]
	;; [unrolled: 1-line block ×3, first 2 shown]
	v_add_f64 v[74:75], v[74:75], v[108:109]
	v_fma_f64 v[80:81], v[40:41], v[44:45], -v[80:81]
	v_fma_f64 v[90:91], v[42:43], v[44:45], v[96:97]
	v_fma_f64 v[96:97], v[40:41], v[48:49], -v[110:111]
	v_fma_f64 v[106:107], v[42:43], v[48:49], v[112:113]
	v_mul_f64 v[40:41], v[54:55], v[50:51]
	v_mul_f64 v[42:43], v[52:53], v[50:51]
	v_add_f64 v[68:69], v[68:69], v[78:79]
	v_add_f64 v[7:8], v[7:8], v[76:77]
	;; [unrolled: 1-line block ×3, first 2 shown]
	v_fma_f64 v[50:51], v[52:53], v[44:45], -v[114:115]
	v_fma_f64 v[110:111], v[54:55], v[44:45], v[46:47]
	v_mul_f64 v[72:73], v[5:6], v[20:21]
	v_mul_f64 v[76:77], v[3:4], v[20:21]
	;; [unrolled: 1-line block ×5, first 2 shown]
	ds_read_b128 v[32:35], v31 offset:96
	ds_read_b128 v[36:39], v30 offset:3072
	s_add_i32 s9, s9, 8
	s_cmp_lt_i32 s9, s11
	v_add_f64 v[60:61], v[74:75], v[60:61]
	v_fma_f64 v[74:75], v[5:6], v[22:23], v[98:99]
	v_fma_f64 v[52:53], v[52:53], v[48:49], -v[40:41]
	v_fma_f64 v[48:49], v[54:55], v[48:49], v[42:43]
	v_add_f64 v[54:55], v[58:59], v[92:93]
	v_add_f64 v[58:59], v[94:95], v[62:63]
	;; [unrolled: 1-line block ×7, first 2 shown]
	ds_read_b128 v[40:43], v30 offset:3328
	ds_read_b128 v[44:47], v31 offset:2144
	v_fma_f64 v[68:69], v[3:4], v[18:19], -v[72:73]
	v_fma_f64 v[70:71], v[5:6], v[18:19], v[76:77]
	v_fma_f64 v[72:73], v[3:4], v[22:23], -v[78:79]
	v_fma_f64 v[76:77], v[14:15], v[18:19], -v[100:101]
	v_fma_f64 v[78:79], v[16:17], v[18:19], v[20:21]
	v_fma_f64 v[82:83], v[14:15], v[22:23], -v[102:103]
	s_waitcnt lgkmcnt(2)
	v_mul_f64 v[84:85], v[34:35], v[38:39]
	v_fma_f64 v[86:87], v[16:17], v[22:23], v[24:25]
	v_mul_f64 v[88:89], v[32:33], v[38:39]
	v_add_f64 v[50:51], v[60:61], v[50:51]
	ds_read_b128 v[3:6], v31 offset:112
	ds_read_b128 v[14:17], v31 offset:2160
	;; [unrolled: 1-line block ×4, first 2 shown]
	s_waitcnt lgkmcnt(0)
	v_add_f64 v[54:55], v[54:55], v[80:81]
	v_add_f64 v[58:59], v[90:91], v[58:59]
	;; [unrolled: 1-line block ×4, first 2 shown]
	v_mul_f64 v[92:93], v[34:35], v[42:43]
	v_mul_f64 v[94:95], v[32:33], v[42:43]
	;; [unrolled: 1-line block ×4, first 2 shown]
	v_add_f64 v[60:61], v[110:111], v[66:67]
	v_add_f64 v[7:8], v[7:8], v[52:53]
	;; [unrolled: 1-line block ×3, first 2 shown]
	v_mul_f64 v[52:53], v[46:47], v[42:43]
	v_mul_f64 v[42:43], v[44:45], v[42:43]
	s_barrier
	v_fma_f64 v[56:57], v[32:33], v[36:37], -v[84:85]
	buffer_gl0_inv
	v_fma_f64 v[66:67], v[34:35], v[36:37], v[88:89]
	v_add_f64 v[50:51], v[50:51], v[76:77]
	v_fma_f64 v[32:33], v[32:33], v[40:41], -v[92:93]
	v_fma_f64 v[34:35], v[34:35], v[40:41], v[94:95]
	v_fma_f64 v[80:81], v[44:45], v[36:37], -v[98:99]
	v_fma_f64 v[36:37], v[46:47], v[36:37], v[38:39]
	v_add_f64 v[38:39], v[54:55], v[68:69]
	v_add_f64 v[54:55], v[70:71], v[58:59]
	;; [unrolled: 1-line block ×7, first 2 shown]
	v_fma_f64 v[44:45], v[44:45], v[40:41], -v[52:53]
	v_fma_f64 v[40:41], v[46:47], v[40:41], v[42:43]
	v_mul_f64 v[42:43], v[5:6], v[20:21]
	v_mul_f64 v[46:47], v[3:4], v[20:21]
	;; [unrolled: 1-line block ×8, first 2 shown]
	v_add_f64 v[50:51], v[50:51], v[80:81]
	v_add_f64 v[38:39], v[38:39], v[56:57]
	;; [unrolled: 1-line block ×8, first 2 shown]
	v_fma_f64 v[42:43], v[3:4], v[18:19], -v[42:43]
	v_fma_f64 v[44:45], v[5:6], v[18:19], v[46:47]
	v_fma_f64 v[3:4], v[3:4], v[22:23], -v[52:53]
	v_fma_f64 v[5:6], v[5:6], v[22:23], v[64:65]
	;; [unrolled: 2-line block ×4, first 2 shown]
	v_add_f64 v[22:23], v[38:39], v[42:43]
	v_add_f64 v[24:25], v[44:45], v[54:55]
	;; [unrolled: 1-line block ×8, first 2 shown]
	s_cbranch_scc0 .LBB396_15
.LBB396_7:                              ; =>This Inner Loop Header: Depth=1
	v_add_nc_u32_e32 v3, s9, v27
	v_cmp_le_i32_e32 vcc_lo, s11, v3
	s_or_b32 s6, s1, vcc_lo
	s_and_saveexec_b32 s7, s6
	s_xor_b32 s6, exec_lo, s7
	s_cbranch_execz .LBB396_9
; %bb.8:                                ;   in Loop: Header=BB396_7 Depth=1
	v_mov_b32_e32 v3, v2
	v_mov_b32_e32 v4, v2
	;; [unrolled: 1-line block ×3, first 2 shown]
	ds_write_b128 v28, v[2:5]
.LBB396_9:                              ;   in Loop: Header=BB396_7 Depth=1
	s_andn2_saveexec_b32 s6, s6
	s_cbranch_execz .LBB396_11
; %bb.10:                               ;   in Loop: Header=BB396_7 Depth=1
	flat_load_dwordx4 v[32:35], v[10:11]
	s_waitcnt vmcnt(0) lgkmcnt(0)
	ds_write2_b64 v28, v[32:33], v[34:35] offset1:1
.LBB396_11:                             ;   in Loop: Header=BB396_7 Depth=1
	s_or_b32 exec_lo, exec_lo, s6
	v_add_nc_u32_e32 v3, s9, v26
	v_cmp_le_i32_e32 vcc_lo, s11, v3
	s_or_b32 s6, vcc_lo, s0
	s_and_saveexec_b32 s7, s6
	s_xor_b32 s6, exec_lo, s7
	s_cbranch_execz .LBB396_13
; %bb.12:                               ;   in Loop: Header=BB396_7 Depth=1
	v_mov_b32_e32 v3, v2
	v_mov_b32_e32 v4, v2
	;; [unrolled: 1-line block ×3, first 2 shown]
	ds_write_b128 v29, v[2:5]
.LBB396_13:                             ;   in Loop: Header=BB396_7 Depth=1
	s_andn2_saveexec_b32 s6, s6
	s_cbranch_execz .LBB396_6
; %bb.14:                               ;   in Loop: Header=BB396_7 Depth=1
	flat_load_dwordx4 v[32:35], v[12:13]
	s_waitcnt vmcnt(0) lgkmcnt(0)
	ds_write2_b64 v29, v[32:33], v[34:35] offset1:1
	s_branch .LBB396_6
.LBB396_15:
	s_clause 0x1
	s_load_dword s2, s[4:5], 0x50
	s_load_dwordx2 s[4:5], s[4:5], 0x58
	v_cmp_neq_f64_e64 s6, s[12:13], 0
	v_add_nc_u32_e32 v27, s31, v1
	v_add_nc_u32_e32 v4, s8, v0
	v_cmp_gt_i32_e64 s0, s10, v27
	v_cmp_le_i32_e32 vcc_lo, v4, v27
	v_ashrrev_i32_e32 v5, 31, v4
	s_waitcnt lgkmcnt(0)
	v_mad_i64_i32 v[1:2], null, v27, s2, 0
	s_lshl_b64 s[4:5], s[4:5], 4
	s_add_u32 s3, s22, s4
	s_addc_u32 s4, s23, s5
	s_xor_b32 s5, s30, -1
	s_or_b32 s5, s6, s5
	v_lshlrev_b64 v[0:1], 4, v[1:2]
	v_cndmask_b32_e64 v26, 0, 1, s5
	s_and_b32 s6, s0, vcc_lo
	v_add_co_u32 v12, s1, s3, v0
	v_add_co_ci_u32_e64 v13, null, s4, v1, s1
	s_and_saveexec_b32 s1, s6
	s_cbranch_execz .LBB396_19
; %bb.16:
	v_mul_f64 v[0:1], s[18:19], v[24:25]
	v_mul_f64 v[2:3], s[16:17], v[24:25]
	v_lshlrev_b64 v[10:11], 4, v[4:5]
	v_add_co_u32 v10, vcc_lo, v12, v10
	v_add_co_ci_u32_e64 v11, null, v13, v11, vcc_lo
	s_andn2_b32 vcc_lo, exec_lo, s5
	v_fma_f64 v[0:1], s[16:17], v[22:23], -v[0:1]
	v_fma_f64 v[2:3], s[18:19], v[22:23], v[2:3]
	s_cbranch_vccnz .LBB396_18
; %bb.17:
	flat_load_dwordx4 v[22:25], v[10:11]
	s_waitcnt vmcnt(0) lgkmcnt(0)
	v_mul_f64 v[28:29], s[14:15], v[24:25]
	v_mul_f64 v[24:25], s[12:13], v[24:25]
	v_fma_f64 v[28:29], s[12:13], v[22:23], -v[28:29]
	v_fma_f64 v[22:23], s[14:15], v[22:23], v[24:25]
	v_add_f64 v[0:1], v[0:1], v[28:29]
	v_add_f64 v[2:3], v[2:3], v[22:23]
.LBB396_18:
	flat_store_dwordx4 v[10:11], v[0:3]
.LBB396_19:
	s_or_b32 exec_lo, exec_lo, s1
	v_add_nc_u32_e32 v10, 16, v4
	v_cmp_le_i32_e32 vcc_lo, v10, v27
	v_ashrrev_i32_e32 v11, 31, v10
	s_and_b32 s0, s0, vcc_lo
	s_and_saveexec_b32 s1, s0
	s_cbranch_execz .LBB396_23
; %bb.20:
	v_mul_f64 v[0:1], s[18:19], v[20:21]
	v_mul_f64 v[2:3], s[16:17], v[20:21]
	v_cmp_ne_u32_e32 vcc_lo, 1, v26
	s_and_b32 vcc_lo, exec_lo, vcc_lo
	v_fma_f64 v[0:1], s[16:17], v[18:19], -v[0:1]
	v_fma_f64 v[2:3], s[18:19], v[18:19], v[2:3]
	v_lshlrev_b64 v[18:19], 4, v[10:11]
	v_add_co_u32 v12, s0, v12, v18
	v_add_co_ci_u32_e64 v13, null, v13, v19, s0
	s_cbranch_vccnz .LBB396_22
; %bb.21:
	flat_load_dwordx4 v[18:21], v[12:13]
	s_waitcnt vmcnt(0) lgkmcnt(0)
	v_mul_f64 v[22:23], s[14:15], v[20:21]
	v_mul_f64 v[20:21], s[12:13], v[20:21]
	v_fma_f64 v[22:23], s[12:13], v[18:19], -v[22:23]
	v_fma_f64 v[18:19], s[14:15], v[18:19], v[20:21]
	v_add_f64 v[0:1], v[0:1], v[22:23]
	v_add_f64 v[2:3], v[2:3], v[18:19]
.LBB396_22:
	flat_store_dwordx4 v[12:13], v[0:3]
.LBB396_23:
	s_or_b32 exec_lo, exec_lo, s1
	v_add_nc_u32_e32 v18, 16, v27
	v_mad_i64_i32 v[0:1], null, v18, s2, 0
	v_cmp_gt_i32_e64 s0, s10, v18
	v_cmp_le_i32_e32 vcc_lo, v4, v18
	v_lshlrev_b64 v[0:1], 4, v[0:1]
	v_add_co_u32 v12, s1, s3, v0
	v_add_co_ci_u32_e64 v13, null, s4, v1, s1
	s_and_b32 s1, s0, vcc_lo
	s_and_saveexec_b32 s2, s1
	s_cbranch_execz .LBB396_27
; %bb.24:
	v_mul_f64 v[0:1], s[18:19], v[16:17]
	v_mul_f64 v[2:3], s[16:17], v[16:17]
	v_lshlrev_b64 v[4:5], 4, v[4:5]
	v_cmp_ne_u32_e32 vcc_lo, 1, v26
	s_and_b32 vcc_lo, exec_lo, vcc_lo
	v_add_co_u32 v4, s1, v12, v4
	v_add_co_ci_u32_e64 v5, null, v13, v5, s1
	v_fma_f64 v[0:1], s[16:17], v[14:15], -v[0:1]
	v_fma_f64 v[2:3], s[18:19], v[14:15], v[2:3]
	s_cbranch_vccnz .LBB396_26
; %bb.25:
	flat_load_dwordx4 v[14:17], v[4:5]
	s_waitcnt vmcnt(0) lgkmcnt(0)
	v_mul_f64 v[19:20], s[14:15], v[16:17]
	v_mul_f64 v[16:17], s[12:13], v[16:17]
	v_fma_f64 v[19:20], s[12:13], v[14:15], -v[19:20]
	v_fma_f64 v[14:15], s[14:15], v[14:15], v[16:17]
	v_add_f64 v[0:1], v[0:1], v[19:20]
	v_add_f64 v[2:3], v[2:3], v[14:15]
.LBB396_26:
	flat_store_dwordx4 v[4:5], v[0:3]
.LBB396_27:
	s_or_b32 exec_lo, exec_lo, s2
	v_cmp_le_i32_e32 vcc_lo, v10, v18
	s_and_b32 s0, s0, vcc_lo
	s_and_saveexec_b32 s1, s0
	s_cbranch_execz .LBB396_32
; %bb.28:
	v_mul_f64 v[0:1], s[18:19], v[6:7]
	v_mul_f64 v[2:3], s[16:17], v[6:7]
	v_lshlrev_b64 v[4:5], 4, v[10:11]
	v_cmp_ne_u32_e32 vcc_lo, 1, v26
	s_and_b32 vcc_lo, exec_lo, vcc_lo
	v_add_co_u32 v4, s0, v12, v4
	v_add_co_ci_u32_e64 v5, null, v13, v5, s0
	v_fma_f64 v[0:1], s[16:17], v[8:9], -v[0:1]
	v_fma_f64 v[2:3], s[18:19], v[8:9], v[2:3]
	s_cbranch_vccnz .LBB396_30
; %bb.29:
	flat_load_dwordx4 v[6:9], v[4:5]
	s_waitcnt vmcnt(0) lgkmcnt(0)
	v_mul_f64 v[10:11], s[14:15], v[8:9]
	v_mul_f64 v[8:9], s[12:13], v[8:9]
	v_fma_f64 v[10:11], s[12:13], v[6:7], -v[10:11]
	v_fma_f64 v[6:7], s[14:15], v[6:7], v[8:9]
	v_add_f64 v[0:1], v[0:1], v[10:11]
	v_add_f64 v[2:3], v[2:3], v[6:7]
.LBB396_30:
	flat_store_dwordx4 v[4:5], v[0:3]
	s_endpgm
.LBB396_31:
.LBB396_32:
	s_endpgm
	.section	.rodata,"a",@progbits
	.p2align	6, 0x0
	.amdhsa_kernel _ZL29rocblas_internal_gemmt_kernelIiLi16ELi32ELi8ELc78ELc78ELc85ELb0ELb0E19rocblas_complex_numIdEPKS1_PKS3_PKPS1_EviT_T9_T10_S9_lSB_S9_lSA_T11_S9_li
		.amdhsa_group_segment_fixed_size 8192
		.amdhsa_private_segment_fixed_size 0
		.amdhsa_kernarg_size 100
		.amdhsa_user_sgpr_count 6
		.amdhsa_user_sgpr_private_segment_buffer 1
		.amdhsa_user_sgpr_dispatch_ptr 0
		.amdhsa_user_sgpr_queue_ptr 0
		.amdhsa_user_sgpr_kernarg_segment_ptr 1
		.amdhsa_user_sgpr_dispatch_id 0
		.amdhsa_user_sgpr_flat_scratch_init 0
		.amdhsa_user_sgpr_private_segment_size 0
		.amdhsa_wavefront_size32 1
		.amdhsa_uses_dynamic_stack 0
		.amdhsa_system_sgpr_private_segment_wavefront_offset 0
		.amdhsa_system_sgpr_workgroup_id_x 1
		.amdhsa_system_sgpr_workgroup_id_y 1
		.amdhsa_system_sgpr_workgroup_id_z 1
		.amdhsa_system_sgpr_workgroup_info 0
		.amdhsa_system_vgpr_workitem_id 1
		.amdhsa_next_free_vgpr 128
		.amdhsa_next_free_sgpr 32
		.amdhsa_reserve_vcc 1
		.amdhsa_reserve_flat_scratch 0
		.amdhsa_float_round_mode_32 0
		.amdhsa_float_round_mode_16_64 0
		.amdhsa_float_denorm_mode_32 3
		.amdhsa_float_denorm_mode_16_64 3
		.amdhsa_dx10_clamp 1
		.amdhsa_ieee_mode 1
		.amdhsa_fp16_overflow 0
		.amdhsa_workgroup_processor_mode 1
		.amdhsa_memory_ordered 1
		.amdhsa_forward_progress 1
		.amdhsa_shared_vgpr_count 0
		.amdhsa_exception_fp_ieee_invalid_op 0
		.amdhsa_exception_fp_denorm_src 0
		.amdhsa_exception_fp_ieee_div_zero 0
		.amdhsa_exception_fp_ieee_overflow 0
		.amdhsa_exception_fp_ieee_underflow 0
		.amdhsa_exception_fp_ieee_inexact 0
		.amdhsa_exception_int_div_zero 0
	.end_amdhsa_kernel
	.section	.text._ZL29rocblas_internal_gemmt_kernelIiLi16ELi32ELi8ELc78ELc78ELc85ELb0ELb0E19rocblas_complex_numIdEPKS1_PKS3_PKPS1_EviT_T9_T10_S9_lSB_S9_lSA_T11_S9_li,"axG",@progbits,_ZL29rocblas_internal_gemmt_kernelIiLi16ELi32ELi8ELc78ELc78ELc85ELb0ELb0E19rocblas_complex_numIdEPKS1_PKS3_PKPS1_EviT_T9_T10_S9_lSB_S9_lSA_T11_S9_li,comdat
.Lfunc_end396:
	.size	_ZL29rocblas_internal_gemmt_kernelIiLi16ELi32ELi8ELc78ELc78ELc85ELb0ELb0E19rocblas_complex_numIdEPKS1_PKS3_PKPS1_EviT_T9_T10_S9_lSB_S9_lSA_T11_S9_li, .Lfunc_end396-_ZL29rocblas_internal_gemmt_kernelIiLi16ELi32ELi8ELc78ELc78ELc85ELb0ELb0E19rocblas_complex_numIdEPKS1_PKS3_PKPS1_EviT_T9_T10_S9_lSB_S9_lSA_T11_S9_li
                                        ; -- End function
	.set _ZL29rocblas_internal_gemmt_kernelIiLi16ELi32ELi8ELc78ELc78ELc85ELb0ELb0E19rocblas_complex_numIdEPKS1_PKS3_PKPS1_EviT_T9_T10_S9_lSB_S9_lSA_T11_S9_li.num_vgpr, 128
	.set _ZL29rocblas_internal_gemmt_kernelIiLi16ELi32ELi8ELc78ELc78ELc85ELb0ELb0E19rocblas_complex_numIdEPKS1_PKS3_PKPS1_EviT_T9_T10_S9_lSB_S9_lSA_T11_S9_li.num_agpr, 0
	.set _ZL29rocblas_internal_gemmt_kernelIiLi16ELi32ELi8ELc78ELc78ELc85ELb0ELb0E19rocblas_complex_numIdEPKS1_PKS3_PKPS1_EviT_T9_T10_S9_lSB_S9_lSA_T11_S9_li.numbered_sgpr, 32
	.set _ZL29rocblas_internal_gemmt_kernelIiLi16ELi32ELi8ELc78ELc78ELc85ELb0ELb0E19rocblas_complex_numIdEPKS1_PKS3_PKPS1_EviT_T9_T10_S9_lSB_S9_lSA_T11_S9_li.num_named_barrier, 0
	.set _ZL29rocblas_internal_gemmt_kernelIiLi16ELi32ELi8ELc78ELc78ELc85ELb0ELb0E19rocblas_complex_numIdEPKS1_PKS3_PKPS1_EviT_T9_T10_S9_lSB_S9_lSA_T11_S9_li.private_seg_size, 0
	.set _ZL29rocblas_internal_gemmt_kernelIiLi16ELi32ELi8ELc78ELc78ELc85ELb0ELb0E19rocblas_complex_numIdEPKS1_PKS3_PKPS1_EviT_T9_T10_S9_lSB_S9_lSA_T11_S9_li.uses_vcc, 1
	.set _ZL29rocblas_internal_gemmt_kernelIiLi16ELi32ELi8ELc78ELc78ELc85ELb0ELb0E19rocblas_complex_numIdEPKS1_PKS3_PKPS1_EviT_T9_T10_S9_lSB_S9_lSA_T11_S9_li.uses_flat_scratch, 0
	.set _ZL29rocblas_internal_gemmt_kernelIiLi16ELi32ELi8ELc78ELc78ELc85ELb0ELb0E19rocblas_complex_numIdEPKS1_PKS3_PKPS1_EviT_T9_T10_S9_lSB_S9_lSA_T11_S9_li.has_dyn_sized_stack, 0
	.set _ZL29rocblas_internal_gemmt_kernelIiLi16ELi32ELi8ELc78ELc78ELc85ELb0ELb0E19rocblas_complex_numIdEPKS1_PKS3_PKPS1_EviT_T9_T10_S9_lSB_S9_lSA_T11_S9_li.has_recursion, 0
	.set _ZL29rocblas_internal_gemmt_kernelIiLi16ELi32ELi8ELc78ELc78ELc85ELb0ELb0E19rocblas_complex_numIdEPKS1_PKS3_PKPS1_EviT_T9_T10_S9_lSB_S9_lSA_T11_S9_li.has_indirect_call, 0
	.section	.AMDGPU.csdata,"",@progbits
; Kernel info:
; codeLenInByte = 3552
; TotalNumSgprs: 34
; NumVgprs: 128
; ScratchSize: 0
; MemoryBound: 0
; FloatMode: 240
; IeeeMode: 1
; LDSByteSize: 8192 bytes/workgroup (compile time only)
; SGPRBlocks: 0
; VGPRBlocks: 15
; NumSGPRsForWavesPerEU: 34
; NumVGPRsForWavesPerEU: 128
; Occupancy: 8
; WaveLimiterHint : 1
; COMPUTE_PGM_RSRC2:SCRATCH_EN: 0
; COMPUTE_PGM_RSRC2:USER_SGPR: 6
; COMPUTE_PGM_RSRC2:TRAP_HANDLER: 0
; COMPUTE_PGM_RSRC2:TGID_X_EN: 1
; COMPUTE_PGM_RSRC2:TGID_Y_EN: 1
; COMPUTE_PGM_RSRC2:TGID_Z_EN: 1
; COMPUTE_PGM_RSRC2:TIDIG_COMP_CNT: 1
	.section	.text._ZL29rocblas_internal_gemmt_kernelIiLi16ELi32ELi8ELc78ELc84ELc85ELb0ELb0E19rocblas_complex_numIdEPKS1_PKS3_PKPS1_EviT_T9_T10_S9_lSB_S9_lSA_T11_S9_li,"axG",@progbits,_ZL29rocblas_internal_gemmt_kernelIiLi16ELi32ELi8ELc78ELc84ELc85ELb0ELb0E19rocblas_complex_numIdEPKS1_PKS3_PKPS1_EviT_T9_T10_S9_lSB_S9_lSA_T11_S9_li,comdat
	.globl	_ZL29rocblas_internal_gemmt_kernelIiLi16ELi32ELi8ELc78ELc84ELc85ELb0ELb0E19rocblas_complex_numIdEPKS1_PKS3_PKPS1_EviT_T9_T10_S9_lSB_S9_lSA_T11_S9_li ; -- Begin function _ZL29rocblas_internal_gemmt_kernelIiLi16ELi32ELi8ELc78ELc84ELc85ELb0ELb0E19rocblas_complex_numIdEPKS1_PKS3_PKPS1_EviT_T9_T10_S9_lSB_S9_lSA_T11_S9_li
	.p2align	8
	.type	_ZL29rocblas_internal_gemmt_kernelIiLi16ELi32ELi8ELc78ELc84ELc85ELb0ELb0E19rocblas_complex_numIdEPKS1_PKS3_PKPS1_EviT_T9_T10_S9_lSB_S9_lSA_T11_S9_li,@function
_ZL29rocblas_internal_gemmt_kernelIiLi16ELi32ELi8ELc78ELc84ELc85ELb0ELb0E19rocblas_complex_numIdEPKS1_PKS3_PKPS1_EviT_T9_T10_S9_lSB_S9_lSA_T11_S9_li: ; @_ZL29rocblas_internal_gemmt_kernelIiLi16ELi32ELi8ELc78ELc84ELc85ELb0ELb0E19rocblas_complex_numIdEPKS1_PKS3_PKPS1_EviT_T9_T10_S9_lSB_S9_lSA_T11_S9_li
; %bb.0:
	s_load_dwordx4 s[20:23], s[4:5], 0x38
	s_waitcnt lgkmcnt(0)
	s_load_dwordx4 s[12:15], s[22:23], 0x0
	s_clause 0x1
	s_load_dwordx4 s[0:3], s[4:5], 0x8
	s_load_dwordx2 s[10:11], s[4:5], 0x0
	s_waitcnt lgkmcnt(0)
	s_load_dwordx4 s[16:19], s[0:1], 0x0
	v_cmp_eq_f64_e64 s9, s[12:13], 1.0
	v_cmp_eq_f64_e64 s33, s[14:15], 0
	s_and_b32 s0, s9, s33
	s_andn2_b32 vcc_lo, exec_lo, s0
	s_mov_b32 s0, -1
	s_cbranch_vccnz .LBB397_3
; %bb.1:
	s_cmp_lg_u32 s11, 0
	s_cbranch_scc0 .LBB397_31
; %bb.2:
	s_waitcnt lgkmcnt(0)
	v_cmp_neq_f64_e64 s0, s[16:17], 0
	v_cmp_neq_f64_e64 s1, s[18:19], 0
	s_or_b32 s0, s0, s1
.LBB397_3:
	s_and_b32 vcc_lo, exec_lo, s0
	s_cbranch_vccz .LBB397_32
; %bb.4:
	s_load_dwordx2 s[0:1], s[4:5], 0x48
	s_waitcnt lgkmcnt(0)
	v_cmp_eq_f64_e64 s24, s[16:17], 0
	v_cmp_eq_f64_e64 s25, s[18:19], 0
	s_mov_b32 s9, 0
	v_mov_b32_e32 v22, 0
	s_lshl_b64 s[30:31], s[8:9], 3
	v_mov_b32_e32 v24, 0
	v_mov_b32_e32 v18, 0
	;; [unrolled: 1-line block ×14, first 2 shown]
	s_add_u32 s0, s0, s30
	s_addc_u32 s1, s1, s31
	s_lshl_b32 s8, s6, 5
	s_load_dwordx2 s[22:23], s[0:1], 0x0
	s_lshl_b32 s34, s7, 5
	s_and_b32 s0, s24, s25
	s_cmp_lt_i32 s11, 1
	v_mov_b32_e32 v7, 0
	s_cselect_b32 s1, -1, 0
	s_or_b32 s0, s0, s1
	s_and_b32 vcc_lo, exec_lo, s0
	s_cbranch_vccnz .LBB397_15
; %bb.5:
	s_clause 0x2
	s_load_dword s28, s[4:5], 0x18
	s_load_dword s6, s[4:5], 0x30
	s_load_dwordx4 s[24:27], s[4:5], 0x20
	v_lshl_add_u32 v2, v1, 4, v0
	v_and_b32_e32 v26, 7, v0
	v_mov_b32_e32 v16, 0
	v_mov_b32_e32 v14, 0
	;; [unrolled: 1-line block ×3, first 2 shown]
	v_and_b32_e32 v3, 31, v2
	v_lshrrev_b32_e32 v4, 3, v2
	v_lshlrev_b32_e32 v5, 4, v26
	v_lshrrev_b32_e32 v27, 5, v2
	v_mov_b32_e32 v18, 0
	v_or_b32_e32 v6, s8, v3
	v_lshlrev_b32_e32 v7, 4, v3
	v_lshl_or_b32 v8, v4, 7, v5
	v_add_nc_u32_e32 v2, s34, v4
	v_add_nc_u32_e32 v4, s8, v3
	v_cmp_gt_i32_e32 vcc_lo, s10, v6
	v_lshl_or_b32 v28, v27, 9, v7
	s_waitcnt lgkmcnt(0)
	s_ashr_i32 s29, s28, 31
	s_ashr_i32 s7, s6, 31
	v_mad_i64_i32 v[5:6], null, v27, s28, 0
	s_add_u32 s26, s26, s30
	s_addc_u32 s27, s27, s31
	s_add_u32 s2, s2, s30
	s_addc_u32 s3, s3, s31
	s_load_dwordx2 s[26:27], s[26:27], 0x0
	s_load_dwordx2 s[2:3], s[2:3], 0x0
	v_add_nc_u32_e32 v29, 0x1000, v8
	v_lshlrev_b64 v[6:7], 4, v[5:6]
	v_mad_i64_i32 v[8:9], null, s6, v26, 0
	v_ashrrev_i32_e32 v5, 31, v4
	s_lshl_b64 s[24:25], s[24:25], 4
	v_ashrrev_i32_e32 v3, 31, v2
	v_add_co_u32 v10, s1, v6, s24
	v_lshlrev_b64 v[4:5], 4, v[4:5]
	v_add_co_ci_u32_e64 v11, null, s25, v7, s1
	v_lshlrev_b64 v[6:7], 4, v[8:9]
	s_lshl_b64 s[20:21], s[20:21], 4
	v_cmp_gt_i32_e64 s0, s10, v2
	v_add_co_u32 v4, s1, v10, v4
	v_lshlrev_b64 v[2:3], 4, v[2:3]
	v_add_co_ci_u32_e64 v5, null, v11, v5, s1
	v_add_co_u32 v6, s1, v6, s20
	v_add_co_ci_u32_e64 v7, null, s21, v7, s1
	s_waitcnt lgkmcnt(0)
	v_add_co_u32 v10, s1, s2, v4
	v_add_co_ci_u32_e64 v11, null, s3, v5, s1
	v_add_co_u32 v2, s1, v6, v2
	v_add_co_ci_u32_e64 v3, null, v7, v3, s1
	v_mov_b32_e32 v6, 0
	v_add_co_u32 v12, s1, s26, v2
	v_mov_b32_e32 v8, 0
	v_mov_b32_e32 v24, 0
	;; [unrolled: 1-line block ×3, first 2 shown]
	v_lshlrev_b32_e32 v30, 4, v0
	v_lshl_add_u32 v31, v1, 7, 0x1000
	v_add_co_ci_u32_e64 v13, null, s27, v3, s1
	v_mov_b32_e32 v7, 0
	v_mov_b32_e32 v9, 0
	;; [unrolled: 1-line block ×9, first 2 shown]
	s_lshl_b64 s[2:3], s[28:29], 7
	s_lshl_b64 s[6:7], s[6:7], 7
	s_xor_b32 s1, vcc_lo, -1
	s_xor_b32 s0, s0, -1
	s_branch .LBB397_7
.LBB397_6:                              ;   in Loop: Header=BB397_7 Depth=1
	s_or_b32 exec_lo, exec_lo, s20
	s_waitcnt lgkmcnt(0)
	s_barrier
	buffer_gl0_inv
	ds_read_b128 v[32:35], v31
	ds_read_b128 v[36:39], v30
	ds_read_b128 v[40:43], v30 offset:256
	ds_read_b128 v[44:47], v31 offset:2048
	;; [unrolled: 1-line block ×12, first 2 shown]
	v_add_co_u32 v10, vcc_lo, v10, s2
	v_add_co_ci_u32_e64 v11, null, s3, v11, vcc_lo
	v_add_co_u32 v12, vcc_lo, v12, s6
	v_add_co_ci_u32_e64 v13, null, s7, v13, vcc_lo
	s_waitcnt lgkmcnt(12)
	v_mul_f64 v[3:4], v[34:35], v[38:39]
	v_mul_f64 v[88:89], v[32:33], v[38:39]
	s_waitcnt lgkmcnt(11)
	v_mul_f64 v[90:91], v[34:35], v[42:43]
	v_mul_f64 v[92:93], v[32:33], v[42:43]
	;; [unrolled: 3-line block ×3, first 2 shown]
	v_mul_f64 v[96:97], v[46:47], v[42:43]
	v_mul_f64 v[42:43], v[44:45], v[42:43]
	s_waitcnt lgkmcnt(8)
	v_mul_f64 v[98:99], v[50:51], v[54:55]
	v_mul_f64 v[100:101], v[48:49], v[54:55]
	s_waitcnt lgkmcnt(7)
	;; [unrolled: 3-line block ×3, first 2 shown]
	v_mul_f64 v[106:107], v[62:63], v[54:55]
	v_mul_f64 v[54:55], v[60:61], v[54:55]
	;; [unrolled: 1-line block ×4, first 2 shown]
	s_waitcnt lgkmcnt(4)
	v_mul_f64 v[110:111], v[66:67], v[70:71]
	v_mul_f64 v[112:113], v[64:65], v[70:71]
	s_waitcnt lgkmcnt(3)
	v_mul_f64 v[114:115], v[66:67], v[74:75]
	v_mul_f64 v[116:117], v[64:65], v[74:75]
	;; [unrolled: 3-line block ×3, first 2 shown]
	v_fma_f64 v[3:4], v[32:33], v[36:37], -v[3:4]
	v_fma_f64 v[88:89], v[34:35], v[36:37], v[88:89]
	v_fma_f64 v[90:91], v[32:33], v[40:41], -v[90:91]
	v_fma_f64 v[92:93], v[34:35], v[40:41], v[92:93]
	;; [unrolled: 2-line block ×4, first 2 shown]
	v_mul_f64 v[124:125], v[78:79], v[74:75]
	v_mul_f64 v[74:75], v[76:77], v[74:75]
	ds_read_b128 v[32:35], v30 offset:1536
	ds_read_b128 v[36:39], v30 offset:1792
	v_fma_f64 v[98:99], v[48:49], v[52:53], -v[98:99]
	v_fma_f64 v[100:101], v[50:51], v[52:53], v[100:101]
	v_fma_f64 v[102:103], v[48:49], v[56:57], -v[102:103]
	v_fma_f64 v[104:105], v[50:51], v[56:57], v[104:105]
	v_fma_f64 v[106:107], v[60:61], v[52:53], -v[106:107]
	v_fma_f64 v[126:127], v[62:63], v[52:53], v[54:55]
	v_fma_f64 v[60:61], v[60:61], v[56:57], -v[108:109]
	v_fma_f64 v[56:57], v[62:63], v[56:57], v[58:59]
	v_fma_f64 v[58:59], v[64:65], v[68:69], -v[110:111]
	v_fma_f64 v[62:63], v[66:67], v[68:69], v[112:113]
	v_fma_f64 v[64:65], v[64:65], v[72:73], -v[114:115]
	v_fma_f64 v[66:67], v[66:67], v[72:73], v[116:117]
	v_fma_f64 v[108:109], v[76:77], v[68:69], -v[118:119]
	v_fma_f64 v[68:69], v[78:79], v[68:69], v[70:71]
	v_add_f64 v[22:23], v[22:23], v[3:4]
	v_add_f64 v[24:25], v[88:89], v[24:25]
	;; [unrolled: 1-line block ×4, first 2 shown]
	s_waitcnt lgkmcnt(1)
	v_mul_f64 v[110:111], v[82:83], v[34:35]
	v_mul_f64 v[112:113], v[80:81], v[34:35]
	s_waitcnt lgkmcnt(0)
	v_mul_f64 v[70:71], v[82:83], v[38:39]
	v_fma_f64 v[76:77], v[76:77], v[72:73], -v[124:125]
	v_fma_f64 v[72:73], v[78:79], v[72:73], v[74:75]
	v_add_f64 v[74:75], v[14:15], v[94:95]
	v_add_f64 v[78:79], v[120:121], v[16:17]
	;; [unrolled: 1-line block ×4, first 2 shown]
	ds_read_b128 v[40:43], v31 offset:64
	ds_read_b128 v[44:47], v30 offset:2048
	;; [unrolled: 1-line block ×3, first 2 shown]
	v_mul_f64 v[114:115], v[80:81], v[38:39]
	v_mul_f64 v[116:117], v[86:87], v[34:35]
	;; [unrolled: 1-line block ×5, first 2 shown]
	ds_read_b128 v[52:55], v31 offset:2112
	ds_read_b128 v[14:17], v31 offset:2128
	v_add_f64 v[98:99], v[22:23], v[98:99]
	v_add_f64 v[100:101], v[100:101], v[24:25]
	;; [unrolled: 1-line block ×4, first 2 shown]
	v_fma_f64 v[92:93], v[80:81], v[32:33], -v[110:111]
	v_fma_f64 v[94:95], v[82:83], v[32:33], v[112:113]
	v_fma_f64 v[70:71], v[80:81], v[36:37], -v[70:71]
	ds_read_b128 v[18:21], v30 offset:2560
	ds_read_b128 v[3:6], v31 offset:80
	;; [unrolled: 1-line block ×3, first 2 shown]
	v_add_f64 v[74:75], v[74:75], v[106:107]
	s_waitcnt lgkmcnt(6)
	v_mul_f64 v[80:81], v[42:43], v[46:47]
	v_mul_f64 v[96:97], v[40:41], v[46:47]
	s_waitcnt lgkmcnt(5)
	v_mul_f64 v[110:111], v[42:43], v[50:51]
	v_mul_f64 v[112:113], v[40:41], v[50:51]
	v_add_f64 v[78:79], v[126:127], v[78:79]
	v_add_f64 v[7:8], v[8:9], v[60:61]
	;; [unrolled: 1-line block ×3, first 2 shown]
	v_fma_f64 v[82:83], v[82:83], v[36:37], v[114:115]
	s_waitcnt lgkmcnt(4)
	v_mul_f64 v[114:115], v[54:55], v[46:47]
	v_mul_f64 v[46:47], v[52:53], v[46:47]
	v_fma_f64 v[60:61], v[84:85], v[32:33], -v[116:117]
	v_fma_f64 v[88:89], v[86:87], v[32:33], v[34:35]
	v_fma_f64 v[84:85], v[84:85], v[36:37], -v[90:91]
	v_fma_f64 v[86:87], v[86:87], v[36:37], v[38:39]
	v_add_f64 v[58:59], v[98:99], v[58:59]
	v_add_f64 v[62:63], v[62:63], v[100:101]
	;; [unrolled: 1-line block ×4, first 2 shown]
	s_waitcnt lgkmcnt(0)
	v_mul_f64 v[98:99], v[3:4], v[24:25]
	v_mul_f64 v[100:101], v[16:17], v[20:21]
	;; [unrolled: 1-line block ×3, first 2 shown]
	v_add_f64 v[74:75], v[74:75], v[108:109]
	v_fma_f64 v[80:81], v[40:41], v[44:45], -v[80:81]
	v_fma_f64 v[90:91], v[42:43], v[44:45], v[96:97]
	v_fma_f64 v[96:97], v[40:41], v[48:49], -v[110:111]
	v_fma_f64 v[106:107], v[42:43], v[48:49], v[112:113]
	v_mul_f64 v[40:41], v[54:55], v[50:51]
	v_mul_f64 v[42:43], v[52:53], v[50:51]
	v_add_f64 v[68:69], v[68:69], v[78:79]
	v_add_f64 v[7:8], v[7:8], v[76:77]
	;; [unrolled: 1-line block ×3, first 2 shown]
	v_fma_f64 v[50:51], v[52:53], v[44:45], -v[114:115]
	v_fma_f64 v[110:111], v[54:55], v[44:45], v[46:47]
	v_mul_f64 v[72:73], v[5:6], v[20:21]
	v_mul_f64 v[76:77], v[3:4], v[20:21]
	;; [unrolled: 1-line block ×5, first 2 shown]
	ds_read_b128 v[32:35], v31 offset:96
	ds_read_b128 v[36:39], v30 offset:3072
	s_add_i32 s9, s9, 8
	s_cmp_lt_i32 s9, s11
	v_add_f64 v[60:61], v[74:75], v[60:61]
	v_fma_f64 v[74:75], v[5:6], v[22:23], v[98:99]
	v_fma_f64 v[52:53], v[52:53], v[48:49], -v[40:41]
	v_fma_f64 v[48:49], v[54:55], v[48:49], v[42:43]
	v_add_f64 v[54:55], v[58:59], v[92:93]
	v_add_f64 v[58:59], v[94:95], v[62:63]
	;; [unrolled: 1-line block ×7, first 2 shown]
	ds_read_b128 v[40:43], v30 offset:3328
	ds_read_b128 v[44:47], v31 offset:2144
	v_fma_f64 v[68:69], v[3:4], v[18:19], -v[72:73]
	v_fma_f64 v[70:71], v[5:6], v[18:19], v[76:77]
	v_fma_f64 v[72:73], v[3:4], v[22:23], -v[78:79]
	v_fma_f64 v[76:77], v[14:15], v[18:19], -v[100:101]
	v_fma_f64 v[78:79], v[16:17], v[18:19], v[20:21]
	v_fma_f64 v[82:83], v[14:15], v[22:23], -v[102:103]
	s_waitcnt lgkmcnt(2)
	v_mul_f64 v[84:85], v[34:35], v[38:39]
	v_fma_f64 v[86:87], v[16:17], v[22:23], v[24:25]
	v_mul_f64 v[88:89], v[32:33], v[38:39]
	v_add_f64 v[50:51], v[60:61], v[50:51]
	ds_read_b128 v[3:6], v31 offset:112
	ds_read_b128 v[14:17], v31 offset:2160
	;; [unrolled: 1-line block ×4, first 2 shown]
	s_waitcnt lgkmcnt(0)
	v_add_f64 v[54:55], v[54:55], v[80:81]
	v_add_f64 v[58:59], v[90:91], v[58:59]
	;; [unrolled: 1-line block ×4, first 2 shown]
	v_mul_f64 v[92:93], v[34:35], v[42:43]
	v_mul_f64 v[94:95], v[32:33], v[42:43]
	;; [unrolled: 1-line block ×4, first 2 shown]
	v_add_f64 v[60:61], v[110:111], v[66:67]
	v_add_f64 v[7:8], v[7:8], v[52:53]
	;; [unrolled: 1-line block ×3, first 2 shown]
	v_mul_f64 v[52:53], v[46:47], v[42:43]
	v_mul_f64 v[42:43], v[44:45], v[42:43]
	s_barrier
	v_fma_f64 v[56:57], v[32:33], v[36:37], -v[84:85]
	buffer_gl0_inv
	v_fma_f64 v[66:67], v[34:35], v[36:37], v[88:89]
	v_add_f64 v[50:51], v[50:51], v[76:77]
	v_fma_f64 v[32:33], v[32:33], v[40:41], -v[92:93]
	v_fma_f64 v[34:35], v[34:35], v[40:41], v[94:95]
	v_fma_f64 v[80:81], v[44:45], v[36:37], -v[98:99]
	v_fma_f64 v[36:37], v[46:47], v[36:37], v[38:39]
	v_add_f64 v[38:39], v[54:55], v[68:69]
	v_add_f64 v[54:55], v[70:71], v[58:59]
	;; [unrolled: 1-line block ×7, first 2 shown]
	v_fma_f64 v[44:45], v[44:45], v[40:41], -v[52:53]
	v_fma_f64 v[40:41], v[46:47], v[40:41], v[42:43]
	v_mul_f64 v[42:43], v[5:6], v[20:21]
	v_mul_f64 v[46:47], v[3:4], v[20:21]
	;; [unrolled: 1-line block ×8, first 2 shown]
	v_add_f64 v[50:51], v[50:51], v[80:81]
	v_add_f64 v[38:39], v[38:39], v[56:57]
	;; [unrolled: 1-line block ×8, first 2 shown]
	v_fma_f64 v[42:43], v[3:4], v[18:19], -v[42:43]
	v_fma_f64 v[44:45], v[5:6], v[18:19], v[46:47]
	v_fma_f64 v[3:4], v[3:4], v[22:23], -v[52:53]
	v_fma_f64 v[5:6], v[5:6], v[22:23], v[64:65]
	;; [unrolled: 2-line block ×4, first 2 shown]
	v_add_f64 v[22:23], v[38:39], v[42:43]
	v_add_f64 v[24:25], v[44:45], v[54:55]
	;; [unrolled: 1-line block ×8, first 2 shown]
	s_cbranch_scc0 .LBB397_15
.LBB397_7:                              ; =>This Inner Loop Header: Depth=1
	v_add_nc_u32_e32 v3, s9, v27
	v_cmp_le_i32_e32 vcc_lo, s11, v3
	s_or_b32 s20, s1, vcc_lo
	s_and_saveexec_b32 s21, s20
	s_xor_b32 s20, exec_lo, s21
	s_cbranch_execz .LBB397_9
; %bb.8:                                ;   in Loop: Header=BB397_7 Depth=1
	v_mov_b32_e32 v3, v2
	v_mov_b32_e32 v4, v2
	;; [unrolled: 1-line block ×3, first 2 shown]
	ds_write_b128 v28, v[2:5]
.LBB397_9:                              ;   in Loop: Header=BB397_7 Depth=1
	s_andn2_saveexec_b32 s20, s20
	s_cbranch_execz .LBB397_11
; %bb.10:                               ;   in Loop: Header=BB397_7 Depth=1
	flat_load_dwordx4 v[32:35], v[10:11]
	s_waitcnt vmcnt(0) lgkmcnt(0)
	ds_write2_b64 v28, v[32:33], v[34:35] offset1:1
.LBB397_11:                             ;   in Loop: Header=BB397_7 Depth=1
	s_or_b32 exec_lo, exec_lo, s20
	v_add_nc_u32_e32 v3, s9, v26
	v_cmp_le_i32_e32 vcc_lo, s11, v3
	s_or_b32 s20, vcc_lo, s0
	s_and_saveexec_b32 s21, s20
	s_xor_b32 s20, exec_lo, s21
	s_cbranch_execz .LBB397_13
; %bb.12:                               ;   in Loop: Header=BB397_7 Depth=1
	v_mov_b32_e32 v3, v2
	v_mov_b32_e32 v4, v2
	;; [unrolled: 1-line block ×3, first 2 shown]
	ds_write_b128 v29, v[2:5]
.LBB397_13:                             ;   in Loop: Header=BB397_7 Depth=1
	s_andn2_saveexec_b32 s20, s20
	s_cbranch_execz .LBB397_6
; %bb.14:                               ;   in Loop: Header=BB397_7 Depth=1
	flat_load_dwordx4 v[32:35], v[12:13]
	s_waitcnt vmcnt(0) lgkmcnt(0)
	ds_write2_b64 v29, v[32:33], v[34:35] offset1:1
	s_branch .LBB397_6
.LBB397_15:
	s_clause 0x1
	s_load_dword s2, s[4:5], 0x50
	s_load_dwordx2 s[4:5], s[4:5], 0x58
	v_cmp_neq_f64_e64 s6, s[12:13], 0
	v_add_nc_u32_e32 v27, s34, v1
	v_add_nc_u32_e32 v4, s8, v0
	v_cmp_gt_i32_e64 s0, s10, v27
	v_cmp_le_i32_e32 vcc_lo, v4, v27
	v_ashrrev_i32_e32 v5, 31, v4
	s_waitcnt lgkmcnt(0)
	v_mad_i64_i32 v[1:2], null, v27, s2, 0
	s_lshl_b64 s[4:5], s[4:5], 4
	s_add_u32 s3, s22, s4
	s_addc_u32 s4, s23, s5
	s_xor_b32 s5, s33, -1
	s_or_b32 s5, s6, s5
	v_lshlrev_b64 v[0:1], 4, v[1:2]
	v_cndmask_b32_e64 v26, 0, 1, s5
	s_and_b32 s6, s0, vcc_lo
	v_add_co_u32 v12, s1, s3, v0
	v_add_co_ci_u32_e64 v13, null, s4, v1, s1
	s_and_saveexec_b32 s1, s6
	s_cbranch_execz .LBB397_19
; %bb.16:
	v_mul_f64 v[0:1], s[18:19], v[24:25]
	v_mul_f64 v[2:3], s[16:17], v[24:25]
	v_lshlrev_b64 v[10:11], 4, v[4:5]
	v_add_co_u32 v10, vcc_lo, v12, v10
	v_add_co_ci_u32_e64 v11, null, v13, v11, vcc_lo
	s_andn2_b32 vcc_lo, exec_lo, s5
	v_fma_f64 v[0:1], s[16:17], v[22:23], -v[0:1]
	v_fma_f64 v[2:3], s[18:19], v[22:23], v[2:3]
	s_cbranch_vccnz .LBB397_18
; %bb.17:
	flat_load_dwordx4 v[22:25], v[10:11]
	s_waitcnt vmcnt(0) lgkmcnt(0)
	v_mul_f64 v[28:29], s[14:15], v[24:25]
	v_mul_f64 v[24:25], s[12:13], v[24:25]
	v_fma_f64 v[28:29], s[12:13], v[22:23], -v[28:29]
	v_fma_f64 v[22:23], s[14:15], v[22:23], v[24:25]
	v_add_f64 v[0:1], v[0:1], v[28:29]
	v_add_f64 v[2:3], v[2:3], v[22:23]
.LBB397_18:
	flat_store_dwordx4 v[10:11], v[0:3]
.LBB397_19:
	s_or_b32 exec_lo, exec_lo, s1
	v_add_nc_u32_e32 v10, 16, v4
	v_cmp_le_i32_e32 vcc_lo, v10, v27
	v_ashrrev_i32_e32 v11, 31, v10
	s_and_b32 s0, s0, vcc_lo
	s_and_saveexec_b32 s1, s0
	s_cbranch_execz .LBB397_23
; %bb.20:
	v_mul_f64 v[0:1], s[18:19], v[20:21]
	v_mul_f64 v[2:3], s[16:17], v[20:21]
	v_cmp_ne_u32_e32 vcc_lo, 1, v26
	s_and_b32 vcc_lo, exec_lo, vcc_lo
	v_fma_f64 v[0:1], s[16:17], v[18:19], -v[0:1]
	v_fma_f64 v[2:3], s[18:19], v[18:19], v[2:3]
	v_lshlrev_b64 v[18:19], 4, v[10:11]
	v_add_co_u32 v12, s0, v12, v18
	v_add_co_ci_u32_e64 v13, null, v13, v19, s0
	s_cbranch_vccnz .LBB397_22
; %bb.21:
	flat_load_dwordx4 v[18:21], v[12:13]
	s_waitcnt vmcnt(0) lgkmcnt(0)
	v_mul_f64 v[22:23], s[14:15], v[20:21]
	v_mul_f64 v[20:21], s[12:13], v[20:21]
	v_fma_f64 v[22:23], s[12:13], v[18:19], -v[22:23]
	v_fma_f64 v[18:19], s[14:15], v[18:19], v[20:21]
	v_add_f64 v[0:1], v[0:1], v[22:23]
	v_add_f64 v[2:3], v[2:3], v[18:19]
.LBB397_22:
	flat_store_dwordx4 v[12:13], v[0:3]
.LBB397_23:
	s_or_b32 exec_lo, exec_lo, s1
	v_add_nc_u32_e32 v18, 16, v27
	v_mad_i64_i32 v[0:1], null, v18, s2, 0
	v_cmp_gt_i32_e64 s0, s10, v18
	v_cmp_le_i32_e32 vcc_lo, v4, v18
	v_lshlrev_b64 v[0:1], 4, v[0:1]
	v_add_co_u32 v12, s1, s3, v0
	v_add_co_ci_u32_e64 v13, null, s4, v1, s1
	s_and_b32 s1, s0, vcc_lo
	s_and_saveexec_b32 s2, s1
	s_cbranch_execz .LBB397_27
; %bb.24:
	v_mul_f64 v[0:1], s[18:19], v[16:17]
	v_mul_f64 v[2:3], s[16:17], v[16:17]
	v_lshlrev_b64 v[4:5], 4, v[4:5]
	v_cmp_ne_u32_e32 vcc_lo, 1, v26
	s_and_b32 vcc_lo, exec_lo, vcc_lo
	v_add_co_u32 v4, s1, v12, v4
	v_add_co_ci_u32_e64 v5, null, v13, v5, s1
	v_fma_f64 v[0:1], s[16:17], v[14:15], -v[0:1]
	v_fma_f64 v[2:3], s[18:19], v[14:15], v[2:3]
	s_cbranch_vccnz .LBB397_26
; %bb.25:
	flat_load_dwordx4 v[14:17], v[4:5]
	s_waitcnt vmcnt(0) lgkmcnt(0)
	v_mul_f64 v[19:20], s[14:15], v[16:17]
	v_mul_f64 v[16:17], s[12:13], v[16:17]
	v_fma_f64 v[19:20], s[12:13], v[14:15], -v[19:20]
	v_fma_f64 v[14:15], s[14:15], v[14:15], v[16:17]
	v_add_f64 v[0:1], v[0:1], v[19:20]
	v_add_f64 v[2:3], v[2:3], v[14:15]
.LBB397_26:
	flat_store_dwordx4 v[4:5], v[0:3]
.LBB397_27:
	s_or_b32 exec_lo, exec_lo, s2
	v_cmp_le_i32_e32 vcc_lo, v10, v18
	s_and_b32 s0, s0, vcc_lo
	s_and_saveexec_b32 s1, s0
	s_cbranch_execz .LBB397_32
; %bb.28:
	v_mul_f64 v[0:1], s[18:19], v[6:7]
	v_mul_f64 v[2:3], s[16:17], v[6:7]
	v_lshlrev_b64 v[4:5], 4, v[10:11]
	v_cmp_ne_u32_e32 vcc_lo, 1, v26
	s_and_b32 vcc_lo, exec_lo, vcc_lo
	v_add_co_u32 v4, s0, v12, v4
	v_add_co_ci_u32_e64 v5, null, v13, v5, s0
	v_fma_f64 v[0:1], s[16:17], v[8:9], -v[0:1]
	v_fma_f64 v[2:3], s[18:19], v[8:9], v[2:3]
	s_cbranch_vccnz .LBB397_30
; %bb.29:
	flat_load_dwordx4 v[6:9], v[4:5]
	s_waitcnt vmcnt(0) lgkmcnt(0)
	v_mul_f64 v[10:11], s[14:15], v[8:9]
	v_mul_f64 v[8:9], s[12:13], v[8:9]
	v_fma_f64 v[10:11], s[12:13], v[6:7], -v[10:11]
	v_fma_f64 v[6:7], s[14:15], v[6:7], v[8:9]
	v_add_f64 v[0:1], v[0:1], v[10:11]
	v_add_f64 v[2:3], v[2:3], v[6:7]
.LBB397_30:
	flat_store_dwordx4 v[4:5], v[0:3]
	s_endpgm
.LBB397_31:
.LBB397_32:
	s_endpgm
	.section	.rodata,"a",@progbits
	.p2align	6, 0x0
	.amdhsa_kernel _ZL29rocblas_internal_gemmt_kernelIiLi16ELi32ELi8ELc78ELc84ELc85ELb0ELb0E19rocblas_complex_numIdEPKS1_PKS3_PKPS1_EviT_T9_T10_S9_lSB_S9_lSA_T11_S9_li
		.amdhsa_group_segment_fixed_size 8192
		.amdhsa_private_segment_fixed_size 0
		.amdhsa_kernarg_size 100
		.amdhsa_user_sgpr_count 6
		.amdhsa_user_sgpr_private_segment_buffer 1
		.amdhsa_user_sgpr_dispatch_ptr 0
		.amdhsa_user_sgpr_queue_ptr 0
		.amdhsa_user_sgpr_kernarg_segment_ptr 1
		.amdhsa_user_sgpr_dispatch_id 0
		.amdhsa_user_sgpr_flat_scratch_init 0
		.amdhsa_user_sgpr_private_segment_size 0
		.amdhsa_wavefront_size32 1
		.amdhsa_uses_dynamic_stack 0
		.amdhsa_system_sgpr_private_segment_wavefront_offset 0
		.amdhsa_system_sgpr_workgroup_id_x 1
		.amdhsa_system_sgpr_workgroup_id_y 1
		.amdhsa_system_sgpr_workgroup_id_z 1
		.amdhsa_system_sgpr_workgroup_info 0
		.amdhsa_system_vgpr_workitem_id 1
		.amdhsa_next_free_vgpr 128
		.amdhsa_next_free_sgpr 35
		.amdhsa_reserve_vcc 1
		.amdhsa_reserve_flat_scratch 0
		.amdhsa_float_round_mode_32 0
		.amdhsa_float_round_mode_16_64 0
		.amdhsa_float_denorm_mode_32 3
		.amdhsa_float_denorm_mode_16_64 3
		.amdhsa_dx10_clamp 1
		.amdhsa_ieee_mode 1
		.amdhsa_fp16_overflow 0
		.amdhsa_workgroup_processor_mode 1
		.amdhsa_memory_ordered 1
		.amdhsa_forward_progress 1
		.amdhsa_shared_vgpr_count 0
		.amdhsa_exception_fp_ieee_invalid_op 0
		.amdhsa_exception_fp_denorm_src 0
		.amdhsa_exception_fp_ieee_div_zero 0
		.amdhsa_exception_fp_ieee_overflow 0
		.amdhsa_exception_fp_ieee_underflow 0
		.amdhsa_exception_fp_ieee_inexact 0
		.amdhsa_exception_int_div_zero 0
	.end_amdhsa_kernel
	.section	.text._ZL29rocblas_internal_gemmt_kernelIiLi16ELi32ELi8ELc78ELc84ELc85ELb0ELb0E19rocblas_complex_numIdEPKS1_PKS3_PKPS1_EviT_T9_T10_S9_lSB_S9_lSA_T11_S9_li,"axG",@progbits,_ZL29rocblas_internal_gemmt_kernelIiLi16ELi32ELi8ELc78ELc84ELc85ELb0ELb0E19rocblas_complex_numIdEPKS1_PKS3_PKPS1_EviT_T9_T10_S9_lSB_S9_lSA_T11_S9_li,comdat
.Lfunc_end397:
	.size	_ZL29rocblas_internal_gemmt_kernelIiLi16ELi32ELi8ELc78ELc84ELc85ELb0ELb0E19rocblas_complex_numIdEPKS1_PKS3_PKPS1_EviT_T9_T10_S9_lSB_S9_lSA_T11_S9_li, .Lfunc_end397-_ZL29rocblas_internal_gemmt_kernelIiLi16ELi32ELi8ELc78ELc84ELc85ELb0ELb0E19rocblas_complex_numIdEPKS1_PKS3_PKPS1_EviT_T9_T10_S9_lSB_S9_lSA_T11_S9_li
                                        ; -- End function
	.set _ZL29rocblas_internal_gemmt_kernelIiLi16ELi32ELi8ELc78ELc84ELc85ELb0ELb0E19rocblas_complex_numIdEPKS1_PKS3_PKPS1_EviT_T9_T10_S9_lSB_S9_lSA_T11_S9_li.num_vgpr, 128
	.set _ZL29rocblas_internal_gemmt_kernelIiLi16ELi32ELi8ELc78ELc84ELc85ELb0ELb0E19rocblas_complex_numIdEPKS1_PKS3_PKPS1_EviT_T9_T10_S9_lSB_S9_lSA_T11_S9_li.num_agpr, 0
	.set _ZL29rocblas_internal_gemmt_kernelIiLi16ELi32ELi8ELc78ELc84ELc85ELb0ELb0E19rocblas_complex_numIdEPKS1_PKS3_PKPS1_EviT_T9_T10_S9_lSB_S9_lSA_T11_S9_li.numbered_sgpr, 35
	.set _ZL29rocblas_internal_gemmt_kernelIiLi16ELi32ELi8ELc78ELc84ELc85ELb0ELb0E19rocblas_complex_numIdEPKS1_PKS3_PKPS1_EviT_T9_T10_S9_lSB_S9_lSA_T11_S9_li.num_named_barrier, 0
	.set _ZL29rocblas_internal_gemmt_kernelIiLi16ELi32ELi8ELc78ELc84ELc85ELb0ELb0E19rocblas_complex_numIdEPKS1_PKS3_PKPS1_EviT_T9_T10_S9_lSB_S9_lSA_T11_S9_li.private_seg_size, 0
	.set _ZL29rocblas_internal_gemmt_kernelIiLi16ELi32ELi8ELc78ELc84ELc85ELb0ELb0E19rocblas_complex_numIdEPKS1_PKS3_PKPS1_EviT_T9_T10_S9_lSB_S9_lSA_T11_S9_li.uses_vcc, 1
	.set _ZL29rocblas_internal_gemmt_kernelIiLi16ELi32ELi8ELc78ELc84ELc85ELb0ELb0E19rocblas_complex_numIdEPKS1_PKS3_PKPS1_EviT_T9_T10_S9_lSB_S9_lSA_T11_S9_li.uses_flat_scratch, 0
	.set _ZL29rocblas_internal_gemmt_kernelIiLi16ELi32ELi8ELc78ELc84ELc85ELb0ELb0E19rocblas_complex_numIdEPKS1_PKS3_PKPS1_EviT_T9_T10_S9_lSB_S9_lSA_T11_S9_li.has_dyn_sized_stack, 0
	.set _ZL29rocblas_internal_gemmt_kernelIiLi16ELi32ELi8ELc78ELc84ELc85ELb0ELb0E19rocblas_complex_numIdEPKS1_PKS3_PKPS1_EviT_T9_T10_S9_lSB_S9_lSA_T11_S9_li.has_recursion, 0
	.set _ZL29rocblas_internal_gemmt_kernelIiLi16ELi32ELi8ELc78ELc84ELc85ELb0ELb0E19rocblas_complex_numIdEPKS1_PKS3_PKPS1_EviT_T9_T10_S9_lSB_S9_lSA_T11_S9_li.has_indirect_call, 0
	.section	.AMDGPU.csdata,"",@progbits
; Kernel info:
; codeLenInByte = 3568
; TotalNumSgprs: 37
; NumVgprs: 128
; ScratchSize: 0
; MemoryBound: 0
; FloatMode: 240
; IeeeMode: 1
; LDSByteSize: 8192 bytes/workgroup (compile time only)
; SGPRBlocks: 0
; VGPRBlocks: 15
; NumSGPRsForWavesPerEU: 37
; NumVGPRsForWavesPerEU: 128
; Occupancy: 8
; WaveLimiterHint : 1
; COMPUTE_PGM_RSRC2:SCRATCH_EN: 0
; COMPUTE_PGM_RSRC2:USER_SGPR: 6
; COMPUTE_PGM_RSRC2:TRAP_HANDLER: 0
; COMPUTE_PGM_RSRC2:TGID_X_EN: 1
; COMPUTE_PGM_RSRC2:TGID_Y_EN: 1
; COMPUTE_PGM_RSRC2:TGID_Z_EN: 1
; COMPUTE_PGM_RSRC2:TIDIG_COMP_CNT: 1
	.section	.text._ZL29rocblas_internal_gemmt_kernelIiLi16ELi32ELi8ELc78ELc67ELc85ELb0ELb1E19rocblas_complex_numIdEPKS1_PKS3_PKPS1_EviT_T9_T10_S9_lSB_S9_lSA_T11_S9_li,"axG",@progbits,_ZL29rocblas_internal_gemmt_kernelIiLi16ELi32ELi8ELc78ELc67ELc85ELb0ELb1E19rocblas_complex_numIdEPKS1_PKS3_PKPS1_EviT_T9_T10_S9_lSB_S9_lSA_T11_S9_li,comdat
	.globl	_ZL29rocblas_internal_gemmt_kernelIiLi16ELi32ELi8ELc78ELc67ELc85ELb0ELb1E19rocblas_complex_numIdEPKS1_PKS3_PKPS1_EviT_T9_T10_S9_lSB_S9_lSA_T11_S9_li ; -- Begin function _ZL29rocblas_internal_gemmt_kernelIiLi16ELi32ELi8ELc78ELc67ELc85ELb0ELb1E19rocblas_complex_numIdEPKS1_PKS3_PKPS1_EviT_T9_T10_S9_lSB_S9_lSA_T11_S9_li
	.p2align	8
	.type	_ZL29rocblas_internal_gemmt_kernelIiLi16ELi32ELi8ELc78ELc67ELc85ELb0ELb1E19rocblas_complex_numIdEPKS1_PKS3_PKPS1_EviT_T9_T10_S9_lSB_S9_lSA_T11_S9_li,@function
_ZL29rocblas_internal_gemmt_kernelIiLi16ELi32ELi8ELc78ELc67ELc85ELb0ELb1E19rocblas_complex_numIdEPKS1_PKS3_PKPS1_EviT_T9_T10_S9_lSB_S9_lSA_T11_S9_li: ; @_ZL29rocblas_internal_gemmt_kernelIiLi16ELi32ELi8ELc78ELc67ELc85ELb0ELb1E19rocblas_complex_numIdEPKS1_PKS3_PKPS1_EviT_T9_T10_S9_lSB_S9_lSA_T11_S9_li
; %bb.0:
	s_load_dwordx4 s[20:23], s[4:5], 0x38
	s_waitcnt lgkmcnt(0)
	s_load_dwordx4 s[12:15], s[22:23], 0x0
	s_clause 0x1
	s_load_dwordx4 s[0:3], s[4:5], 0x8
	s_load_dwordx2 s[10:11], s[4:5], 0x0
	s_waitcnt lgkmcnt(0)
	s_load_dwordx4 s[16:19], s[0:1], 0x0
	v_cmp_eq_f64_e64 s9, s[12:13], 1.0
	v_cmp_eq_f64_e64 s33, s[14:15], 0
	s_and_b32 s0, s9, s33
	s_andn2_b32 vcc_lo, exec_lo, s0
	s_mov_b32 s0, -1
	s_cbranch_vccnz .LBB398_3
; %bb.1:
	s_cmp_lg_u32 s11, 0
	s_cbranch_scc0 .LBB398_29
; %bb.2:
	s_waitcnt lgkmcnt(0)
	v_cmp_neq_f64_e64 s0, s[16:17], 0
	v_cmp_neq_f64_e64 s1, s[18:19], 0
	s_or_b32 s0, s0, s1
.LBB398_3:
	s_and_b32 vcc_lo, exec_lo, s0
	s_cbranch_vccz .LBB398_30
; %bb.4:
	s_load_dwordx2 s[0:1], s[4:5], 0x48
	s_waitcnt lgkmcnt(0)
	v_cmp_eq_f64_e64 s24, s[16:17], 0
	v_cmp_eq_f64_e64 s25, s[18:19], 0
	s_mov_b32 s9, 0
	v_mov_b32_e32 v23, 0
	s_lshl_b64 s[30:31], s[8:9], 3
	v_mov_b32_e32 v25, 0
	v_mov_b32_e32 v19, 0
	;; [unrolled: 1-line block ×14, first 2 shown]
	s_add_u32 s0, s0, s30
	s_addc_u32 s1, s1, s31
	s_lshl_b32 s8, s6, 5
	s_load_dwordx2 s[22:23], s[0:1], 0x0
	s_lshl_b32 s34, s7, 5
	s_and_b32 s0, s24, s25
	s_cmp_lt_i32 s11, 1
	v_mov_b32_e32 v8, 0
	s_cselect_b32 s1, -1, 0
	s_or_b32 s0, s0, s1
	s_and_b32 vcc_lo, exec_lo, s0
	s_cbranch_vccnz .LBB398_13
; %bb.5:
	s_clause 0x2
	s_load_dword s6, s[4:5], 0x18
	s_load_dword s28, s[4:5], 0x30
	s_load_dwordx4 s[24:27], s[4:5], 0x20
	v_lshl_add_u32 v2, v1, 4, v0
	v_and_b32_e32 v27, 7, v0
	v_mov_b32_e32 v17, 0
	v_mov_b32_e32 v15, 0
	;; [unrolled: 1-line block ×3, first 2 shown]
	v_and_b32_e32 v8, 31, v2
	v_lshrrev_b32_e32 v3, 3, v2
	v_lshlrev_b32_e32 v4, 4, v27
	v_lshrrev_b32_e32 v28, 5, v2
	v_mov_b32_e32 v19, 0
	v_or_b32_e32 v5, s8, v8
	v_lshlrev_b32_e32 v6, 4, v8
	v_add_nc_u32_e32 v2, s34, v3
	v_lshl_or_b32 v3, v3, 7, v4
	v_add_nc_u32_e32 v8, s8, v8
	v_cmp_gt_i32_e64 s0, s10, v5
	v_lshl_or_b32 v29, v28, 9, v6
	s_waitcnt lgkmcnt(0)
	v_mad_i64_i32 v[4:5], null, v28, s6, 0
	s_ashr_i32 s7, s6, 31
	s_ashr_i32 s29, s28, 31
	s_add_u32 s26, s26, s30
	s_addc_u32 s27, s27, s31
	s_add_u32 s2, s2, s30
	v_mad_i64_i32 v[6:7], null, s28, v27, 0
	s_addc_u32 s3, s3, s31
	s_load_dwordx2 s[26:27], s[26:27], 0x0
	s_load_dwordx2 s[2:3], s[2:3], 0x0
	v_lshlrev_b64 v[4:5], 4, v[4:5]
	v_ashrrev_i32_e32 v9, 31, v8
	s_lshl_b64 s[24:25], s[24:25], 4
	v_add_nc_u32_e32 v30, 0x1000, v3
	v_ashrrev_i32_e32 v3, 31, v2
	v_lshlrev_b64 v[6:7], 4, v[6:7]
	v_add_co_u32 v10, s1, v4, s24
	v_add_co_ci_u32_e64 v11, null, s25, v5, s1
	v_lshlrev_b64 v[4:5], 4, v[8:9]
	s_lshl_b64 s[20:21], s[20:21], 4
	v_cmp_gt_i32_e32 vcc_lo, s10, v2
	v_lshlrev_b64 v[2:3], 4, v[2:3]
	v_add_co_u32 v6, s1, v6, s20
	v_add_co_ci_u32_e64 v7, null, s21, v7, s1
	v_add_co_u32 v4, s1, v10, v4
	v_add_co_ci_u32_e64 v5, null, v11, v5, s1
	;; [unrolled: 2-line block ×3, first 2 shown]
	s_waitcnt lgkmcnt(0)
	v_add_co_u32 v11, s1, s2, v4
	v_add_co_ci_u32_e64 v12, null, s3, v5, s1
	v_add_co_u32 v13, s1, s26, v2
	v_mov_b32_e32 v7, 0
	v_mov_b32_e32 v9, 0
	;; [unrolled: 1-line block ×4, first 2 shown]
	v_lshlrev_b32_e32 v31, 4, v0
	v_lshl_add_u32 v32, v1, 7, 0x1000
	v_add_co_ci_u32_e64 v14, null, s27, v3, s1
	v_mov_b32_e32 v8, 0
	v_mov_b32_e32 v10, 0
	;; [unrolled: 1-line block ×9, first 2 shown]
	s_lshl_b64 s[2:3], s[6:7], 7
	s_lshl_b64 s[6:7], s[28:29], 7
	s_xor_b32 s1, s0, -1
	s_branch .LBB398_7
.LBB398_6:                              ;   in Loop: Header=BB398_7 Depth=1
	s_or_b32 exec_lo, exec_lo, s0
	ds_write_b128 v30, v[3:6]
	s_waitcnt lgkmcnt(0)
	s_barrier
	buffer_gl0_inv
	ds_read_b128 v[3:6], v32
	ds_read_b128 v[33:36], v31
	ds_read_b128 v[37:40], v31 offset:256
	ds_read_b128 v[41:44], v32 offset:2048
	ds_read_b128 v[45:48], v32 offset:16
	ds_read_b128 v[49:52], v31 offset:512
	ds_read_b128 v[53:56], v31 offset:768
	ds_read_b128 v[57:60], v32 offset:2064
	ds_read_b128 v[61:64], v32 offset:32
	ds_read_b128 v[65:68], v31 offset:1024
	ds_read_b128 v[69:72], v31 offset:1280
	ds_read_b128 v[73:76], v32 offset:2080
	ds_read_b128 v[77:80], v32 offset:48
	ds_read_b128 v[81:84], v32 offset:2096
	v_add_co_u32 v11, s0, v11, s2
	v_add_co_ci_u32_e64 v12, null, s3, v12, s0
	v_add_co_u32 v13, s0, v13, s6
	v_add_co_ci_u32_e64 v14, null, s7, v14, s0
	s_waitcnt lgkmcnt(12)
	v_mul_f64 v[85:86], v[5:6], v[35:36]
	v_mul_f64 v[87:88], v[3:4], v[35:36]
	s_waitcnt lgkmcnt(11)
	v_mul_f64 v[89:90], v[5:6], v[39:40]
	v_mul_f64 v[91:92], v[3:4], v[39:40]
	s_waitcnt lgkmcnt(10)
	v_mul_f64 v[93:94], v[43:44], v[35:36]
	v_mul_f64 v[35:36], v[41:42], v[35:36]
	v_mul_f64 v[95:96], v[43:44], v[39:40]
	v_mul_f64 v[39:40], v[41:42], v[39:40]
	s_waitcnt lgkmcnt(8)
	v_mul_f64 v[97:98], v[47:48], v[51:52]
	v_mul_f64 v[99:100], v[45:46], v[51:52]
	s_waitcnt lgkmcnt(7)
	;; [unrolled: 3-line block ×3, first 2 shown]
	v_mul_f64 v[105:106], v[59:60], v[51:52]
	v_mul_f64 v[51:52], v[57:58], v[51:52]
	;; [unrolled: 1-line block ×4, first 2 shown]
	s_waitcnt lgkmcnt(4)
	v_mul_f64 v[109:110], v[63:64], v[67:68]
	v_mul_f64 v[111:112], v[61:62], v[67:68]
	s_waitcnt lgkmcnt(3)
	v_mul_f64 v[113:114], v[63:64], v[71:72]
	v_mul_f64 v[115:116], v[61:62], v[71:72]
	;; [unrolled: 3-line block ×3, first 2 shown]
	v_fma_f64 v[85:86], v[3:4], v[33:34], -v[85:86]
	v_fma_f64 v[87:88], v[5:6], v[33:34], v[87:88]
	v_fma_f64 v[89:90], v[3:4], v[37:38], -v[89:90]
	v_fma_f64 v[91:92], v[5:6], v[37:38], v[91:92]
	v_fma_f64 v[93:94], v[41:42], v[33:34], -v[93:94]
	v_fma_f64 v[119:120], v[43:44], v[33:34], v[35:36]
	v_fma_f64 v[95:96], v[41:42], v[37:38], -v[95:96]
	v_fma_f64 v[121:122], v[43:44], v[37:38], v[39:40]
	v_mul_f64 v[123:124], v[75:76], v[71:72]
	v_mul_f64 v[71:72], v[73:74], v[71:72]
	v_fma_f64 v[97:98], v[45:46], v[49:50], -v[97:98]
	v_fma_f64 v[99:100], v[47:48], v[49:50], v[99:100]
	v_fma_f64 v[101:102], v[45:46], v[53:54], -v[101:102]
	v_fma_f64 v[103:104], v[47:48], v[53:54], v[103:104]
	;; [unrolled: 2-line block ×7, first 2 shown]
	v_add_f64 v[23:24], v[23:24], v[85:86]
	v_add_f64 v[25:26], v[87:88], v[25:26]
	;; [unrolled: 1-line block ×6, first 2 shown]
	v_fma_f64 v[73:74], v[73:74], v[69:70], -v[123:124]
	v_fma_f64 v[69:70], v[75:76], v[69:70], v[71:72]
	v_add_f64 v[71:72], v[15:16], v[93:94]
	v_add_f64 v[75:76], v[119:120], v[17:18]
	ds_read_b128 v[3:6], v31 offset:1536
	ds_read_b128 v[33:36], v31 offset:1792
	;; [unrolled: 1-line block ×7, first 2 shown]
	s_add_i32 s9, s9, 8
	s_cmp_lt_i32 s9, s11
	v_add_f64 v[97:98], v[23:24], v[97:98]
	v_add_f64 v[99:100], v[99:100], v[25:26]
	;; [unrolled: 1-line block ×6, first 2 shown]
	ds_read_b128 v[19:22], v31 offset:2560
	ds_read_b128 v[23:26], v31 offset:2816
	s_waitcnt lgkmcnt(8)
	v_mul_f64 v[109:110], v[79:80], v[5:6]
	v_mul_f64 v[111:112], v[77:78], v[5:6]
	s_waitcnt lgkmcnt(7)
	v_mul_f64 v[67:68], v[79:80], v[35:36]
	v_mul_f64 v[113:114], v[77:78], v[35:36]
	v_mul_f64 v[115:116], v[83:84], v[5:6]
	v_mul_f64 v[117:118], v[81:82], v[5:6]
	v_mul_f64 v[87:88], v[83:84], v[35:36]
	v_mul_f64 v[35:36], v[81:82], v[35:36]
	s_waitcnt lgkmcnt(4)
	v_mul_f64 v[95:96], v[39:40], v[47:48]
	v_add_f64 v[71:72], v[71:72], v[105:106]
	v_add_f64 v[75:76], v[125:126], v[75:76]
	v_mul_f64 v[93:94], v[37:38], v[43:44]
	ds_read_b128 v[5:8], v32 offset:80
	v_add_f64 v[55:56], v[97:98], v[55:56]
	v_add_f64 v[59:60], v[59:60], v[99:100]
	v_add_f64 v[61:62], v[101:102], v[61:62]
	v_add_f64 v[63:64], v[63:64], v[103:104]
	v_add_f64 v[9:10], v[9:10], v[73:74]
	v_add_f64 v[53:54], v[69:70], v[53:54]
	s_waitcnt lgkmcnt(2)
	v_mul_f64 v[99:100], v[17:18], v[21:22]
	s_waitcnt lgkmcnt(1)
	v_mul_f64 v[101:102], v[17:18], v[25:26]
	v_fma_f64 v[89:90], v[77:78], v[3:4], -v[109:110]
	v_fma_f64 v[91:92], v[79:80], v[3:4], v[111:112]
	v_fma_f64 v[67:68], v[77:78], v[33:34], -v[67:68]
	v_mul_f64 v[77:78], v[39:40], v[43:44]
	v_mul_f64 v[109:110], v[37:38], v[47:48]
	v_fma_f64 v[79:80], v[79:80], v[33:34], v[113:114]
	v_mul_f64 v[111:112], v[51:52], v[43:44]
	v_mul_f64 v[43:44], v[49:50], v[43:44]
	v_fma_f64 v[57:58], v[81:82], v[3:4], -v[115:116]
	v_fma_f64 v[3:4], v[83:84], v[3:4], v[117:118]
	v_fma_f64 v[81:82], v[81:82], v[33:34], -v[87:88]
	v_fma_f64 v[83:84], v[83:84], v[33:34], v[35:36]
	v_fma_f64 v[87:88], v[37:38], v[45:46], -v[95:96]
	v_mul_f64 v[95:96], v[51:52], v[47:48]
	v_mul_f64 v[47:48], v[49:50], v[47:48]
	v_add_f64 v[71:72], v[71:72], v[107:108]
	v_add_f64 v[65:66], v[65:66], v[75:76]
	v_fma_f64 v[85:86], v[39:40], v[41:42], v[93:94]
	s_waitcnt lgkmcnt(0)
	v_mul_f64 v[69:70], v[7:8], v[21:22]
	v_mul_f64 v[73:74], v[5:6], v[21:22]
	;; [unrolled: 1-line block ×6, first 2 shown]
	v_add_f64 v[55:56], v[55:56], v[89:90]
	v_fma_f64 v[77:78], v[37:38], v[41:42], -v[77:78]
	v_fma_f64 v[93:94], v[39:40], v[45:46], v[109:110]
	v_add_f64 v[59:60], v[91:92], v[59:60]
	v_fma_f64 v[105:106], v[49:50], v[41:42], -v[111:112]
	v_fma_f64 v[109:110], v[51:52], v[41:42], v[43:44]
	v_add_f64 v[61:62], v[61:62], v[67:68]
	v_add_f64 v[63:64], v[79:80], v[63:64]
	;; [unrolled: 1-line block ×4, first 2 shown]
	ds_read_b128 v[33:36], v32 offset:96
	ds_read_b128 v[37:40], v31 offset:3072
	v_fma_f64 v[49:50], v[49:50], v[45:46], -v[95:96]
	v_fma_f64 v[51:52], v[51:52], v[45:46], v[47:48]
	v_add_f64 v[57:58], v[71:72], v[57:58]
	v_add_f64 v[65:66], v[3:4], v[65:66]
	ds_read_b128 v[41:44], v31 offset:3328
	ds_read_b128 v[45:48], v32 offset:2144
	v_fma_f64 v[69:70], v[5:6], v[19:20], -v[69:70]
	v_fma_f64 v[71:72], v[7:8], v[19:20], v[73:74]
	v_fma_f64 v[73:74], v[5:6], v[23:24], -v[75:76]
	v_fma_f64 v[75:76], v[7:8], v[23:24], v[97:98]
	;; [unrolled: 2-line block ×4, first 2 shown]
	v_add_f64 v[55:56], v[55:56], v[77:78]
	v_add_f64 v[59:60], v[85:86], v[59:60]
	ds_read_b128 v[3:6], v32 offset:112
	ds_read_b128 v[7:10], v32 offset:2160
	v_add_f64 v[61:62], v[61:62], v[87:88]
	v_add_f64 v[63:64], v[93:94], v[63:64]
	s_waitcnt lgkmcnt(4)
	v_mul_f64 v[89:90], v[35:36], v[39:40]
	v_mul_f64 v[25:26], v[33:34], v[39:40]
	ds_read_b128 v[15:18], v31 offset:3584
	ds_read_b128 v[19:22], v31 offset:3840
	v_add_f64 v[49:50], v[67:68], v[49:50]
	s_waitcnt lgkmcnt(5)
	v_mul_f64 v[91:92], v[35:36], v[43:44]
	v_mul_f64 v[95:96], v[33:34], v[43:44]
	s_waitcnt lgkmcnt(4)
	v_mul_f64 v[97:98], v[47:48], v[39:40]
	v_mul_f64 v[39:40], v[45:46], v[39:40]
	v_add_f64 v[57:58], v[57:58], v[105:106]
	v_add_f64 v[65:66], v[109:110], v[65:66]
	;; [unrolled: 1-line block ×3, first 2 shown]
	v_mul_f64 v[53:54], v[47:48], v[43:44]
	v_mul_f64 v[43:44], v[45:46], v[43:44]
	s_waitcnt lgkmcnt(0)
	s_barrier
	buffer_gl0_inv
	v_fma_f64 v[67:68], v[33:34], v[37:38], -v[89:90]
	v_fma_f64 v[25:26], v[35:36], v[37:38], v[25:26]
	v_add_f64 v[49:50], v[49:50], v[83:84]
	v_fma_f64 v[33:34], v[33:34], v[41:42], -v[91:92]
	v_fma_f64 v[35:36], v[35:36], v[41:42], v[95:96]
	v_fma_f64 v[77:78], v[45:46], v[37:38], -v[97:98]
	v_fma_f64 v[37:38], v[47:48], v[37:38], v[39:40]
	v_add_f64 v[39:40], v[55:56], v[69:70]
	v_add_f64 v[55:56], v[71:72], v[59:60]
	;; [unrolled: 1-line block ×7, first 2 shown]
	v_fma_f64 v[45:46], v[45:46], v[41:42], -v[53:54]
	v_fma_f64 v[41:42], v[47:48], v[41:42], v[43:44]
	v_mul_f64 v[43:44], v[5:6], v[17:18]
	v_mul_f64 v[47:48], v[3:4], v[17:18]
	;; [unrolled: 1-line block ×8, first 2 shown]
	v_add_f64 v[39:40], v[39:40], v[67:68]
	v_add_f64 v[25:26], v[25:26], v[55:56]
	;; [unrolled: 1-line block ×8, first 2 shown]
	v_fma_f64 v[23:24], v[3:4], v[15:16], -v[43:44]
	v_fma_f64 v[43:44], v[5:6], v[15:16], v[47:48]
	v_fma_f64 v[3:4], v[3:4], v[19:20], -v[51:52]
	v_fma_f64 v[5:6], v[5:6], v[19:20], v[53:54]
	v_fma_f64 v[47:48], v[7:8], v[15:16], -v[65:66]
	v_fma_f64 v[17:18], v[9:10], v[15:16], v[17:18]
	v_fma_f64 v[7:8], v[7:8], v[19:20], -v[69:70]
	v_fma_f64 v[49:50], v[9:10], v[19:20], v[21:22]
	v_add_f64 v[23:24], v[39:40], v[23:24]
	v_add_f64 v[25:26], v[43:44], v[25:26]
	;; [unrolled: 1-line block ×8, first 2 shown]
	s_cbranch_scc0 .LBB398_13
.LBB398_7:                              ; =>This Inner Loop Header: Depth=1
	v_add_nc_u32_e32 v3, s9, v28
	v_cmp_le_i32_e64 s0, s11, v3
	s_or_b32 s0, s1, s0
	s_and_saveexec_b32 s20, s0
	s_xor_b32 s0, exec_lo, s20
	s_cbranch_execz .LBB398_9
; %bb.8:                                ;   in Loop: Header=BB398_7 Depth=1
	v_mov_b32_e32 v3, v2
	v_mov_b32_e32 v4, v2
	;; [unrolled: 1-line block ×3, first 2 shown]
	ds_write_b128 v29, v[2:5]
.LBB398_9:                              ;   in Loop: Header=BB398_7 Depth=1
	s_andn2_saveexec_b32 s0, s0
	s_cbranch_execz .LBB398_11
; %bb.10:                               ;   in Loop: Header=BB398_7 Depth=1
	flat_load_dwordx4 v[3:6], v[11:12]
	s_waitcnt vmcnt(0) lgkmcnt(0)
	ds_write2_b64 v29, v[3:4], v[5:6] offset1:1
.LBB398_11:                             ;   in Loop: Header=BB398_7 Depth=1
	s_or_b32 exec_lo, exec_lo, s0
	v_add_nc_u32_e32 v3, s9, v27
	v_mov_b32_e32 v5, 0
	v_mov_b32_e32 v6, 0
	v_cmp_gt_i32_e64 s0, s11, v3
	v_mov_b32_e32 v3, 0
	v_mov_b32_e32 v4, 0
	s_and_b32 s20, s0, vcc_lo
	s_and_saveexec_b32 s0, s20
	s_cbranch_execz .LBB398_6
; %bb.12:                               ;   in Loop: Header=BB398_7 Depth=1
	flat_load_dwordx4 v[3:6], v[13:14]
	s_waitcnt vmcnt(0) lgkmcnt(0)
	v_xor_b32_e32 v6, 0x80000000, v6
	s_branch .LBB398_6
.LBB398_13:
	s_clause 0x1
	s_load_dword s2, s[4:5], 0x50
	s_load_dwordx2 s[4:5], s[4:5], 0x58
	v_cmp_neq_f64_e64 s6, s[12:13], 0
	v_add_nc_u32_e32 v27, s34, v1
	v_add_nc_u32_e32 v4, s8, v0
	v_cmp_gt_i32_e64 s0, s10, v27
	v_cmp_le_i32_e32 vcc_lo, v4, v27
	v_ashrrev_i32_e32 v5, 31, v4
	s_waitcnt lgkmcnt(0)
	v_mad_i64_i32 v[1:2], null, v27, s2, 0
	s_lshl_b64 s[4:5], s[4:5], 4
	s_add_u32 s3, s22, s4
	s_addc_u32 s4, s23, s5
	s_xor_b32 s5, s33, -1
	s_or_b32 s5, s6, s5
	v_lshlrev_b64 v[0:1], 4, v[1:2]
	v_cndmask_b32_e64 v6, 0, 1, s5
	s_and_b32 s6, s0, vcc_lo
	v_add_co_u32 v13, s1, s3, v0
	v_add_co_ci_u32_e64 v14, null, s4, v1, s1
	s_and_saveexec_b32 s1, s6
	s_cbranch_execz .LBB398_17
; %bb.14:
	v_mul_f64 v[0:1], s[18:19], v[25:26]
	v_mul_f64 v[2:3], s[16:17], v[25:26]
	v_lshlrev_b64 v[11:12], 4, v[4:5]
	v_add_co_u32 v11, vcc_lo, v13, v11
	v_add_co_ci_u32_e64 v12, null, v14, v12, vcc_lo
	s_andn2_b32 vcc_lo, exec_lo, s5
	v_fma_f64 v[0:1], s[16:17], v[23:24], -v[0:1]
	v_fma_f64 v[2:3], s[18:19], v[23:24], v[2:3]
	s_cbranch_vccnz .LBB398_16
; %bb.15:
	flat_load_dwordx4 v[23:26], v[11:12]
	s_waitcnt vmcnt(0) lgkmcnt(0)
	v_mul_f64 v[28:29], s[14:15], v[25:26]
	v_mul_f64 v[25:26], s[12:13], v[25:26]
	v_fma_f64 v[28:29], s[12:13], v[23:24], -v[28:29]
	v_fma_f64 v[23:24], s[14:15], v[23:24], v[25:26]
	v_add_f64 v[0:1], v[0:1], v[28:29]
	v_add_f64 v[2:3], v[2:3], v[23:24]
.LBB398_16:
	flat_store_dwordx4 v[11:12], v[0:3]
.LBB398_17:
	s_or_b32 exec_lo, exec_lo, s1
	v_add_nc_u32_e32 v11, 16, v4
	v_cmp_le_i32_e32 vcc_lo, v11, v27
	v_ashrrev_i32_e32 v12, 31, v11
	s_and_b32 s0, s0, vcc_lo
	s_and_saveexec_b32 s1, s0
	s_cbranch_execz .LBB398_21
; %bb.18:
	v_mul_f64 v[0:1], s[18:19], v[21:22]
	v_mul_f64 v[2:3], s[16:17], v[21:22]
	v_cmp_ne_u32_e32 vcc_lo, 1, v6
	s_and_b32 vcc_lo, exec_lo, vcc_lo
	v_fma_f64 v[0:1], s[16:17], v[19:20], -v[0:1]
	v_fma_f64 v[2:3], s[18:19], v[19:20], v[2:3]
	v_lshlrev_b64 v[19:20], 4, v[11:12]
	v_add_co_u32 v13, s0, v13, v19
	v_add_co_ci_u32_e64 v14, null, v14, v20, s0
	s_cbranch_vccnz .LBB398_20
; %bb.19:
	flat_load_dwordx4 v[19:22], v[13:14]
	s_waitcnt vmcnt(0) lgkmcnt(0)
	v_mul_f64 v[23:24], s[14:15], v[21:22]
	v_mul_f64 v[21:22], s[12:13], v[21:22]
	v_fma_f64 v[23:24], s[12:13], v[19:20], -v[23:24]
	v_fma_f64 v[19:20], s[14:15], v[19:20], v[21:22]
	v_add_f64 v[0:1], v[0:1], v[23:24]
	v_add_f64 v[2:3], v[2:3], v[19:20]
.LBB398_20:
	flat_store_dwordx4 v[13:14], v[0:3]
.LBB398_21:
	s_or_b32 exec_lo, exec_lo, s1
	v_add_nc_u32_e32 v19, 16, v27
	v_mad_i64_i32 v[0:1], null, v19, s2, 0
	v_cmp_gt_i32_e64 s0, s10, v19
	v_cmp_le_i32_e32 vcc_lo, v4, v19
	v_lshlrev_b64 v[0:1], 4, v[0:1]
	v_add_co_u32 v13, s1, s3, v0
	v_add_co_ci_u32_e64 v14, null, s4, v1, s1
	s_and_b32 s1, s0, vcc_lo
	s_and_saveexec_b32 s2, s1
	s_cbranch_execz .LBB398_25
; %bb.22:
	v_mul_f64 v[0:1], s[18:19], v[17:18]
	v_mul_f64 v[2:3], s[16:17], v[17:18]
	v_lshlrev_b64 v[4:5], 4, v[4:5]
	v_cmp_ne_u32_e32 vcc_lo, 1, v6
	s_and_b32 vcc_lo, exec_lo, vcc_lo
	v_add_co_u32 v4, s1, v13, v4
	v_add_co_ci_u32_e64 v5, null, v14, v5, s1
	v_fma_f64 v[0:1], s[16:17], v[15:16], -v[0:1]
	v_fma_f64 v[2:3], s[18:19], v[15:16], v[2:3]
	s_cbranch_vccnz .LBB398_24
; %bb.23:
	flat_load_dwordx4 v[15:18], v[4:5]
	s_waitcnt vmcnt(0) lgkmcnt(0)
	v_mul_f64 v[20:21], s[14:15], v[17:18]
	v_mul_f64 v[17:18], s[12:13], v[17:18]
	v_fma_f64 v[20:21], s[12:13], v[15:16], -v[20:21]
	v_fma_f64 v[15:16], s[14:15], v[15:16], v[17:18]
	v_add_f64 v[0:1], v[0:1], v[20:21]
	v_add_f64 v[2:3], v[2:3], v[15:16]
.LBB398_24:
	flat_store_dwordx4 v[4:5], v[0:3]
.LBB398_25:
	s_or_b32 exec_lo, exec_lo, s2
	v_cmp_le_i32_e32 vcc_lo, v11, v19
	s_and_b32 s0, s0, vcc_lo
	s_and_saveexec_b32 s1, s0
	s_cbranch_execz .LBB398_30
; %bb.26:
	v_mul_f64 v[0:1], s[18:19], v[7:8]
	v_mul_f64 v[2:3], s[16:17], v[7:8]
	v_lshlrev_b64 v[4:5], 4, v[11:12]
	v_cmp_ne_u32_e32 vcc_lo, 1, v6
	s_and_b32 vcc_lo, exec_lo, vcc_lo
	v_add_co_u32 v4, s0, v13, v4
	v_add_co_ci_u32_e64 v5, null, v14, v5, s0
	v_fma_f64 v[0:1], s[16:17], v[9:10], -v[0:1]
	v_fma_f64 v[2:3], s[18:19], v[9:10], v[2:3]
	s_cbranch_vccnz .LBB398_28
; %bb.27:
	flat_load_dwordx4 v[6:9], v[4:5]
	s_waitcnt vmcnt(0) lgkmcnt(0)
	v_mul_f64 v[10:11], s[14:15], v[8:9]
	v_mul_f64 v[8:9], s[12:13], v[8:9]
	v_fma_f64 v[10:11], s[12:13], v[6:7], -v[10:11]
	v_fma_f64 v[6:7], s[14:15], v[6:7], v[8:9]
	v_add_f64 v[0:1], v[0:1], v[10:11]
	v_add_f64 v[2:3], v[2:3], v[6:7]
.LBB398_28:
	flat_store_dwordx4 v[4:5], v[0:3]
	s_endpgm
.LBB398_29:
.LBB398_30:
	s_endpgm
	.section	.rodata,"a",@progbits
	.p2align	6, 0x0
	.amdhsa_kernel _ZL29rocblas_internal_gemmt_kernelIiLi16ELi32ELi8ELc78ELc67ELc85ELb0ELb1E19rocblas_complex_numIdEPKS1_PKS3_PKPS1_EviT_T9_T10_S9_lSB_S9_lSA_T11_S9_li
		.amdhsa_group_segment_fixed_size 8192
		.amdhsa_private_segment_fixed_size 0
		.amdhsa_kernarg_size 100
		.amdhsa_user_sgpr_count 6
		.amdhsa_user_sgpr_private_segment_buffer 1
		.amdhsa_user_sgpr_dispatch_ptr 0
		.amdhsa_user_sgpr_queue_ptr 0
		.amdhsa_user_sgpr_kernarg_segment_ptr 1
		.amdhsa_user_sgpr_dispatch_id 0
		.amdhsa_user_sgpr_flat_scratch_init 0
		.amdhsa_user_sgpr_private_segment_size 0
		.amdhsa_wavefront_size32 1
		.amdhsa_uses_dynamic_stack 0
		.amdhsa_system_sgpr_private_segment_wavefront_offset 0
		.amdhsa_system_sgpr_workgroup_id_x 1
		.amdhsa_system_sgpr_workgroup_id_y 1
		.amdhsa_system_sgpr_workgroup_id_z 1
		.amdhsa_system_sgpr_workgroup_info 0
		.amdhsa_system_vgpr_workitem_id 1
		.amdhsa_next_free_vgpr 127
		.amdhsa_next_free_sgpr 35
		.amdhsa_reserve_vcc 1
		.amdhsa_reserve_flat_scratch 0
		.amdhsa_float_round_mode_32 0
		.amdhsa_float_round_mode_16_64 0
		.amdhsa_float_denorm_mode_32 3
		.amdhsa_float_denorm_mode_16_64 3
		.amdhsa_dx10_clamp 1
		.amdhsa_ieee_mode 1
		.amdhsa_fp16_overflow 0
		.amdhsa_workgroup_processor_mode 1
		.amdhsa_memory_ordered 1
		.amdhsa_forward_progress 1
		.amdhsa_shared_vgpr_count 0
		.amdhsa_exception_fp_ieee_invalid_op 0
		.amdhsa_exception_fp_denorm_src 0
		.amdhsa_exception_fp_ieee_div_zero 0
		.amdhsa_exception_fp_ieee_overflow 0
		.amdhsa_exception_fp_ieee_underflow 0
		.amdhsa_exception_fp_ieee_inexact 0
		.amdhsa_exception_int_div_zero 0
	.end_amdhsa_kernel
	.section	.text._ZL29rocblas_internal_gemmt_kernelIiLi16ELi32ELi8ELc78ELc67ELc85ELb0ELb1E19rocblas_complex_numIdEPKS1_PKS3_PKPS1_EviT_T9_T10_S9_lSB_S9_lSA_T11_S9_li,"axG",@progbits,_ZL29rocblas_internal_gemmt_kernelIiLi16ELi32ELi8ELc78ELc67ELc85ELb0ELb1E19rocblas_complex_numIdEPKS1_PKS3_PKPS1_EviT_T9_T10_S9_lSB_S9_lSA_T11_S9_li,comdat
.Lfunc_end398:
	.size	_ZL29rocblas_internal_gemmt_kernelIiLi16ELi32ELi8ELc78ELc67ELc85ELb0ELb1E19rocblas_complex_numIdEPKS1_PKS3_PKPS1_EviT_T9_T10_S9_lSB_S9_lSA_T11_S9_li, .Lfunc_end398-_ZL29rocblas_internal_gemmt_kernelIiLi16ELi32ELi8ELc78ELc67ELc85ELb0ELb1E19rocblas_complex_numIdEPKS1_PKS3_PKPS1_EviT_T9_T10_S9_lSB_S9_lSA_T11_S9_li
                                        ; -- End function
	.set _ZL29rocblas_internal_gemmt_kernelIiLi16ELi32ELi8ELc78ELc67ELc85ELb0ELb1E19rocblas_complex_numIdEPKS1_PKS3_PKPS1_EviT_T9_T10_S9_lSB_S9_lSA_T11_S9_li.num_vgpr, 127
	.set _ZL29rocblas_internal_gemmt_kernelIiLi16ELi32ELi8ELc78ELc67ELc85ELb0ELb1E19rocblas_complex_numIdEPKS1_PKS3_PKPS1_EviT_T9_T10_S9_lSB_S9_lSA_T11_S9_li.num_agpr, 0
	.set _ZL29rocblas_internal_gemmt_kernelIiLi16ELi32ELi8ELc78ELc67ELc85ELb0ELb1E19rocblas_complex_numIdEPKS1_PKS3_PKPS1_EviT_T9_T10_S9_lSB_S9_lSA_T11_S9_li.numbered_sgpr, 35
	.set _ZL29rocblas_internal_gemmt_kernelIiLi16ELi32ELi8ELc78ELc67ELc85ELb0ELb1E19rocblas_complex_numIdEPKS1_PKS3_PKPS1_EviT_T9_T10_S9_lSB_S9_lSA_T11_S9_li.num_named_barrier, 0
	.set _ZL29rocblas_internal_gemmt_kernelIiLi16ELi32ELi8ELc78ELc67ELc85ELb0ELb1E19rocblas_complex_numIdEPKS1_PKS3_PKPS1_EviT_T9_T10_S9_lSB_S9_lSA_T11_S9_li.private_seg_size, 0
	.set _ZL29rocblas_internal_gemmt_kernelIiLi16ELi32ELi8ELc78ELc67ELc85ELb0ELb1E19rocblas_complex_numIdEPKS1_PKS3_PKPS1_EviT_T9_T10_S9_lSB_S9_lSA_T11_S9_li.uses_vcc, 1
	.set _ZL29rocblas_internal_gemmt_kernelIiLi16ELi32ELi8ELc78ELc67ELc85ELb0ELb1E19rocblas_complex_numIdEPKS1_PKS3_PKPS1_EviT_T9_T10_S9_lSB_S9_lSA_T11_S9_li.uses_flat_scratch, 0
	.set _ZL29rocblas_internal_gemmt_kernelIiLi16ELi32ELi8ELc78ELc67ELc85ELb0ELb1E19rocblas_complex_numIdEPKS1_PKS3_PKPS1_EviT_T9_T10_S9_lSB_S9_lSA_T11_S9_li.has_dyn_sized_stack, 0
	.set _ZL29rocblas_internal_gemmt_kernelIiLi16ELi32ELi8ELc78ELc67ELc85ELb0ELb1E19rocblas_complex_numIdEPKS1_PKS3_PKPS1_EviT_T9_T10_S9_lSB_S9_lSA_T11_S9_li.has_recursion, 0
	.set _ZL29rocblas_internal_gemmt_kernelIiLi16ELi32ELi8ELc78ELc67ELc85ELb0ELb1E19rocblas_complex_numIdEPKS1_PKS3_PKPS1_EviT_T9_T10_S9_lSB_S9_lSA_T11_S9_li.has_indirect_call, 0
	.section	.AMDGPU.csdata,"",@progbits
; Kernel info:
; codeLenInByte = 3572
; TotalNumSgprs: 37
; NumVgprs: 127
; ScratchSize: 0
; MemoryBound: 1
; FloatMode: 240
; IeeeMode: 1
; LDSByteSize: 8192 bytes/workgroup (compile time only)
; SGPRBlocks: 0
; VGPRBlocks: 15
; NumSGPRsForWavesPerEU: 37
; NumVGPRsForWavesPerEU: 127
; Occupancy: 8
; WaveLimiterHint : 1
; COMPUTE_PGM_RSRC2:SCRATCH_EN: 0
; COMPUTE_PGM_RSRC2:USER_SGPR: 6
; COMPUTE_PGM_RSRC2:TRAP_HANDLER: 0
; COMPUTE_PGM_RSRC2:TGID_X_EN: 1
; COMPUTE_PGM_RSRC2:TGID_Y_EN: 1
; COMPUTE_PGM_RSRC2:TGID_Z_EN: 1
; COMPUTE_PGM_RSRC2:TIDIG_COMP_CNT: 1
	.section	.text._ZL29rocblas_internal_gemmt_kernelIiLi16ELi32ELi8ELc84ELc78ELc85ELb0ELb0E19rocblas_complex_numIdEPKS1_PKS3_PKPS1_EviT_T9_T10_S9_lSB_S9_lSA_T11_S9_li,"axG",@progbits,_ZL29rocblas_internal_gemmt_kernelIiLi16ELi32ELi8ELc84ELc78ELc85ELb0ELb0E19rocblas_complex_numIdEPKS1_PKS3_PKPS1_EviT_T9_T10_S9_lSB_S9_lSA_T11_S9_li,comdat
	.globl	_ZL29rocblas_internal_gemmt_kernelIiLi16ELi32ELi8ELc84ELc78ELc85ELb0ELb0E19rocblas_complex_numIdEPKS1_PKS3_PKPS1_EviT_T9_T10_S9_lSB_S9_lSA_T11_S9_li ; -- Begin function _ZL29rocblas_internal_gemmt_kernelIiLi16ELi32ELi8ELc84ELc78ELc85ELb0ELb0E19rocblas_complex_numIdEPKS1_PKS3_PKPS1_EviT_T9_T10_S9_lSB_S9_lSA_T11_S9_li
	.p2align	8
	.type	_ZL29rocblas_internal_gemmt_kernelIiLi16ELi32ELi8ELc84ELc78ELc85ELb0ELb0E19rocblas_complex_numIdEPKS1_PKS3_PKPS1_EviT_T9_T10_S9_lSB_S9_lSA_T11_S9_li,@function
_ZL29rocblas_internal_gemmt_kernelIiLi16ELi32ELi8ELc84ELc78ELc85ELb0ELb0E19rocblas_complex_numIdEPKS1_PKS3_PKPS1_EviT_T9_T10_S9_lSB_S9_lSA_T11_S9_li: ; @_ZL29rocblas_internal_gemmt_kernelIiLi16ELi32ELi8ELc84ELc78ELc85ELb0ELb0E19rocblas_complex_numIdEPKS1_PKS3_PKPS1_EviT_T9_T10_S9_lSB_S9_lSA_T11_S9_li
; %bb.0:
	s_load_dwordx4 s[20:23], s[4:5], 0x38
	s_waitcnt lgkmcnt(0)
	s_load_dwordx4 s[12:15], s[22:23], 0x0
	s_clause 0x1
	s_load_dwordx4 s[0:3], s[4:5], 0x8
	s_load_dwordx2 s[10:11], s[4:5], 0x0
	s_waitcnt lgkmcnt(0)
	s_load_dwordx4 s[16:19], s[0:1], 0x0
	v_cmp_eq_f64_e64 s9, s[12:13], 1.0
	v_cmp_eq_f64_e64 s30, s[14:15], 0
	s_and_b32 s0, s9, s30
	s_andn2_b32 vcc_lo, exec_lo, s0
	s_mov_b32 s0, -1
	s_cbranch_vccnz .LBB399_3
; %bb.1:
	s_cmp_lg_u32 s11, 0
	s_cbranch_scc0 .LBB399_31
; %bb.2:
	s_waitcnt lgkmcnt(0)
	v_cmp_neq_f64_e64 s0, s[16:17], 0
	v_cmp_neq_f64_e64 s1, s[18:19], 0
	s_or_b32 s0, s0, s1
.LBB399_3:
	s_and_b32 vcc_lo, exec_lo, s0
	s_cbranch_vccz .LBB399_32
; %bb.4:
	s_load_dwordx2 s[0:1], s[4:5], 0x48
	s_waitcnt lgkmcnt(0)
	v_cmp_eq_f64_e64 s24, s[16:17], 0
	v_cmp_eq_f64_e64 s25, s[18:19], 0
	s_mov_b32 s9, 0
	v_mov_b32_e32 v22, 0
	s_lshl_b64 s[28:29], s[8:9], 3
	v_mov_b32_e32 v24, 0
	v_mov_b32_e32 v18, 0
	;; [unrolled: 1-line block ×14, first 2 shown]
	s_add_u32 s0, s0, s28
	s_addc_u32 s1, s1, s29
	s_lshl_b32 s6, s6, 5
	s_load_dwordx2 s[22:23], s[0:1], 0x0
	s_lshl_b32 s7, s7, 5
	s_and_b32 s0, s24, s25
	s_cmp_lt_i32 s11, 1
	v_mov_b32_e32 v7, 0
	s_cselect_b32 s1, -1, 0
	s_or_b32 s0, s0, s1
	s_and_b32 vcc_lo, exec_lo, s0
	s_cbranch_vccnz .LBB399_15
; %bb.5:
	s_clause 0x2
	s_load_dword s1, s[4:5], 0x18
	s_load_dwordx4 s[24:27], s[4:5], 0x20
	s_load_dword s8, s[4:5], 0x30
	v_lshl_add_u32 v2, v1, 4, v0
	v_and_b32_e32 v26, 7, v0
	v_mov_b32_e32 v8, 0
	v_mov_b32_e32 v16, 0
	;; [unrolled: 1-line block ×3, first 2 shown]
	v_and_b32_e32 v3, 31, v2
	v_lshrrev_b32_e32 v4, 3, v2
	v_lshlrev_b32_e32 v6, 4, v26
	v_lshrrev_b32_e32 v29, 5, v2
	v_mov_b32_e32 v20, 0
	v_or_b32_e32 v2, s6, v3
	v_lshlrev_b32_e32 v5, 4, v3
	v_add_nc_u32_e32 v3, s6, v3
	v_add_nc_u32_e32 v7, s7, v4
	v_lshl_or_b32 v4, v4, 7, v6
	v_cmp_gt_i32_e32 vcc_lo, s10, v2
	v_lshl_or_b32 v30, v29, 9, v5
	s_waitcnt lgkmcnt(0)
	v_mad_i64_i32 v[2:3], null, s1, v3, 0
	s_add_u32 s26, s26, s28
	s_addc_u32 s27, s27, s29
	s_add_u32 s2, s2, s28
	v_add_nc_u32_e32 v31, 0x1000, v4
	v_mad_i64_i32 v[4:5], null, s8, v7, 0
	s_addc_u32 s3, s3, s29
	s_load_dwordx2 s[26:27], s[26:27], 0x0
	s_load_dwordx2 s[2:3], s[2:3], 0x0
	v_lshlrev_b64 v[2:3], 4, v[2:3]
	s_lshl_b64 s[24:25], s[24:25], 4
	v_cmp_gt_i32_e64 s0, s10, v7
	v_lshlrev_b64 v[4:5], 4, v[4:5]
	v_lshlrev_b32_e32 v7, 4, v29
	s_lshl_b64 s[20:21], s[20:21], 4
	v_add_co_u32 v2, s1, v2, s24
	v_add_co_ci_u32_e64 v3, null, s25, v3, s1
	v_add_co_u32 v4, s1, v4, s20
	v_add_co_ci_u32_e64 v5, null, s21, v5, s1
	;; [unrolled: 2-line block ×4, first 2 shown]
	s_waitcnt lgkmcnt(0)
	v_add_co_u32 v10, s1, s2, v2
	v_add_co_ci_u32_e64 v11, null, s3, v3, s1
	v_add_co_u32 v12, s1, s26, v4
	v_mov_b32_e32 v6, 0
	v_mov_b32_e32 v18, 0
	v_mov_b32_e32 v24, 0
	v_mov_b32_e32 v22, 0
	v_lshlrev_b32_e32 v27, 4, v0
	v_lshl_add_u32 v28, v1, 7, 0x1000
	v_add_co_ci_u32_e64 v13, null, s27, v5, s1
	v_mov_b32_e32 v7, 0
	v_mov_b32_e32 v9, 0
	v_mov_b32_e32 v17, 0
	v_mov_b32_e32 v15, 0
	v_mov_b32_e32 v21, 0
	v_mov_b32_e32 v19, 0
	v_mov_b32_e32 v25, 0
	v_mov_b32_e32 v23, 0
	v_mov_b32_e32 v2, 0
	s_xor_b32 s1, vcc_lo, -1
	s_xor_b32 s0, s0, -1
	s_branch .LBB399_7
.LBB399_6:                              ;   in Loop: Header=BB399_7 Depth=1
	s_or_b32 exec_lo, exec_lo, s2
	s_waitcnt lgkmcnt(0)
	s_barrier
	buffer_gl0_inv
	ds_read_b128 v[32:35], v28
	ds_read_b128 v[36:39], v27
	ds_read_b128 v[40:43], v27 offset:256
	ds_read_b128 v[44:47], v28 offset:2048
	;; [unrolled: 1-line block ×12, first 2 shown]
	v_add_co_u32 v10, vcc_lo, 0x80, v10
	v_add_co_ci_u32_e64 v11, null, 0, v11, vcc_lo
	v_add_co_u32 v12, vcc_lo, 0x80, v12
	v_add_co_ci_u32_e64 v13, null, 0, v13, vcc_lo
	s_waitcnt lgkmcnt(12)
	v_mul_f64 v[3:4], v[34:35], v[38:39]
	v_mul_f64 v[88:89], v[32:33], v[38:39]
	s_waitcnt lgkmcnt(11)
	v_mul_f64 v[90:91], v[34:35], v[42:43]
	v_mul_f64 v[92:93], v[32:33], v[42:43]
	;; [unrolled: 3-line block ×3, first 2 shown]
	v_mul_f64 v[96:97], v[46:47], v[42:43]
	v_mul_f64 v[42:43], v[44:45], v[42:43]
	s_waitcnt lgkmcnt(8)
	v_mul_f64 v[98:99], v[50:51], v[54:55]
	v_mul_f64 v[100:101], v[48:49], v[54:55]
	s_waitcnt lgkmcnt(7)
	;; [unrolled: 3-line block ×3, first 2 shown]
	v_mul_f64 v[106:107], v[62:63], v[54:55]
	v_mul_f64 v[54:55], v[60:61], v[54:55]
	;; [unrolled: 1-line block ×4, first 2 shown]
	s_waitcnt lgkmcnt(4)
	v_mul_f64 v[110:111], v[66:67], v[70:71]
	v_mul_f64 v[112:113], v[64:65], v[70:71]
	s_waitcnt lgkmcnt(3)
	v_mul_f64 v[114:115], v[66:67], v[74:75]
	v_mul_f64 v[116:117], v[64:65], v[74:75]
	;; [unrolled: 3-line block ×3, first 2 shown]
	v_fma_f64 v[3:4], v[32:33], v[36:37], -v[3:4]
	v_fma_f64 v[88:89], v[34:35], v[36:37], v[88:89]
	v_fma_f64 v[90:91], v[32:33], v[40:41], -v[90:91]
	v_fma_f64 v[92:93], v[34:35], v[40:41], v[92:93]
	;; [unrolled: 2-line block ×4, first 2 shown]
	v_mul_f64 v[124:125], v[78:79], v[74:75]
	v_mul_f64 v[74:75], v[76:77], v[74:75]
	ds_read_b128 v[32:35], v27 offset:1536
	ds_read_b128 v[36:39], v27 offset:1792
	v_fma_f64 v[98:99], v[48:49], v[52:53], -v[98:99]
	v_fma_f64 v[100:101], v[50:51], v[52:53], v[100:101]
	v_fma_f64 v[102:103], v[48:49], v[56:57], -v[102:103]
	v_fma_f64 v[104:105], v[50:51], v[56:57], v[104:105]
	v_fma_f64 v[106:107], v[60:61], v[52:53], -v[106:107]
	v_fma_f64 v[126:127], v[62:63], v[52:53], v[54:55]
	v_fma_f64 v[60:61], v[60:61], v[56:57], -v[108:109]
	v_fma_f64 v[56:57], v[62:63], v[56:57], v[58:59]
	v_fma_f64 v[58:59], v[64:65], v[68:69], -v[110:111]
	v_fma_f64 v[62:63], v[66:67], v[68:69], v[112:113]
	v_fma_f64 v[64:65], v[64:65], v[72:73], -v[114:115]
	v_fma_f64 v[66:67], v[66:67], v[72:73], v[116:117]
	v_fma_f64 v[108:109], v[76:77], v[68:69], -v[118:119]
	v_fma_f64 v[68:69], v[78:79], v[68:69], v[70:71]
	v_add_f64 v[22:23], v[22:23], v[3:4]
	v_add_f64 v[24:25], v[88:89], v[24:25]
	v_add_f64 v[18:19], v[18:19], v[90:91]
	v_add_f64 v[20:21], v[92:93], v[20:21]
	s_waitcnt lgkmcnt(1)
	v_mul_f64 v[110:111], v[82:83], v[34:35]
	v_mul_f64 v[112:113], v[80:81], v[34:35]
	s_waitcnt lgkmcnt(0)
	v_mul_f64 v[70:71], v[82:83], v[38:39]
	v_fma_f64 v[76:77], v[76:77], v[72:73], -v[124:125]
	v_fma_f64 v[72:73], v[78:79], v[72:73], v[74:75]
	v_add_f64 v[74:75], v[14:15], v[94:95]
	v_add_f64 v[78:79], v[120:121], v[16:17]
	;; [unrolled: 1-line block ×4, first 2 shown]
	ds_read_b128 v[40:43], v28 offset:64
	ds_read_b128 v[44:47], v27 offset:2048
	;; [unrolled: 1-line block ×3, first 2 shown]
	v_mul_f64 v[114:115], v[80:81], v[38:39]
	v_mul_f64 v[116:117], v[86:87], v[34:35]
	;; [unrolled: 1-line block ×5, first 2 shown]
	ds_read_b128 v[52:55], v28 offset:2112
	ds_read_b128 v[14:17], v28 offset:2128
	v_add_f64 v[98:99], v[22:23], v[98:99]
	v_add_f64 v[100:101], v[100:101], v[24:25]
	;; [unrolled: 1-line block ×4, first 2 shown]
	v_fma_f64 v[92:93], v[80:81], v[32:33], -v[110:111]
	v_fma_f64 v[94:95], v[82:83], v[32:33], v[112:113]
	v_fma_f64 v[70:71], v[80:81], v[36:37], -v[70:71]
	ds_read_b128 v[18:21], v27 offset:2560
	ds_read_b128 v[3:6], v28 offset:80
	;; [unrolled: 1-line block ×3, first 2 shown]
	v_add_f64 v[74:75], v[74:75], v[106:107]
	s_waitcnt lgkmcnt(6)
	v_mul_f64 v[80:81], v[42:43], v[46:47]
	v_mul_f64 v[96:97], v[40:41], v[46:47]
	s_waitcnt lgkmcnt(5)
	v_mul_f64 v[110:111], v[42:43], v[50:51]
	v_mul_f64 v[112:113], v[40:41], v[50:51]
	v_add_f64 v[78:79], v[126:127], v[78:79]
	v_add_f64 v[7:8], v[8:9], v[60:61]
	;; [unrolled: 1-line block ×3, first 2 shown]
	v_fma_f64 v[82:83], v[82:83], v[36:37], v[114:115]
	s_waitcnt lgkmcnt(4)
	v_mul_f64 v[114:115], v[54:55], v[46:47]
	v_mul_f64 v[46:47], v[52:53], v[46:47]
	v_fma_f64 v[60:61], v[84:85], v[32:33], -v[116:117]
	v_fma_f64 v[88:89], v[86:87], v[32:33], v[34:35]
	v_fma_f64 v[84:85], v[84:85], v[36:37], -v[90:91]
	v_fma_f64 v[86:87], v[86:87], v[36:37], v[38:39]
	v_add_f64 v[58:59], v[98:99], v[58:59]
	v_add_f64 v[62:63], v[62:63], v[100:101]
	;; [unrolled: 1-line block ×4, first 2 shown]
	s_waitcnt lgkmcnt(0)
	v_mul_f64 v[98:99], v[3:4], v[24:25]
	v_mul_f64 v[100:101], v[16:17], v[20:21]
	;; [unrolled: 1-line block ×3, first 2 shown]
	v_add_f64 v[74:75], v[74:75], v[108:109]
	v_fma_f64 v[80:81], v[40:41], v[44:45], -v[80:81]
	v_fma_f64 v[90:91], v[42:43], v[44:45], v[96:97]
	v_fma_f64 v[96:97], v[40:41], v[48:49], -v[110:111]
	v_fma_f64 v[106:107], v[42:43], v[48:49], v[112:113]
	v_mul_f64 v[40:41], v[54:55], v[50:51]
	v_mul_f64 v[42:43], v[52:53], v[50:51]
	v_add_f64 v[68:69], v[68:69], v[78:79]
	v_add_f64 v[7:8], v[7:8], v[76:77]
	;; [unrolled: 1-line block ×3, first 2 shown]
	v_fma_f64 v[50:51], v[52:53], v[44:45], -v[114:115]
	v_fma_f64 v[110:111], v[54:55], v[44:45], v[46:47]
	v_mul_f64 v[72:73], v[5:6], v[20:21]
	v_mul_f64 v[76:77], v[3:4], v[20:21]
	;; [unrolled: 1-line block ×5, first 2 shown]
	ds_read_b128 v[32:35], v28 offset:96
	ds_read_b128 v[36:39], v27 offset:3072
	s_add_i32 s9, s9, 8
	s_cmp_lt_i32 s9, s11
	v_add_f64 v[60:61], v[74:75], v[60:61]
	v_fma_f64 v[74:75], v[5:6], v[22:23], v[98:99]
	v_fma_f64 v[52:53], v[52:53], v[48:49], -v[40:41]
	v_fma_f64 v[48:49], v[54:55], v[48:49], v[42:43]
	v_add_f64 v[54:55], v[58:59], v[92:93]
	v_add_f64 v[58:59], v[94:95], v[62:63]
	;; [unrolled: 1-line block ×7, first 2 shown]
	ds_read_b128 v[40:43], v27 offset:3328
	ds_read_b128 v[44:47], v28 offset:2144
	v_fma_f64 v[68:69], v[3:4], v[18:19], -v[72:73]
	v_fma_f64 v[70:71], v[5:6], v[18:19], v[76:77]
	v_fma_f64 v[72:73], v[3:4], v[22:23], -v[78:79]
	v_fma_f64 v[76:77], v[14:15], v[18:19], -v[100:101]
	v_fma_f64 v[78:79], v[16:17], v[18:19], v[20:21]
	v_fma_f64 v[82:83], v[14:15], v[22:23], -v[102:103]
	s_waitcnt lgkmcnt(2)
	v_mul_f64 v[84:85], v[34:35], v[38:39]
	v_fma_f64 v[86:87], v[16:17], v[22:23], v[24:25]
	v_mul_f64 v[88:89], v[32:33], v[38:39]
	v_add_f64 v[50:51], v[60:61], v[50:51]
	ds_read_b128 v[3:6], v28 offset:112
	ds_read_b128 v[14:17], v28 offset:2160
	;; [unrolled: 1-line block ×4, first 2 shown]
	s_waitcnt lgkmcnt(0)
	v_add_f64 v[54:55], v[54:55], v[80:81]
	v_add_f64 v[58:59], v[90:91], v[58:59]
	;; [unrolled: 1-line block ×4, first 2 shown]
	v_mul_f64 v[92:93], v[34:35], v[42:43]
	v_mul_f64 v[94:95], v[32:33], v[42:43]
	;; [unrolled: 1-line block ×4, first 2 shown]
	v_add_f64 v[60:61], v[110:111], v[66:67]
	v_add_f64 v[7:8], v[7:8], v[52:53]
	;; [unrolled: 1-line block ×3, first 2 shown]
	v_mul_f64 v[52:53], v[46:47], v[42:43]
	v_mul_f64 v[42:43], v[44:45], v[42:43]
	s_barrier
	v_fma_f64 v[56:57], v[32:33], v[36:37], -v[84:85]
	buffer_gl0_inv
	v_fma_f64 v[66:67], v[34:35], v[36:37], v[88:89]
	v_add_f64 v[50:51], v[50:51], v[76:77]
	v_fma_f64 v[32:33], v[32:33], v[40:41], -v[92:93]
	v_fma_f64 v[34:35], v[34:35], v[40:41], v[94:95]
	v_fma_f64 v[80:81], v[44:45], v[36:37], -v[98:99]
	v_fma_f64 v[36:37], v[46:47], v[36:37], v[38:39]
	v_add_f64 v[38:39], v[54:55], v[68:69]
	v_add_f64 v[54:55], v[70:71], v[58:59]
	;; [unrolled: 1-line block ×7, first 2 shown]
	v_fma_f64 v[44:45], v[44:45], v[40:41], -v[52:53]
	v_fma_f64 v[40:41], v[46:47], v[40:41], v[42:43]
	v_mul_f64 v[42:43], v[5:6], v[20:21]
	v_mul_f64 v[46:47], v[3:4], v[20:21]
	;; [unrolled: 1-line block ×8, first 2 shown]
	v_add_f64 v[50:51], v[50:51], v[80:81]
	v_add_f64 v[38:39], v[38:39], v[56:57]
	;; [unrolled: 1-line block ×8, first 2 shown]
	v_fma_f64 v[42:43], v[3:4], v[18:19], -v[42:43]
	v_fma_f64 v[44:45], v[5:6], v[18:19], v[46:47]
	v_fma_f64 v[3:4], v[3:4], v[22:23], -v[52:53]
	v_fma_f64 v[5:6], v[5:6], v[22:23], v[64:65]
	;; [unrolled: 2-line block ×4, first 2 shown]
	v_add_f64 v[22:23], v[38:39], v[42:43]
	v_add_f64 v[24:25], v[44:45], v[54:55]
	;; [unrolled: 1-line block ×8, first 2 shown]
	s_cbranch_scc0 .LBB399_15
.LBB399_7:                              ; =>This Inner Loop Header: Depth=1
	v_add_nc_u32_e32 v3, s9, v29
	v_cmp_le_i32_e32 vcc_lo, s11, v3
	s_or_b32 s2, s1, vcc_lo
	s_and_saveexec_b32 s3, s2
	s_xor_b32 s2, exec_lo, s3
	s_cbranch_execz .LBB399_9
; %bb.8:                                ;   in Loop: Header=BB399_7 Depth=1
	v_mov_b32_e32 v3, v2
	v_mov_b32_e32 v4, v2
	;; [unrolled: 1-line block ×3, first 2 shown]
	ds_write_b128 v30, v[2:5]
.LBB399_9:                              ;   in Loop: Header=BB399_7 Depth=1
	s_andn2_saveexec_b32 s2, s2
	s_cbranch_execz .LBB399_11
; %bb.10:                               ;   in Loop: Header=BB399_7 Depth=1
	flat_load_dwordx4 v[32:35], v[10:11]
	s_waitcnt vmcnt(0) lgkmcnt(0)
	ds_write2_b64 v30, v[32:33], v[34:35] offset1:1
.LBB399_11:                             ;   in Loop: Header=BB399_7 Depth=1
	s_or_b32 exec_lo, exec_lo, s2
	v_add_nc_u32_e32 v3, s9, v26
	v_cmp_le_i32_e32 vcc_lo, s11, v3
	s_or_b32 s2, vcc_lo, s0
	s_and_saveexec_b32 s3, s2
	s_xor_b32 s2, exec_lo, s3
	s_cbranch_execz .LBB399_13
; %bb.12:                               ;   in Loop: Header=BB399_7 Depth=1
	v_mov_b32_e32 v3, v2
	v_mov_b32_e32 v4, v2
	;; [unrolled: 1-line block ×3, first 2 shown]
	ds_write_b128 v31, v[2:5]
.LBB399_13:                             ;   in Loop: Header=BB399_7 Depth=1
	s_andn2_saveexec_b32 s2, s2
	s_cbranch_execz .LBB399_6
; %bb.14:                               ;   in Loop: Header=BB399_7 Depth=1
	flat_load_dwordx4 v[32:35], v[12:13]
	s_waitcnt vmcnt(0) lgkmcnt(0)
	ds_write2_b64 v31, v[32:33], v[34:35] offset1:1
	s_branch .LBB399_6
.LBB399_15:
	s_clause 0x1
	s_load_dword s2, s[4:5], 0x50
	s_load_dwordx2 s[4:5], s[4:5], 0x58
	v_cmp_neq_f64_e64 s8, s[12:13], 0
	v_add_nc_u32_e32 v27, s7, v1
	v_add_nc_u32_e32 v4, s6, v0
	v_cmp_gt_i32_e64 s0, s10, v27
	v_cmp_le_i32_e32 vcc_lo, v4, v27
	v_ashrrev_i32_e32 v5, 31, v4
	s_waitcnt lgkmcnt(0)
	v_mad_i64_i32 v[1:2], null, v27, s2, 0
	s_lshl_b64 s[4:5], s[4:5], 4
	s_add_u32 s3, s22, s4
	s_addc_u32 s4, s23, s5
	s_xor_b32 s5, s30, -1
	s_and_b32 s6, s0, vcc_lo
	v_lshlrev_b64 v[0:1], 4, v[1:2]
	s_or_b32 s5, s8, s5
	v_cndmask_b32_e64 v26, 0, 1, s5
	v_add_co_u32 v12, s1, s3, v0
	v_add_co_ci_u32_e64 v13, null, s4, v1, s1
	s_and_saveexec_b32 s1, s6
	s_cbranch_execz .LBB399_19
; %bb.16:
	v_mul_f64 v[0:1], s[18:19], v[24:25]
	v_mul_f64 v[2:3], s[16:17], v[24:25]
	v_lshlrev_b64 v[10:11], 4, v[4:5]
	v_add_co_u32 v10, vcc_lo, v12, v10
	v_add_co_ci_u32_e64 v11, null, v13, v11, vcc_lo
	s_andn2_b32 vcc_lo, exec_lo, s5
	v_fma_f64 v[0:1], s[16:17], v[22:23], -v[0:1]
	v_fma_f64 v[2:3], s[18:19], v[22:23], v[2:3]
	s_cbranch_vccnz .LBB399_18
; %bb.17:
	flat_load_dwordx4 v[22:25], v[10:11]
	s_waitcnt vmcnt(0) lgkmcnt(0)
	v_mul_f64 v[28:29], s[14:15], v[24:25]
	v_mul_f64 v[24:25], s[12:13], v[24:25]
	v_fma_f64 v[28:29], s[12:13], v[22:23], -v[28:29]
	v_fma_f64 v[22:23], s[14:15], v[22:23], v[24:25]
	v_add_f64 v[0:1], v[0:1], v[28:29]
	v_add_f64 v[2:3], v[2:3], v[22:23]
.LBB399_18:
	flat_store_dwordx4 v[10:11], v[0:3]
.LBB399_19:
	s_or_b32 exec_lo, exec_lo, s1
	v_add_nc_u32_e32 v10, 16, v4
	v_cmp_le_i32_e32 vcc_lo, v10, v27
	v_ashrrev_i32_e32 v11, 31, v10
	s_and_b32 s0, s0, vcc_lo
	s_and_saveexec_b32 s1, s0
	s_cbranch_execz .LBB399_23
; %bb.20:
	v_mul_f64 v[0:1], s[18:19], v[20:21]
	v_mul_f64 v[2:3], s[16:17], v[20:21]
	v_cmp_ne_u32_e32 vcc_lo, 1, v26
	s_and_b32 vcc_lo, exec_lo, vcc_lo
	v_fma_f64 v[0:1], s[16:17], v[18:19], -v[0:1]
	v_fma_f64 v[2:3], s[18:19], v[18:19], v[2:3]
	v_lshlrev_b64 v[18:19], 4, v[10:11]
	v_add_co_u32 v12, s0, v12, v18
	v_add_co_ci_u32_e64 v13, null, v13, v19, s0
	s_cbranch_vccnz .LBB399_22
; %bb.21:
	flat_load_dwordx4 v[18:21], v[12:13]
	s_waitcnt vmcnt(0) lgkmcnt(0)
	v_mul_f64 v[22:23], s[14:15], v[20:21]
	v_mul_f64 v[20:21], s[12:13], v[20:21]
	v_fma_f64 v[22:23], s[12:13], v[18:19], -v[22:23]
	v_fma_f64 v[18:19], s[14:15], v[18:19], v[20:21]
	v_add_f64 v[0:1], v[0:1], v[22:23]
	v_add_f64 v[2:3], v[2:3], v[18:19]
.LBB399_22:
	flat_store_dwordx4 v[12:13], v[0:3]
.LBB399_23:
	s_or_b32 exec_lo, exec_lo, s1
	v_add_nc_u32_e32 v18, 16, v27
	v_mad_i64_i32 v[0:1], null, v18, s2, 0
	v_cmp_gt_i32_e64 s0, s10, v18
	v_cmp_le_i32_e32 vcc_lo, v4, v18
	v_lshlrev_b64 v[0:1], 4, v[0:1]
	v_add_co_u32 v12, s1, s3, v0
	v_add_co_ci_u32_e64 v13, null, s4, v1, s1
	s_and_b32 s1, s0, vcc_lo
	s_and_saveexec_b32 s2, s1
	s_cbranch_execz .LBB399_27
; %bb.24:
	v_mul_f64 v[0:1], s[18:19], v[16:17]
	v_mul_f64 v[2:3], s[16:17], v[16:17]
	v_lshlrev_b64 v[4:5], 4, v[4:5]
	v_cmp_ne_u32_e32 vcc_lo, 1, v26
	s_and_b32 vcc_lo, exec_lo, vcc_lo
	v_add_co_u32 v4, s1, v12, v4
	v_add_co_ci_u32_e64 v5, null, v13, v5, s1
	v_fma_f64 v[0:1], s[16:17], v[14:15], -v[0:1]
	v_fma_f64 v[2:3], s[18:19], v[14:15], v[2:3]
	s_cbranch_vccnz .LBB399_26
; %bb.25:
	flat_load_dwordx4 v[14:17], v[4:5]
	s_waitcnt vmcnt(0) lgkmcnt(0)
	v_mul_f64 v[19:20], s[14:15], v[16:17]
	v_mul_f64 v[16:17], s[12:13], v[16:17]
	v_fma_f64 v[19:20], s[12:13], v[14:15], -v[19:20]
	v_fma_f64 v[14:15], s[14:15], v[14:15], v[16:17]
	v_add_f64 v[0:1], v[0:1], v[19:20]
	v_add_f64 v[2:3], v[2:3], v[14:15]
.LBB399_26:
	flat_store_dwordx4 v[4:5], v[0:3]
.LBB399_27:
	s_or_b32 exec_lo, exec_lo, s2
	v_cmp_le_i32_e32 vcc_lo, v10, v18
	s_and_b32 s0, s0, vcc_lo
	s_and_saveexec_b32 s1, s0
	s_cbranch_execz .LBB399_32
; %bb.28:
	v_mul_f64 v[0:1], s[18:19], v[6:7]
	v_mul_f64 v[2:3], s[16:17], v[6:7]
	v_lshlrev_b64 v[4:5], 4, v[10:11]
	v_cmp_ne_u32_e32 vcc_lo, 1, v26
	s_and_b32 vcc_lo, exec_lo, vcc_lo
	v_add_co_u32 v4, s0, v12, v4
	v_add_co_ci_u32_e64 v5, null, v13, v5, s0
	v_fma_f64 v[0:1], s[16:17], v[8:9], -v[0:1]
	v_fma_f64 v[2:3], s[18:19], v[8:9], v[2:3]
	s_cbranch_vccnz .LBB399_30
; %bb.29:
	flat_load_dwordx4 v[6:9], v[4:5]
	s_waitcnt vmcnt(0) lgkmcnt(0)
	v_mul_f64 v[10:11], s[14:15], v[8:9]
	v_mul_f64 v[8:9], s[12:13], v[8:9]
	v_fma_f64 v[10:11], s[12:13], v[6:7], -v[10:11]
	v_fma_f64 v[6:7], s[14:15], v[6:7], v[8:9]
	v_add_f64 v[0:1], v[0:1], v[10:11]
	v_add_f64 v[2:3], v[2:3], v[6:7]
.LBB399_30:
	flat_store_dwordx4 v[4:5], v[0:3]
	s_endpgm
.LBB399_31:
.LBB399_32:
	s_endpgm
	.section	.rodata,"a",@progbits
	.p2align	6, 0x0
	.amdhsa_kernel _ZL29rocblas_internal_gemmt_kernelIiLi16ELi32ELi8ELc84ELc78ELc85ELb0ELb0E19rocblas_complex_numIdEPKS1_PKS3_PKPS1_EviT_T9_T10_S9_lSB_S9_lSA_T11_S9_li
		.amdhsa_group_segment_fixed_size 8192
		.amdhsa_private_segment_fixed_size 0
		.amdhsa_kernarg_size 100
		.amdhsa_user_sgpr_count 6
		.amdhsa_user_sgpr_private_segment_buffer 1
		.amdhsa_user_sgpr_dispatch_ptr 0
		.amdhsa_user_sgpr_queue_ptr 0
		.amdhsa_user_sgpr_kernarg_segment_ptr 1
		.amdhsa_user_sgpr_dispatch_id 0
		.amdhsa_user_sgpr_flat_scratch_init 0
		.amdhsa_user_sgpr_private_segment_size 0
		.amdhsa_wavefront_size32 1
		.amdhsa_uses_dynamic_stack 0
		.amdhsa_system_sgpr_private_segment_wavefront_offset 0
		.amdhsa_system_sgpr_workgroup_id_x 1
		.amdhsa_system_sgpr_workgroup_id_y 1
		.amdhsa_system_sgpr_workgroup_id_z 1
		.amdhsa_system_sgpr_workgroup_info 0
		.amdhsa_system_vgpr_workitem_id 1
		.amdhsa_next_free_vgpr 128
		.amdhsa_next_free_sgpr 31
		.amdhsa_reserve_vcc 1
		.amdhsa_reserve_flat_scratch 0
		.amdhsa_float_round_mode_32 0
		.amdhsa_float_round_mode_16_64 0
		.amdhsa_float_denorm_mode_32 3
		.amdhsa_float_denorm_mode_16_64 3
		.amdhsa_dx10_clamp 1
		.amdhsa_ieee_mode 1
		.amdhsa_fp16_overflow 0
		.amdhsa_workgroup_processor_mode 1
		.amdhsa_memory_ordered 1
		.amdhsa_forward_progress 1
		.amdhsa_shared_vgpr_count 0
		.amdhsa_exception_fp_ieee_invalid_op 0
		.amdhsa_exception_fp_denorm_src 0
		.amdhsa_exception_fp_ieee_div_zero 0
		.amdhsa_exception_fp_ieee_overflow 0
		.amdhsa_exception_fp_ieee_underflow 0
		.amdhsa_exception_fp_ieee_inexact 0
		.amdhsa_exception_int_div_zero 0
	.end_amdhsa_kernel
	.section	.text._ZL29rocblas_internal_gemmt_kernelIiLi16ELi32ELi8ELc84ELc78ELc85ELb0ELb0E19rocblas_complex_numIdEPKS1_PKS3_PKPS1_EviT_T9_T10_S9_lSB_S9_lSA_T11_S9_li,"axG",@progbits,_ZL29rocblas_internal_gemmt_kernelIiLi16ELi32ELi8ELc84ELc78ELc85ELb0ELb0E19rocblas_complex_numIdEPKS1_PKS3_PKPS1_EviT_T9_T10_S9_lSB_S9_lSA_T11_S9_li,comdat
.Lfunc_end399:
	.size	_ZL29rocblas_internal_gemmt_kernelIiLi16ELi32ELi8ELc84ELc78ELc85ELb0ELb0E19rocblas_complex_numIdEPKS1_PKS3_PKPS1_EviT_T9_T10_S9_lSB_S9_lSA_T11_S9_li, .Lfunc_end399-_ZL29rocblas_internal_gemmt_kernelIiLi16ELi32ELi8ELc84ELc78ELc85ELb0ELb0E19rocblas_complex_numIdEPKS1_PKS3_PKPS1_EviT_T9_T10_S9_lSB_S9_lSA_T11_S9_li
                                        ; -- End function
	.set _ZL29rocblas_internal_gemmt_kernelIiLi16ELi32ELi8ELc84ELc78ELc85ELb0ELb0E19rocblas_complex_numIdEPKS1_PKS3_PKPS1_EviT_T9_T10_S9_lSB_S9_lSA_T11_S9_li.num_vgpr, 128
	.set _ZL29rocblas_internal_gemmt_kernelIiLi16ELi32ELi8ELc84ELc78ELc85ELb0ELb0E19rocblas_complex_numIdEPKS1_PKS3_PKPS1_EviT_T9_T10_S9_lSB_S9_lSA_T11_S9_li.num_agpr, 0
	.set _ZL29rocblas_internal_gemmt_kernelIiLi16ELi32ELi8ELc84ELc78ELc85ELb0ELb0E19rocblas_complex_numIdEPKS1_PKS3_PKPS1_EviT_T9_T10_S9_lSB_S9_lSA_T11_S9_li.numbered_sgpr, 31
	.set _ZL29rocblas_internal_gemmt_kernelIiLi16ELi32ELi8ELc84ELc78ELc85ELb0ELb0E19rocblas_complex_numIdEPKS1_PKS3_PKPS1_EviT_T9_T10_S9_lSB_S9_lSA_T11_S9_li.num_named_barrier, 0
	.set _ZL29rocblas_internal_gemmt_kernelIiLi16ELi32ELi8ELc84ELc78ELc85ELb0ELb0E19rocblas_complex_numIdEPKS1_PKS3_PKPS1_EviT_T9_T10_S9_lSB_S9_lSA_T11_S9_li.private_seg_size, 0
	.set _ZL29rocblas_internal_gemmt_kernelIiLi16ELi32ELi8ELc84ELc78ELc85ELb0ELb0E19rocblas_complex_numIdEPKS1_PKS3_PKPS1_EviT_T9_T10_S9_lSB_S9_lSA_T11_S9_li.uses_vcc, 1
	.set _ZL29rocblas_internal_gemmt_kernelIiLi16ELi32ELi8ELc84ELc78ELc85ELb0ELb0E19rocblas_complex_numIdEPKS1_PKS3_PKPS1_EviT_T9_T10_S9_lSB_S9_lSA_T11_S9_li.uses_flat_scratch, 0
	.set _ZL29rocblas_internal_gemmt_kernelIiLi16ELi32ELi8ELc84ELc78ELc85ELb0ELb0E19rocblas_complex_numIdEPKS1_PKS3_PKPS1_EviT_T9_T10_S9_lSB_S9_lSA_T11_S9_li.has_dyn_sized_stack, 0
	.set _ZL29rocblas_internal_gemmt_kernelIiLi16ELi32ELi8ELc84ELc78ELc85ELb0ELb0E19rocblas_complex_numIdEPKS1_PKS3_PKPS1_EviT_T9_T10_S9_lSB_S9_lSA_T11_S9_li.has_recursion, 0
	.set _ZL29rocblas_internal_gemmt_kernelIiLi16ELi32ELi8ELc84ELc78ELc85ELb0ELb0E19rocblas_complex_numIdEPKS1_PKS3_PKPS1_EviT_T9_T10_S9_lSB_S9_lSA_T11_S9_li.has_indirect_call, 0
	.section	.AMDGPU.csdata,"",@progbits
; Kernel info:
; codeLenInByte = 3540
; TotalNumSgprs: 33
; NumVgprs: 128
; ScratchSize: 0
; MemoryBound: 0
; FloatMode: 240
; IeeeMode: 1
; LDSByteSize: 8192 bytes/workgroup (compile time only)
; SGPRBlocks: 0
; VGPRBlocks: 15
; NumSGPRsForWavesPerEU: 33
; NumVGPRsForWavesPerEU: 128
; Occupancy: 8
; WaveLimiterHint : 1
; COMPUTE_PGM_RSRC2:SCRATCH_EN: 0
; COMPUTE_PGM_RSRC2:USER_SGPR: 6
; COMPUTE_PGM_RSRC2:TRAP_HANDLER: 0
; COMPUTE_PGM_RSRC2:TGID_X_EN: 1
; COMPUTE_PGM_RSRC2:TGID_Y_EN: 1
; COMPUTE_PGM_RSRC2:TGID_Z_EN: 1
; COMPUTE_PGM_RSRC2:TIDIG_COMP_CNT: 1
	.section	.text._ZL29rocblas_internal_gemmt_kernelIiLi16ELi32ELi8ELc84ELc84ELc85ELb0ELb0E19rocblas_complex_numIdEPKS1_PKS3_PKPS1_EviT_T9_T10_S9_lSB_S9_lSA_T11_S9_li,"axG",@progbits,_ZL29rocblas_internal_gemmt_kernelIiLi16ELi32ELi8ELc84ELc84ELc85ELb0ELb0E19rocblas_complex_numIdEPKS1_PKS3_PKPS1_EviT_T9_T10_S9_lSB_S9_lSA_T11_S9_li,comdat
	.globl	_ZL29rocblas_internal_gemmt_kernelIiLi16ELi32ELi8ELc84ELc84ELc85ELb0ELb0E19rocblas_complex_numIdEPKS1_PKS3_PKPS1_EviT_T9_T10_S9_lSB_S9_lSA_T11_S9_li ; -- Begin function _ZL29rocblas_internal_gemmt_kernelIiLi16ELi32ELi8ELc84ELc84ELc85ELb0ELb0E19rocblas_complex_numIdEPKS1_PKS3_PKPS1_EviT_T9_T10_S9_lSB_S9_lSA_T11_S9_li
	.p2align	8
	.type	_ZL29rocblas_internal_gemmt_kernelIiLi16ELi32ELi8ELc84ELc84ELc85ELb0ELb0E19rocblas_complex_numIdEPKS1_PKS3_PKPS1_EviT_T9_T10_S9_lSB_S9_lSA_T11_S9_li,@function
_ZL29rocblas_internal_gemmt_kernelIiLi16ELi32ELi8ELc84ELc84ELc85ELb0ELb0E19rocblas_complex_numIdEPKS1_PKS3_PKPS1_EviT_T9_T10_S9_lSB_S9_lSA_T11_S9_li: ; @_ZL29rocblas_internal_gemmt_kernelIiLi16ELi32ELi8ELc84ELc84ELc85ELb0ELb0E19rocblas_complex_numIdEPKS1_PKS3_PKPS1_EviT_T9_T10_S9_lSB_S9_lSA_T11_S9_li
; %bb.0:
	s_load_dwordx4 s[20:23], s[4:5], 0x38
	s_waitcnt lgkmcnt(0)
	s_load_dwordx4 s[12:15], s[22:23], 0x0
	s_clause 0x1
	s_load_dwordx4 s[0:3], s[4:5], 0x8
	s_load_dwordx2 s[10:11], s[4:5], 0x0
	s_waitcnt lgkmcnt(0)
	s_load_dwordx4 s[16:19], s[0:1], 0x0
	v_cmp_eq_f64_e64 s9, s[12:13], 1.0
	v_cmp_eq_f64_e64 s28, s[14:15], 0
	s_and_b32 s0, s9, s28
	s_andn2_b32 vcc_lo, exec_lo, s0
	s_mov_b32 s0, -1
	s_cbranch_vccnz .LBB400_3
; %bb.1:
	s_cmp_lg_u32 s11, 0
	s_cbranch_scc0 .LBB400_31
; %bb.2:
	s_waitcnt lgkmcnt(0)
	v_cmp_neq_f64_e64 s0, s[16:17], 0
	v_cmp_neq_f64_e64 s1, s[18:19], 0
	s_or_b32 s0, s0, s1
.LBB400_3:
	s_and_b32 vcc_lo, exec_lo, s0
	s_cbranch_vccz .LBB400_32
; %bb.4:
	s_load_dwordx2 s[22:23], s[4:5], 0x48
	s_waitcnt lgkmcnt(0)
	v_cmp_eq_f64_e64 s24, s[16:17], 0
	v_cmp_eq_f64_e64 s25, s[18:19], 0
	s_mov_b32 s9, 0
	v_mov_b32_e32 v22, 0
	s_lshl_b64 s[0:1], s[8:9], 3
	v_mov_b32_e32 v24, 0
	v_mov_b32_e32 v18, 0
	;; [unrolled: 1-line block ×14, first 2 shown]
	s_add_u32 s22, s22, s0
	s_addc_u32 s23, s23, s1
	s_lshl_b32 s8, s6, 5
	s_load_dwordx2 s[22:23], s[22:23], 0x0
	s_lshl_b32 s29, s7, 5
	s_and_b32 s6, s24, s25
	s_cmp_lt_i32 s11, 1
	v_mov_b32_e32 v7, 0
	s_cselect_b32 s7, -1, 0
	s_or_b32 s6, s6, s7
	s_and_b32 vcc_lo, exec_lo, s6
	s_cbranch_vccnz .LBB400_15
; %bb.5:
	s_clause 0x2
	s_load_dword s6, s[4:5], 0x30
	s_load_dword s30, s[4:5], 0x18
	s_load_dwordx4 s[24:27], s[4:5], 0x20
	v_lshl_add_u32 v2, v1, 4, v0
	v_and_b32_e32 v26, 7, v0
	v_mov_b32_e32 v16, 0
	v_mov_b32_e32 v14, 0
	;; [unrolled: 1-line block ×3, first 2 shown]
	v_and_b32_e32 v3, 31, v2
	v_lshrrev_b32_e32 v4, 3, v2
	v_lshlrev_b32_e32 v5, 4, v26
	v_lshrrev_b32_e32 v27, 5, v2
	v_mov_b32_e32 v18, 0
	v_or_b32_e32 v6, s8, v3
	v_lshlrev_b32_e32 v7, 4, v3
	v_add_nc_u32_e32 v3, s8, v3
	v_add_nc_u32_e32 v2, s29, v4
	v_lshl_or_b32 v8, v4, 7, v5
	v_cmp_gt_i32_e32 vcc_lo, s10, v6
	v_lshl_or_b32 v28, v27, 9, v7
	s_waitcnt lgkmcnt(0)
	s_ashr_i32 s7, s6, 31
	v_mad_i64_i32 v[4:5], null, s30, v3, 0
	s_add_u32 s26, s26, s0
	s_addc_u32 s27, s27, s1
	v_mad_i64_i32 v[6:7], null, s6, v26, 0
	s_add_u32 s0, s2, s0
	s_addc_u32 s1, s3, s1
	s_load_dwordx2 s[2:3], s[26:27], 0x0
	s_load_dwordx2 s[26:27], s[0:1], 0x0
	v_lshlrev_b64 v[4:5], 4, v[4:5]
	v_ashrrev_i32_e32 v3, 31, v2
	s_lshl_b64 s[24:25], s[24:25], 4
	v_lshlrev_b64 v[6:7], 4, v[6:7]
	v_add_nc_u32_e32 v29, 0x1000, v8
	v_lshlrev_b32_e32 v8, 4, v27
	v_add_co_u32 v4, s1, v4, s24
	s_lshl_b64 s[20:21], s[20:21], 4
	v_cmp_gt_i32_e64 s0, s10, v2
	v_lshlrev_b64 v[2:3], 4, v[2:3]
	v_add_co_ci_u32_e64 v5, null, s25, v5, s1
	v_add_co_u32 v6, s1, v6, s20
	v_add_co_ci_u32_e64 v7, null, s21, v7, s1
	v_add_co_u32 v4, s1, v4, v8
	;; [unrolled: 2-line block ×3, first 2 shown]
	v_add_co_ci_u32_e64 v3, null, v7, v3, s1
	s_waitcnt lgkmcnt(0)
	v_add_co_u32 v10, s1, s26, v4
	v_add_co_ci_u32_e64 v11, null, s27, v5, s1
	v_add_co_u32 v12, s1, s2, v2
	v_mov_b32_e32 v6, 0
	v_mov_b32_e32 v8, 0
	v_mov_b32_e32 v24, 0
	v_mov_b32_e32 v22, 0
	v_lshlrev_b32_e32 v30, 4, v0
	v_lshl_add_u32 v31, v1, 7, 0x1000
	v_add_co_ci_u32_e64 v13, null, s3, v3, s1
	v_mov_b32_e32 v7, 0
	v_mov_b32_e32 v9, 0
	;; [unrolled: 1-line block ×9, first 2 shown]
	s_lshl_b64 s[2:3], s[6:7], 7
	s_xor_b32 s1, vcc_lo, -1
	s_xor_b32 s0, s0, -1
	s_branch .LBB400_7
.LBB400_6:                              ;   in Loop: Header=BB400_7 Depth=1
	s_or_b32 exec_lo, exec_lo, s6
	s_waitcnt lgkmcnt(0)
	s_barrier
	buffer_gl0_inv
	ds_read_b128 v[32:35], v31
	ds_read_b128 v[36:39], v30
	ds_read_b128 v[40:43], v30 offset:256
	ds_read_b128 v[44:47], v31 offset:2048
	;; [unrolled: 1-line block ×12, first 2 shown]
	v_add_co_u32 v10, vcc_lo, 0x80, v10
	v_add_co_ci_u32_e64 v11, null, 0, v11, vcc_lo
	v_add_co_u32 v12, vcc_lo, v12, s2
	v_add_co_ci_u32_e64 v13, null, s3, v13, vcc_lo
	s_waitcnt lgkmcnt(12)
	v_mul_f64 v[3:4], v[34:35], v[38:39]
	v_mul_f64 v[88:89], v[32:33], v[38:39]
	s_waitcnt lgkmcnt(11)
	v_mul_f64 v[90:91], v[34:35], v[42:43]
	v_mul_f64 v[92:93], v[32:33], v[42:43]
	;; [unrolled: 3-line block ×3, first 2 shown]
	v_mul_f64 v[96:97], v[46:47], v[42:43]
	v_mul_f64 v[42:43], v[44:45], v[42:43]
	s_waitcnt lgkmcnt(8)
	v_mul_f64 v[98:99], v[50:51], v[54:55]
	v_mul_f64 v[100:101], v[48:49], v[54:55]
	s_waitcnt lgkmcnt(7)
	;; [unrolled: 3-line block ×3, first 2 shown]
	v_mul_f64 v[106:107], v[62:63], v[54:55]
	v_mul_f64 v[54:55], v[60:61], v[54:55]
	;; [unrolled: 1-line block ×4, first 2 shown]
	s_waitcnt lgkmcnt(4)
	v_mul_f64 v[110:111], v[66:67], v[70:71]
	v_mul_f64 v[112:113], v[64:65], v[70:71]
	s_waitcnt lgkmcnt(3)
	v_mul_f64 v[114:115], v[66:67], v[74:75]
	v_mul_f64 v[116:117], v[64:65], v[74:75]
	;; [unrolled: 3-line block ×3, first 2 shown]
	v_fma_f64 v[3:4], v[32:33], v[36:37], -v[3:4]
	v_fma_f64 v[88:89], v[34:35], v[36:37], v[88:89]
	v_fma_f64 v[90:91], v[32:33], v[40:41], -v[90:91]
	v_fma_f64 v[92:93], v[34:35], v[40:41], v[92:93]
	;; [unrolled: 2-line block ×4, first 2 shown]
	v_mul_f64 v[124:125], v[78:79], v[74:75]
	v_mul_f64 v[74:75], v[76:77], v[74:75]
	ds_read_b128 v[32:35], v30 offset:1536
	ds_read_b128 v[36:39], v30 offset:1792
	v_fma_f64 v[98:99], v[48:49], v[52:53], -v[98:99]
	v_fma_f64 v[100:101], v[50:51], v[52:53], v[100:101]
	v_fma_f64 v[102:103], v[48:49], v[56:57], -v[102:103]
	v_fma_f64 v[104:105], v[50:51], v[56:57], v[104:105]
	;; [unrolled: 2-line block ×7, first 2 shown]
	v_add_f64 v[22:23], v[22:23], v[3:4]
	v_add_f64 v[24:25], v[88:89], v[24:25]
	;; [unrolled: 1-line block ×4, first 2 shown]
	s_waitcnt lgkmcnt(1)
	v_mul_f64 v[110:111], v[82:83], v[34:35]
	v_mul_f64 v[112:113], v[80:81], v[34:35]
	s_waitcnt lgkmcnt(0)
	v_mul_f64 v[70:71], v[82:83], v[38:39]
	v_fma_f64 v[76:77], v[76:77], v[72:73], -v[124:125]
	v_fma_f64 v[72:73], v[78:79], v[72:73], v[74:75]
	v_add_f64 v[74:75], v[14:15], v[94:95]
	v_add_f64 v[78:79], v[120:121], v[16:17]
	;; [unrolled: 1-line block ×4, first 2 shown]
	ds_read_b128 v[40:43], v31 offset:64
	ds_read_b128 v[44:47], v30 offset:2048
	;; [unrolled: 1-line block ×3, first 2 shown]
	v_mul_f64 v[114:115], v[80:81], v[38:39]
	v_mul_f64 v[116:117], v[86:87], v[34:35]
	;; [unrolled: 1-line block ×5, first 2 shown]
	ds_read_b128 v[52:55], v31 offset:2112
	ds_read_b128 v[14:17], v31 offset:2128
	v_add_f64 v[98:99], v[22:23], v[98:99]
	v_add_f64 v[100:101], v[100:101], v[24:25]
	;; [unrolled: 1-line block ×4, first 2 shown]
	v_fma_f64 v[92:93], v[80:81], v[32:33], -v[110:111]
	v_fma_f64 v[94:95], v[82:83], v[32:33], v[112:113]
	v_fma_f64 v[70:71], v[80:81], v[36:37], -v[70:71]
	ds_read_b128 v[18:21], v30 offset:2560
	ds_read_b128 v[3:6], v31 offset:80
	;; [unrolled: 1-line block ×3, first 2 shown]
	v_add_f64 v[74:75], v[74:75], v[106:107]
	s_waitcnt lgkmcnt(6)
	v_mul_f64 v[80:81], v[42:43], v[46:47]
	v_mul_f64 v[96:97], v[40:41], v[46:47]
	s_waitcnt lgkmcnt(5)
	v_mul_f64 v[110:111], v[42:43], v[50:51]
	v_mul_f64 v[112:113], v[40:41], v[50:51]
	v_add_f64 v[78:79], v[126:127], v[78:79]
	v_add_f64 v[7:8], v[8:9], v[60:61]
	;; [unrolled: 1-line block ×3, first 2 shown]
	v_fma_f64 v[82:83], v[82:83], v[36:37], v[114:115]
	s_waitcnt lgkmcnt(4)
	v_mul_f64 v[114:115], v[54:55], v[46:47]
	v_mul_f64 v[46:47], v[52:53], v[46:47]
	v_fma_f64 v[60:61], v[84:85], v[32:33], -v[116:117]
	v_fma_f64 v[88:89], v[86:87], v[32:33], v[34:35]
	v_fma_f64 v[84:85], v[84:85], v[36:37], -v[90:91]
	v_fma_f64 v[86:87], v[86:87], v[36:37], v[38:39]
	v_add_f64 v[58:59], v[98:99], v[58:59]
	v_add_f64 v[62:63], v[62:63], v[100:101]
	;; [unrolled: 1-line block ×4, first 2 shown]
	s_waitcnt lgkmcnt(0)
	v_mul_f64 v[98:99], v[3:4], v[24:25]
	v_mul_f64 v[100:101], v[16:17], v[20:21]
	;; [unrolled: 1-line block ×3, first 2 shown]
	v_add_f64 v[74:75], v[74:75], v[108:109]
	v_fma_f64 v[80:81], v[40:41], v[44:45], -v[80:81]
	v_fma_f64 v[90:91], v[42:43], v[44:45], v[96:97]
	v_fma_f64 v[96:97], v[40:41], v[48:49], -v[110:111]
	v_fma_f64 v[106:107], v[42:43], v[48:49], v[112:113]
	v_mul_f64 v[40:41], v[54:55], v[50:51]
	v_mul_f64 v[42:43], v[52:53], v[50:51]
	v_add_f64 v[68:69], v[68:69], v[78:79]
	v_add_f64 v[7:8], v[7:8], v[76:77]
	;; [unrolled: 1-line block ×3, first 2 shown]
	v_fma_f64 v[50:51], v[52:53], v[44:45], -v[114:115]
	v_fma_f64 v[110:111], v[54:55], v[44:45], v[46:47]
	v_mul_f64 v[72:73], v[5:6], v[20:21]
	v_mul_f64 v[76:77], v[3:4], v[20:21]
	;; [unrolled: 1-line block ×5, first 2 shown]
	ds_read_b128 v[32:35], v31 offset:96
	ds_read_b128 v[36:39], v30 offset:3072
	s_add_i32 s9, s9, 8
	s_cmp_lt_i32 s9, s11
	v_add_f64 v[60:61], v[74:75], v[60:61]
	v_fma_f64 v[74:75], v[5:6], v[22:23], v[98:99]
	v_fma_f64 v[52:53], v[52:53], v[48:49], -v[40:41]
	v_fma_f64 v[48:49], v[54:55], v[48:49], v[42:43]
	v_add_f64 v[54:55], v[58:59], v[92:93]
	v_add_f64 v[58:59], v[94:95], v[62:63]
	;; [unrolled: 1-line block ×7, first 2 shown]
	ds_read_b128 v[40:43], v30 offset:3328
	ds_read_b128 v[44:47], v31 offset:2144
	v_fma_f64 v[68:69], v[3:4], v[18:19], -v[72:73]
	v_fma_f64 v[70:71], v[5:6], v[18:19], v[76:77]
	v_fma_f64 v[72:73], v[3:4], v[22:23], -v[78:79]
	v_fma_f64 v[76:77], v[14:15], v[18:19], -v[100:101]
	v_fma_f64 v[78:79], v[16:17], v[18:19], v[20:21]
	v_fma_f64 v[82:83], v[14:15], v[22:23], -v[102:103]
	s_waitcnt lgkmcnt(2)
	v_mul_f64 v[84:85], v[34:35], v[38:39]
	v_fma_f64 v[86:87], v[16:17], v[22:23], v[24:25]
	v_mul_f64 v[88:89], v[32:33], v[38:39]
	v_add_f64 v[50:51], v[60:61], v[50:51]
	ds_read_b128 v[3:6], v31 offset:112
	ds_read_b128 v[14:17], v31 offset:2160
	ds_read_b128 v[18:21], v30 offset:3584
	ds_read_b128 v[22:25], v30 offset:3840
	s_waitcnt lgkmcnt(0)
	v_add_f64 v[54:55], v[54:55], v[80:81]
	v_add_f64 v[58:59], v[90:91], v[58:59]
	v_add_f64 v[62:63], v[62:63], v[96:97]
	v_add_f64 v[64:65], v[106:107], v[64:65]
	v_mul_f64 v[92:93], v[34:35], v[42:43]
	v_mul_f64 v[94:95], v[32:33], v[42:43]
	;; [unrolled: 1-line block ×4, first 2 shown]
	v_add_f64 v[60:61], v[110:111], v[66:67]
	v_add_f64 v[7:8], v[7:8], v[52:53]
	;; [unrolled: 1-line block ×3, first 2 shown]
	v_mul_f64 v[52:53], v[46:47], v[42:43]
	v_mul_f64 v[42:43], v[44:45], v[42:43]
	s_barrier
	v_fma_f64 v[56:57], v[32:33], v[36:37], -v[84:85]
	buffer_gl0_inv
	v_fma_f64 v[66:67], v[34:35], v[36:37], v[88:89]
	v_add_f64 v[50:51], v[50:51], v[76:77]
	v_fma_f64 v[32:33], v[32:33], v[40:41], -v[92:93]
	v_fma_f64 v[34:35], v[34:35], v[40:41], v[94:95]
	v_fma_f64 v[80:81], v[44:45], v[36:37], -v[98:99]
	v_fma_f64 v[36:37], v[46:47], v[36:37], v[38:39]
	v_add_f64 v[38:39], v[54:55], v[68:69]
	v_add_f64 v[54:55], v[70:71], v[58:59]
	;; [unrolled: 1-line block ×7, first 2 shown]
	v_fma_f64 v[44:45], v[44:45], v[40:41], -v[52:53]
	v_fma_f64 v[40:41], v[46:47], v[40:41], v[42:43]
	v_mul_f64 v[42:43], v[5:6], v[20:21]
	v_mul_f64 v[46:47], v[3:4], v[20:21]
	;; [unrolled: 1-line block ×8, first 2 shown]
	v_add_f64 v[50:51], v[50:51], v[80:81]
	v_add_f64 v[38:39], v[38:39], v[56:57]
	;; [unrolled: 1-line block ×8, first 2 shown]
	v_fma_f64 v[42:43], v[3:4], v[18:19], -v[42:43]
	v_fma_f64 v[44:45], v[5:6], v[18:19], v[46:47]
	v_fma_f64 v[3:4], v[3:4], v[22:23], -v[52:53]
	v_fma_f64 v[5:6], v[5:6], v[22:23], v[64:65]
	;; [unrolled: 2-line block ×4, first 2 shown]
	v_add_f64 v[22:23], v[38:39], v[42:43]
	v_add_f64 v[24:25], v[44:45], v[54:55]
	;; [unrolled: 1-line block ×8, first 2 shown]
	s_cbranch_scc0 .LBB400_15
.LBB400_7:                              ; =>This Inner Loop Header: Depth=1
	v_add_nc_u32_e32 v3, s9, v27
	v_cmp_le_i32_e32 vcc_lo, s11, v3
	s_or_b32 s6, s1, vcc_lo
	s_and_saveexec_b32 s7, s6
	s_xor_b32 s6, exec_lo, s7
	s_cbranch_execz .LBB400_9
; %bb.8:                                ;   in Loop: Header=BB400_7 Depth=1
	v_mov_b32_e32 v3, v2
	v_mov_b32_e32 v4, v2
	;; [unrolled: 1-line block ×3, first 2 shown]
	ds_write_b128 v28, v[2:5]
.LBB400_9:                              ;   in Loop: Header=BB400_7 Depth=1
	s_andn2_saveexec_b32 s6, s6
	s_cbranch_execz .LBB400_11
; %bb.10:                               ;   in Loop: Header=BB400_7 Depth=1
	flat_load_dwordx4 v[32:35], v[10:11]
	s_waitcnt vmcnt(0) lgkmcnt(0)
	ds_write2_b64 v28, v[32:33], v[34:35] offset1:1
.LBB400_11:                             ;   in Loop: Header=BB400_7 Depth=1
	s_or_b32 exec_lo, exec_lo, s6
	v_add_nc_u32_e32 v3, s9, v26
	v_cmp_le_i32_e32 vcc_lo, s11, v3
	s_or_b32 s6, vcc_lo, s0
	s_and_saveexec_b32 s7, s6
	s_xor_b32 s6, exec_lo, s7
	s_cbranch_execz .LBB400_13
; %bb.12:                               ;   in Loop: Header=BB400_7 Depth=1
	v_mov_b32_e32 v3, v2
	v_mov_b32_e32 v4, v2
	;; [unrolled: 1-line block ×3, first 2 shown]
	ds_write_b128 v29, v[2:5]
.LBB400_13:                             ;   in Loop: Header=BB400_7 Depth=1
	s_andn2_saveexec_b32 s6, s6
	s_cbranch_execz .LBB400_6
; %bb.14:                               ;   in Loop: Header=BB400_7 Depth=1
	flat_load_dwordx4 v[32:35], v[12:13]
	s_waitcnt vmcnt(0) lgkmcnt(0)
	ds_write2_b64 v29, v[32:33], v[34:35] offset1:1
	s_branch .LBB400_6
.LBB400_15:
	s_clause 0x1
	s_load_dword s2, s[4:5], 0x50
	s_load_dwordx2 s[4:5], s[4:5], 0x58
	v_cmp_neq_f64_e64 s6, s[12:13], 0
	v_add_nc_u32_e32 v27, s29, v1
	v_add_nc_u32_e32 v4, s8, v0
	v_cmp_gt_i32_e64 s0, s10, v27
	v_cmp_le_i32_e32 vcc_lo, v4, v27
	v_ashrrev_i32_e32 v5, 31, v4
	s_waitcnt lgkmcnt(0)
	v_mad_i64_i32 v[1:2], null, v27, s2, 0
	s_lshl_b64 s[4:5], s[4:5], 4
	s_add_u32 s3, s22, s4
	s_addc_u32 s4, s23, s5
	s_xor_b32 s5, s28, -1
	s_or_b32 s5, s6, s5
	v_lshlrev_b64 v[0:1], 4, v[1:2]
	v_cndmask_b32_e64 v26, 0, 1, s5
	s_and_b32 s6, s0, vcc_lo
	v_add_co_u32 v12, s1, s3, v0
	v_add_co_ci_u32_e64 v13, null, s4, v1, s1
	s_and_saveexec_b32 s1, s6
	s_cbranch_execz .LBB400_19
; %bb.16:
	v_mul_f64 v[0:1], s[18:19], v[24:25]
	v_mul_f64 v[2:3], s[16:17], v[24:25]
	v_lshlrev_b64 v[10:11], 4, v[4:5]
	v_add_co_u32 v10, vcc_lo, v12, v10
	v_add_co_ci_u32_e64 v11, null, v13, v11, vcc_lo
	s_andn2_b32 vcc_lo, exec_lo, s5
	v_fma_f64 v[0:1], s[16:17], v[22:23], -v[0:1]
	v_fma_f64 v[2:3], s[18:19], v[22:23], v[2:3]
	s_cbranch_vccnz .LBB400_18
; %bb.17:
	flat_load_dwordx4 v[22:25], v[10:11]
	s_waitcnt vmcnt(0) lgkmcnt(0)
	v_mul_f64 v[28:29], s[14:15], v[24:25]
	v_mul_f64 v[24:25], s[12:13], v[24:25]
	v_fma_f64 v[28:29], s[12:13], v[22:23], -v[28:29]
	v_fma_f64 v[22:23], s[14:15], v[22:23], v[24:25]
	v_add_f64 v[0:1], v[0:1], v[28:29]
	v_add_f64 v[2:3], v[2:3], v[22:23]
.LBB400_18:
	flat_store_dwordx4 v[10:11], v[0:3]
.LBB400_19:
	s_or_b32 exec_lo, exec_lo, s1
	v_add_nc_u32_e32 v10, 16, v4
	v_cmp_le_i32_e32 vcc_lo, v10, v27
	v_ashrrev_i32_e32 v11, 31, v10
	s_and_b32 s0, s0, vcc_lo
	s_and_saveexec_b32 s1, s0
	s_cbranch_execz .LBB400_23
; %bb.20:
	v_mul_f64 v[0:1], s[18:19], v[20:21]
	v_mul_f64 v[2:3], s[16:17], v[20:21]
	v_cmp_ne_u32_e32 vcc_lo, 1, v26
	s_and_b32 vcc_lo, exec_lo, vcc_lo
	v_fma_f64 v[0:1], s[16:17], v[18:19], -v[0:1]
	v_fma_f64 v[2:3], s[18:19], v[18:19], v[2:3]
	v_lshlrev_b64 v[18:19], 4, v[10:11]
	v_add_co_u32 v12, s0, v12, v18
	v_add_co_ci_u32_e64 v13, null, v13, v19, s0
	s_cbranch_vccnz .LBB400_22
; %bb.21:
	flat_load_dwordx4 v[18:21], v[12:13]
	s_waitcnt vmcnt(0) lgkmcnt(0)
	v_mul_f64 v[22:23], s[14:15], v[20:21]
	v_mul_f64 v[20:21], s[12:13], v[20:21]
	v_fma_f64 v[22:23], s[12:13], v[18:19], -v[22:23]
	v_fma_f64 v[18:19], s[14:15], v[18:19], v[20:21]
	v_add_f64 v[0:1], v[0:1], v[22:23]
	v_add_f64 v[2:3], v[2:3], v[18:19]
.LBB400_22:
	flat_store_dwordx4 v[12:13], v[0:3]
.LBB400_23:
	s_or_b32 exec_lo, exec_lo, s1
	v_add_nc_u32_e32 v18, 16, v27
	v_mad_i64_i32 v[0:1], null, v18, s2, 0
	v_cmp_gt_i32_e64 s0, s10, v18
	v_cmp_le_i32_e32 vcc_lo, v4, v18
	v_lshlrev_b64 v[0:1], 4, v[0:1]
	v_add_co_u32 v12, s1, s3, v0
	v_add_co_ci_u32_e64 v13, null, s4, v1, s1
	s_and_b32 s1, s0, vcc_lo
	s_and_saveexec_b32 s2, s1
	s_cbranch_execz .LBB400_27
; %bb.24:
	v_mul_f64 v[0:1], s[18:19], v[16:17]
	v_mul_f64 v[2:3], s[16:17], v[16:17]
	v_lshlrev_b64 v[4:5], 4, v[4:5]
	v_cmp_ne_u32_e32 vcc_lo, 1, v26
	s_and_b32 vcc_lo, exec_lo, vcc_lo
	v_add_co_u32 v4, s1, v12, v4
	v_add_co_ci_u32_e64 v5, null, v13, v5, s1
	v_fma_f64 v[0:1], s[16:17], v[14:15], -v[0:1]
	v_fma_f64 v[2:3], s[18:19], v[14:15], v[2:3]
	s_cbranch_vccnz .LBB400_26
; %bb.25:
	flat_load_dwordx4 v[14:17], v[4:5]
	s_waitcnt vmcnt(0) lgkmcnt(0)
	v_mul_f64 v[19:20], s[14:15], v[16:17]
	v_mul_f64 v[16:17], s[12:13], v[16:17]
	v_fma_f64 v[19:20], s[12:13], v[14:15], -v[19:20]
	v_fma_f64 v[14:15], s[14:15], v[14:15], v[16:17]
	v_add_f64 v[0:1], v[0:1], v[19:20]
	v_add_f64 v[2:3], v[2:3], v[14:15]
.LBB400_26:
	flat_store_dwordx4 v[4:5], v[0:3]
.LBB400_27:
	s_or_b32 exec_lo, exec_lo, s2
	v_cmp_le_i32_e32 vcc_lo, v10, v18
	s_and_b32 s0, s0, vcc_lo
	s_and_saveexec_b32 s1, s0
	s_cbranch_execz .LBB400_32
; %bb.28:
	v_mul_f64 v[0:1], s[18:19], v[6:7]
	v_mul_f64 v[2:3], s[16:17], v[6:7]
	v_lshlrev_b64 v[4:5], 4, v[10:11]
	v_cmp_ne_u32_e32 vcc_lo, 1, v26
	s_and_b32 vcc_lo, exec_lo, vcc_lo
	v_add_co_u32 v4, s0, v12, v4
	v_add_co_ci_u32_e64 v5, null, v13, v5, s0
	v_fma_f64 v[0:1], s[16:17], v[8:9], -v[0:1]
	v_fma_f64 v[2:3], s[18:19], v[8:9], v[2:3]
	s_cbranch_vccnz .LBB400_30
; %bb.29:
	flat_load_dwordx4 v[6:9], v[4:5]
	s_waitcnt vmcnt(0) lgkmcnt(0)
	v_mul_f64 v[10:11], s[14:15], v[8:9]
	v_mul_f64 v[8:9], s[12:13], v[8:9]
	v_fma_f64 v[10:11], s[12:13], v[6:7], -v[10:11]
	v_fma_f64 v[6:7], s[14:15], v[6:7], v[8:9]
	v_add_f64 v[0:1], v[0:1], v[10:11]
	v_add_f64 v[2:3], v[2:3], v[6:7]
.LBB400_30:
	flat_store_dwordx4 v[4:5], v[0:3]
	s_endpgm
.LBB400_31:
.LBB400_32:
	s_endpgm
	.section	.rodata,"a",@progbits
	.p2align	6, 0x0
	.amdhsa_kernel _ZL29rocblas_internal_gemmt_kernelIiLi16ELi32ELi8ELc84ELc84ELc85ELb0ELb0E19rocblas_complex_numIdEPKS1_PKS3_PKPS1_EviT_T9_T10_S9_lSB_S9_lSA_T11_S9_li
		.amdhsa_group_segment_fixed_size 8192
		.amdhsa_private_segment_fixed_size 0
		.amdhsa_kernarg_size 100
		.amdhsa_user_sgpr_count 6
		.amdhsa_user_sgpr_private_segment_buffer 1
		.amdhsa_user_sgpr_dispatch_ptr 0
		.amdhsa_user_sgpr_queue_ptr 0
		.amdhsa_user_sgpr_kernarg_segment_ptr 1
		.amdhsa_user_sgpr_dispatch_id 0
		.amdhsa_user_sgpr_flat_scratch_init 0
		.amdhsa_user_sgpr_private_segment_size 0
		.amdhsa_wavefront_size32 1
		.amdhsa_uses_dynamic_stack 0
		.amdhsa_system_sgpr_private_segment_wavefront_offset 0
		.amdhsa_system_sgpr_workgroup_id_x 1
		.amdhsa_system_sgpr_workgroup_id_y 1
		.amdhsa_system_sgpr_workgroup_id_z 1
		.amdhsa_system_sgpr_workgroup_info 0
		.amdhsa_system_vgpr_workitem_id 1
		.amdhsa_next_free_vgpr 128
		.amdhsa_next_free_sgpr 31
		.amdhsa_reserve_vcc 1
		.amdhsa_reserve_flat_scratch 0
		.amdhsa_float_round_mode_32 0
		.amdhsa_float_round_mode_16_64 0
		.amdhsa_float_denorm_mode_32 3
		.amdhsa_float_denorm_mode_16_64 3
		.amdhsa_dx10_clamp 1
		.amdhsa_ieee_mode 1
		.amdhsa_fp16_overflow 0
		.amdhsa_workgroup_processor_mode 1
		.amdhsa_memory_ordered 1
		.amdhsa_forward_progress 1
		.amdhsa_shared_vgpr_count 0
		.amdhsa_exception_fp_ieee_invalid_op 0
		.amdhsa_exception_fp_denorm_src 0
		.amdhsa_exception_fp_ieee_div_zero 0
		.amdhsa_exception_fp_ieee_overflow 0
		.amdhsa_exception_fp_ieee_underflow 0
		.amdhsa_exception_fp_ieee_inexact 0
		.amdhsa_exception_int_div_zero 0
	.end_amdhsa_kernel
	.section	.text._ZL29rocblas_internal_gemmt_kernelIiLi16ELi32ELi8ELc84ELc84ELc85ELb0ELb0E19rocblas_complex_numIdEPKS1_PKS3_PKPS1_EviT_T9_T10_S9_lSB_S9_lSA_T11_S9_li,"axG",@progbits,_ZL29rocblas_internal_gemmt_kernelIiLi16ELi32ELi8ELc84ELc84ELc85ELb0ELb0E19rocblas_complex_numIdEPKS1_PKS3_PKPS1_EviT_T9_T10_S9_lSB_S9_lSA_T11_S9_li,comdat
.Lfunc_end400:
	.size	_ZL29rocblas_internal_gemmt_kernelIiLi16ELi32ELi8ELc84ELc84ELc85ELb0ELb0E19rocblas_complex_numIdEPKS1_PKS3_PKPS1_EviT_T9_T10_S9_lSB_S9_lSA_T11_S9_li, .Lfunc_end400-_ZL29rocblas_internal_gemmt_kernelIiLi16ELi32ELi8ELc84ELc84ELc85ELb0ELb0E19rocblas_complex_numIdEPKS1_PKS3_PKPS1_EviT_T9_T10_S9_lSB_S9_lSA_T11_S9_li
                                        ; -- End function
	.set _ZL29rocblas_internal_gemmt_kernelIiLi16ELi32ELi8ELc84ELc84ELc85ELb0ELb0E19rocblas_complex_numIdEPKS1_PKS3_PKPS1_EviT_T9_T10_S9_lSB_S9_lSA_T11_S9_li.num_vgpr, 128
	.set _ZL29rocblas_internal_gemmt_kernelIiLi16ELi32ELi8ELc84ELc84ELc85ELb0ELb0E19rocblas_complex_numIdEPKS1_PKS3_PKPS1_EviT_T9_T10_S9_lSB_S9_lSA_T11_S9_li.num_agpr, 0
	.set _ZL29rocblas_internal_gemmt_kernelIiLi16ELi32ELi8ELc84ELc84ELc85ELb0ELb0E19rocblas_complex_numIdEPKS1_PKS3_PKPS1_EviT_T9_T10_S9_lSB_S9_lSA_T11_S9_li.numbered_sgpr, 31
	.set _ZL29rocblas_internal_gemmt_kernelIiLi16ELi32ELi8ELc84ELc84ELc85ELb0ELb0E19rocblas_complex_numIdEPKS1_PKS3_PKPS1_EviT_T9_T10_S9_lSB_S9_lSA_T11_S9_li.num_named_barrier, 0
	.set _ZL29rocblas_internal_gemmt_kernelIiLi16ELi32ELi8ELc84ELc84ELc85ELb0ELb0E19rocblas_complex_numIdEPKS1_PKS3_PKPS1_EviT_T9_T10_S9_lSB_S9_lSA_T11_S9_li.private_seg_size, 0
	.set _ZL29rocblas_internal_gemmt_kernelIiLi16ELi32ELi8ELc84ELc84ELc85ELb0ELb0E19rocblas_complex_numIdEPKS1_PKS3_PKPS1_EviT_T9_T10_S9_lSB_S9_lSA_T11_S9_li.uses_vcc, 1
	.set _ZL29rocblas_internal_gemmt_kernelIiLi16ELi32ELi8ELc84ELc84ELc85ELb0ELb0E19rocblas_complex_numIdEPKS1_PKS3_PKPS1_EviT_T9_T10_S9_lSB_S9_lSA_T11_S9_li.uses_flat_scratch, 0
	.set _ZL29rocblas_internal_gemmt_kernelIiLi16ELi32ELi8ELc84ELc84ELc85ELb0ELb0E19rocblas_complex_numIdEPKS1_PKS3_PKPS1_EviT_T9_T10_S9_lSB_S9_lSA_T11_S9_li.has_dyn_sized_stack, 0
	.set _ZL29rocblas_internal_gemmt_kernelIiLi16ELi32ELi8ELc84ELc84ELc85ELb0ELb0E19rocblas_complex_numIdEPKS1_PKS3_PKPS1_EviT_T9_T10_S9_lSB_S9_lSA_T11_S9_li.has_recursion, 0
	.set _ZL29rocblas_internal_gemmt_kernelIiLi16ELi32ELi8ELc84ELc84ELc85ELb0ELb0E19rocblas_complex_numIdEPKS1_PKS3_PKPS1_EviT_T9_T10_S9_lSB_S9_lSA_T11_S9_li.has_indirect_call, 0
	.section	.AMDGPU.csdata,"",@progbits
; Kernel info:
; codeLenInByte = 3556
; TotalNumSgprs: 33
; NumVgprs: 128
; ScratchSize: 0
; MemoryBound: 0
; FloatMode: 240
; IeeeMode: 1
; LDSByteSize: 8192 bytes/workgroup (compile time only)
; SGPRBlocks: 0
; VGPRBlocks: 15
; NumSGPRsForWavesPerEU: 33
; NumVGPRsForWavesPerEU: 128
; Occupancy: 8
; WaveLimiterHint : 1
; COMPUTE_PGM_RSRC2:SCRATCH_EN: 0
; COMPUTE_PGM_RSRC2:USER_SGPR: 6
; COMPUTE_PGM_RSRC2:TRAP_HANDLER: 0
; COMPUTE_PGM_RSRC2:TGID_X_EN: 1
; COMPUTE_PGM_RSRC2:TGID_Y_EN: 1
; COMPUTE_PGM_RSRC2:TGID_Z_EN: 1
; COMPUTE_PGM_RSRC2:TIDIG_COMP_CNT: 1
	.section	.text._ZL29rocblas_internal_gemmt_kernelIiLi16ELi32ELi8ELc84ELc67ELc85ELb0ELb1E19rocblas_complex_numIdEPKS1_PKS3_PKPS1_EviT_T9_T10_S9_lSB_S9_lSA_T11_S9_li,"axG",@progbits,_ZL29rocblas_internal_gemmt_kernelIiLi16ELi32ELi8ELc84ELc67ELc85ELb0ELb1E19rocblas_complex_numIdEPKS1_PKS3_PKPS1_EviT_T9_T10_S9_lSB_S9_lSA_T11_S9_li,comdat
	.globl	_ZL29rocblas_internal_gemmt_kernelIiLi16ELi32ELi8ELc84ELc67ELc85ELb0ELb1E19rocblas_complex_numIdEPKS1_PKS3_PKPS1_EviT_T9_T10_S9_lSB_S9_lSA_T11_S9_li ; -- Begin function _ZL29rocblas_internal_gemmt_kernelIiLi16ELi32ELi8ELc84ELc67ELc85ELb0ELb1E19rocblas_complex_numIdEPKS1_PKS3_PKPS1_EviT_T9_T10_S9_lSB_S9_lSA_T11_S9_li
	.p2align	8
	.type	_ZL29rocblas_internal_gemmt_kernelIiLi16ELi32ELi8ELc84ELc67ELc85ELb0ELb1E19rocblas_complex_numIdEPKS1_PKS3_PKPS1_EviT_T9_T10_S9_lSB_S9_lSA_T11_S9_li,@function
_ZL29rocblas_internal_gemmt_kernelIiLi16ELi32ELi8ELc84ELc67ELc85ELb0ELb1E19rocblas_complex_numIdEPKS1_PKS3_PKPS1_EviT_T9_T10_S9_lSB_S9_lSA_T11_S9_li: ; @_ZL29rocblas_internal_gemmt_kernelIiLi16ELi32ELi8ELc84ELc67ELc85ELb0ELb1E19rocblas_complex_numIdEPKS1_PKS3_PKPS1_EviT_T9_T10_S9_lSB_S9_lSA_T11_S9_li
; %bb.0:
	s_load_dwordx4 s[20:23], s[4:5], 0x38
	s_waitcnt lgkmcnt(0)
	s_load_dwordx4 s[12:15], s[22:23], 0x0
	s_clause 0x1
	s_load_dwordx4 s[0:3], s[4:5], 0x8
	s_load_dwordx2 s[10:11], s[4:5], 0x0
	s_waitcnt lgkmcnt(0)
	s_load_dwordx4 s[16:19], s[0:1], 0x0
	v_cmp_eq_f64_e64 s9, s[12:13], 1.0
	v_cmp_eq_f64_e64 s30, s[14:15], 0
	s_and_b32 s0, s9, s30
	s_andn2_b32 vcc_lo, exec_lo, s0
	s_mov_b32 s0, -1
	s_cbranch_vccnz .LBB401_3
; %bb.1:
	s_cmp_lg_u32 s11, 0
	s_cbranch_scc0 .LBB401_29
; %bb.2:
	s_waitcnt lgkmcnt(0)
	v_cmp_neq_f64_e64 s0, s[16:17], 0
	v_cmp_neq_f64_e64 s1, s[18:19], 0
	s_or_b32 s0, s0, s1
.LBB401_3:
	s_and_b32 vcc_lo, exec_lo, s0
	s_cbranch_vccz .LBB401_30
; %bb.4:
	s_load_dwordx2 s[0:1], s[4:5], 0x48
	s_waitcnt lgkmcnt(0)
	v_cmp_eq_f64_e64 s24, s[16:17], 0
	v_cmp_eq_f64_e64 s25, s[18:19], 0
	s_mov_b32 s9, 0
	v_mov_b32_e32 v23, 0
	s_lshl_b64 s[28:29], s[8:9], 3
	v_mov_b32_e32 v25, 0
	v_mov_b32_e32 v19, 0
	;; [unrolled: 1-line block ×14, first 2 shown]
	s_add_u32 s0, s0, s28
	s_addc_u32 s1, s1, s29
	s_lshl_b32 s8, s6, 5
	s_load_dwordx2 s[22:23], s[0:1], 0x0
	s_lshl_b32 s31, s7, 5
	s_and_b32 s0, s24, s25
	s_cmp_lt_i32 s11, 1
	v_mov_b32_e32 v8, 0
	s_cselect_b32 s1, -1, 0
	s_or_b32 s0, s0, s1
	s_and_b32 vcc_lo, exec_lo, s0
	s_cbranch_vccnz .LBB401_13
; %bb.5:
	s_clause 0x2
	s_load_dword s6, s[4:5], 0x30
	s_load_dword s1, s[4:5], 0x18
	s_load_dwordx4 s[24:27], s[4:5], 0x20
	v_lshl_add_u32 v2, v1, 4, v0
	v_and_b32_e32 v27, 7, v0
	v_mov_b32_e32 v9, 0
	v_mov_b32_e32 v17, 0
	;; [unrolled: 1-line block ×3, first 2 shown]
	v_and_b32_e32 v3, 31, v2
	v_lshrrev_b32_e32 v4, 3, v2
	v_lshlrev_b32_e32 v5, 4, v27
	v_lshrrev_b32_e32 v28, 5, v2
	v_mov_b32_e32 v21, 0
	v_or_b32_e32 v6, s8, v3
	v_lshlrev_b32_e32 v7, 4, v3
	v_add_nc_u32_e32 v3, s8, v3
	v_add_nc_u32_e32 v2, s31, v4
	v_lshl_or_b32 v8, v4, 7, v5
	v_cmp_gt_i32_e64 s0, s10, v6
	v_lshl_or_b32 v29, v28, 9, v7
	s_waitcnt lgkmcnt(0)
	s_ashr_i32 s7, s6, 31
	v_mad_i64_i32 v[4:5], null, s1, v3, 0
	s_add_u32 s26, s26, s28
	s_addc_u32 s27, s27, s29
	v_mad_i64_i32 v[6:7], null, s6, v27, 0
	s_add_u32 s2, s2, s28
	s_addc_u32 s3, s3, s29
	s_load_dwordx2 s[26:27], s[26:27], 0x0
	s_load_dwordx2 s[2:3], s[2:3], 0x0
	v_lshlrev_b64 v[4:5], 4, v[4:5]
	v_ashrrev_i32_e32 v3, 31, v2
	s_lshl_b64 s[24:25], s[24:25], 4
	v_lshlrev_b64 v[6:7], 4, v[6:7]
	v_add_nc_u32_e32 v30, 0x1000, v8
	v_lshlrev_b32_e32 v8, 4, v28
	v_add_co_u32 v4, s1, v4, s24
	s_lshl_b64 s[20:21], s[20:21], 4
	v_cmp_gt_i32_e32 vcc_lo, s10, v2
	v_lshlrev_b64 v[2:3], 4, v[2:3]
	v_add_co_ci_u32_e64 v5, null, s25, v5, s1
	v_add_co_u32 v6, s1, v6, s20
	v_add_co_ci_u32_e64 v7, null, s21, v7, s1
	v_add_co_u32 v4, s1, v4, v8
	;; [unrolled: 2-line block ×3, first 2 shown]
	v_add_co_ci_u32_e64 v3, null, v7, v3, s1
	s_waitcnt lgkmcnt(0)
	v_add_co_u32 v11, s1, s2, v4
	v_add_co_ci_u32_e64 v12, null, s3, v5, s1
	v_add_co_u32 v13, s1, s26, v2
	v_mov_b32_e32 v7, 0
	v_mov_b32_e32 v19, 0
	;; [unrolled: 1-line block ×4, first 2 shown]
	v_lshlrev_b32_e32 v31, 4, v0
	v_lshl_add_u32 v32, v1, 7, 0x1000
	v_add_co_ci_u32_e64 v14, null, s27, v3, s1
	v_mov_b32_e32 v8, 0
	v_mov_b32_e32 v10, 0
	;; [unrolled: 1-line block ×9, first 2 shown]
	s_lshl_b64 s[2:3], s[6:7], 7
	s_xor_b32 s1, s0, -1
	s_branch .LBB401_7
.LBB401_6:                              ;   in Loop: Header=BB401_7 Depth=1
	s_or_b32 exec_lo, exec_lo, s0
	ds_write_b128 v30, v[3:6]
	s_waitcnt lgkmcnt(0)
	s_barrier
	buffer_gl0_inv
	ds_read_b128 v[3:6], v32
	ds_read_b128 v[33:36], v31
	ds_read_b128 v[37:40], v31 offset:256
	ds_read_b128 v[41:44], v32 offset:2048
	;; [unrolled: 1-line block ×12, first 2 shown]
	v_add_co_u32 v11, s0, 0x80, v11
	v_add_co_ci_u32_e64 v12, null, 0, v12, s0
	v_add_co_u32 v13, s0, v13, s2
	v_add_co_ci_u32_e64 v14, null, s3, v14, s0
	s_waitcnt lgkmcnt(12)
	v_mul_f64 v[85:86], v[5:6], v[35:36]
	v_mul_f64 v[87:88], v[3:4], v[35:36]
	s_waitcnt lgkmcnt(11)
	v_mul_f64 v[89:90], v[5:6], v[39:40]
	v_mul_f64 v[91:92], v[3:4], v[39:40]
	;; [unrolled: 3-line block ×3, first 2 shown]
	v_mul_f64 v[95:96], v[43:44], v[39:40]
	v_mul_f64 v[39:40], v[41:42], v[39:40]
	s_waitcnt lgkmcnt(8)
	v_mul_f64 v[97:98], v[47:48], v[51:52]
	v_mul_f64 v[99:100], v[45:46], v[51:52]
	s_waitcnt lgkmcnt(7)
	;; [unrolled: 3-line block ×3, first 2 shown]
	v_mul_f64 v[105:106], v[59:60], v[51:52]
	v_mul_f64 v[51:52], v[57:58], v[51:52]
	v_mul_f64 v[107:108], v[59:60], v[55:56]
	v_mul_f64 v[55:56], v[57:58], v[55:56]
	s_waitcnt lgkmcnt(4)
	v_mul_f64 v[109:110], v[63:64], v[67:68]
	v_mul_f64 v[111:112], v[61:62], v[67:68]
	s_waitcnt lgkmcnt(3)
	v_mul_f64 v[113:114], v[63:64], v[71:72]
	v_mul_f64 v[115:116], v[61:62], v[71:72]
	;; [unrolled: 3-line block ×3, first 2 shown]
	v_fma_f64 v[85:86], v[3:4], v[33:34], -v[85:86]
	v_fma_f64 v[87:88], v[5:6], v[33:34], v[87:88]
	v_fma_f64 v[89:90], v[3:4], v[37:38], -v[89:90]
	v_fma_f64 v[91:92], v[5:6], v[37:38], v[91:92]
	;; [unrolled: 2-line block ×4, first 2 shown]
	v_mul_f64 v[123:124], v[75:76], v[71:72]
	v_mul_f64 v[71:72], v[73:74], v[71:72]
	v_fma_f64 v[97:98], v[45:46], v[49:50], -v[97:98]
	v_fma_f64 v[99:100], v[47:48], v[49:50], v[99:100]
	v_fma_f64 v[101:102], v[45:46], v[53:54], -v[101:102]
	v_fma_f64 v[103:104], v[47:48], v[53:54], v[103:104]
	v_fma_f64 v[105:106], v[57:58], v[49:50], -v[105:106]
	v_fma_f64 v[125:126], v[59:60], v[49:50], v[51:52]
	v_fma_f64 v[57:58], v[57:58], v[53:54], -v[107:108]
	v_fma_f64 v[53:54], v[59:60], v[53:54], v[55:56]
	v_fma_f64 v[55:56], v[61:62], v[65:66], -v[109:110]
	v_fma_f64 v[59:60], v[63:64], v[65:66], v[111:112]
	v_fma_f64 v[61:62], v[61:62], v[69:70], -v[113:114]
	v_fma_f64 v[63:64], v[63:64], v[69:70], v[115:116]
	v_fma_f64 v[107:108], v[73:74], v[65:66], -v[117:118]
	v_fma_f64 v[65:66], v[75:76], v[65:66], v[67:68]
	v_add_f64 v[23:24], v[23:24], v[85:86]
	v_add_f64 v[25:26], v[87:88], v[25:26]
	;; [unrolled: 1-line block ×6, first 2 shown]
	v_fma_f64 v[73:74], v[73:74], v[69:70], -v[123:124]
	v_fma_f64 v[69:70], v[75:76], v[69:70], v[71:72]
	v_add_f64 v[71:72], v[15:16], v[93:94]
	v_add_f64 v[75:76], v[119:120], v[17:18]
	ds_read_b128 v[3:6], v31 offset:1536
	ds_read_b128 v[33:36], v31 offset:1792
	;; [unrolled: 1-line block ×7, first 2 shown]
	s_add_i32 s9, s9, 8
	s_cmp_lt_i32 s9, s11
	v_add_f64 v[97:98], v[23:24], v[97:98]
	v_add_f64 v[99:100], v[99:100], v[25:26]
	;; [unrolled: 1-line block ×6, first 2 shown]
	ds_read_b128 v[19:22], v31 offset:2560
	ds_read_b128 v[23:26], v31 offset:2816
	s_waitcnt lgkmcnt(8)
	v_mul_f64 v[109:110], v[79:80], v[5:6]
	v_mul_f64 v[111:112], v[77:78], v[5:6]
	s_waitcnt lgkmcnt(7)
	v_mul_f64 v[67:68], v[79:80], v[35:36]
	v_mul_f64 v[113:114], v[77:78], v[35:36]
	;; [unrolled: 1-line block ×6, first 2 shown]
	s_waitcnt lgkmcnt(4)
	v_mul_f64 v[95:96], v[39:40], v[47:48]
	v_add_f64 v[71:72], v[71:72], v[105:106]
	v_add_f64 v[75:76], v[125:126], v[75:76]
	v_mul_f64 v[93:94], v[37:38], v[43:44]
	ds_read_b128 v[5:8], v32 offset:80
	v_add_f64 v[55:56], v[97:98], v[55:56]
	v_add_f64 v[59:60], v[59:60], v[99:100]
	v_add_f64 v[61:62], v[101:102], v[61:62]
	v_add_f64 v[63:64], v[63:64], v[103:104]
	v_add_f64 v[9:10], v[9:10], v[73:74]
	v_add_f64 v[53:54], v[69:70], v[53:54]
	s_waitcnt lgkmcnt(2)
	v_mul_f64 v[99:100], v[17:18], v[21:22]
	s_waitcnt lgkmcnt(1)
	v_mul_f64 v[101:102], v[17:18], v[25:26]
	v_fma_f64 v[89:90], v[77:78], v[3:4], -v[109:110]
	v_fma_f64 v[91:92], v[79:80], v[3:4], v[111:112]
	v_fma_f64 v[67:68], v[77:78], v[33:34], -v[67:68]
	v_mul_f64 v[77:78], v[39:40], v[43:44]
	v_mul_f64 v[109:110], v[37:38], v[47:48]
	v_fma_f64 v[79:80], v[79:80], v[33:34], v[113:114]
	v_mul_f64 v[111:112], v[51:52], v[43:44]
	v_mul_f64 v[43:44], v[49:50], v[43:44]
	v_fma_f64 v[57:58], v[81:82], v[3:4], -v[115:116]
	v_fma_f64 v[3:4], v[83:84], v[3:4], v[117:118]
	v_fma_f64 v[81:82], v[81:82], v[33:34], -v[87:88]
	v_fma_f64 v[83:84], v[83:84], v[33:34], v[35:36]
	v_fma_f64 v[87:88], v[37:38], v[45:46], -v[95:96]
	v_mul_f64 v[95:96], v[51:52], v[47:48]
	v_mul_f64 v[47:48], v[49:50], v[47:48]
	v_add_f64 v[71:72], v[71:72], v[107:108]
	v_add_f64 v[65:66], v[65:66], v[75:76]
	v_fma_f64 v[85:86], v[39:40], v[41:42], v[93:94]
	s_waitcnt lgkmcnt(0)
	v_mul_f64 v[69:70], v[7:8], v[21:22]
	v_mul_f64 v[73:74], v[5:6], v[21:22]
	v_mul_f64 v[75:76], v[7:8], v[25:26]
	v_mul_f64 v[97:98], v[5:6], v[25:26]
	v_mul_f64 v[21:22], v[15:16], v[21:22]
	v_mul_f64 v[25:26], v[15:16], v[25:26]
	v_add_f64 v[55:56], v[55:56], v[89:90]
	v_fma_f64 v[77:78], v[37:38], v[41:42], -v[77:78]
	v_fma_f64 v[93:94], v[39:40], v[45:46], v[109:110]
	v_add_f64 v[59:60], v[91:92], v[59:60]
	v_fma_f64 v[105:106], v[49:50], v[41:42], -v[111:112]
	v_fma_f64 v[109:110], v[51:52], v[41:42], v[43:44]
	v_add_f64 v[61:62], v[61:62], v[67:68]
	v_add_f64 v[63:64], v[79:80], v[63:64]
	;; [unrolled: 1-line block ×4, first 2 shown]
	ds_read_b128 v[33:36], v32 offset:96
	ds_read_b128 v[37:40], v31 offset:3072
	v_fma_f64 v[49:50], v[49:50], v[45:46], -v[95:96]
	v_fma_f64 v[51:52], v[51:52], v[45:46], v[47:48]
	v_add_f64 v[57:58], v[71:72], v[57:58]
	v_add_f64 v[65:66], v[3:4], v[65:66]
	ds_read_b128 v[41:44], v31 offset:3328
	ds_read_b128 v[45:48], v32 offset:2144
	v_fma_f64 v[69:70], v[5:6], v[19:20], -v[69:70]
	v_fma_f64 v[71:72], v[7:8], v[19:20], v[73:74]
	v_fma_f64 v[73:74], v[5:6], v[23:24], -v[75:76]
	v_fma_f64 v[75:76], v[7:8], v[23:24], v[97:98]
	;; [unrolled: 2-line block ×4, first 2 shown]
	v_add_f64 v[55:56], v[55:56], v[77:78]
	v_add_f64 v[59:60], v[85:86], v[59:60]
	ds_read_b128 v[3:6], v32 offset:112
	ds_read_b128 v[7:10], v32 offset:2160
	v_add_f64 v[61:62], v[61:62], v[87:88]
	v_add_f64 v[63:64], v[93:94], v[63:64]
	s_waitcnt lgkmcnt(4)
	v_mul_f64 v[89:90], v[35:36], v[39:40]
	v_mul_f64 v[25:26], v[33:34], v[39:40]
	ds_read_b128 v[15:18], v31 offset:3584
	ds_read_b128 v[19:22], v31 offset:3840
	v_add_f64 v[49:50], v[67:68], v[49:50]
	s_waitcnt lgkmcnt(5)
	v_mul_f64 v[91:92], v[35:36], v[43:44]
	v_mul_f64 v[95:96], v[33:34], v[43:44]
	s_waitcnt lgkmcnt(4)
	v_mul_f64 v[97:98], v[47:48], v[39:40]
	v_mul_f64 v[39:40], v[45:46], v[39:40]
	v_add_f64 v[57:58], v[57:58], v[105:106]
	v_add_f64 v[65:66], v[109:110], v[65:66]
	;; [unrolled: 1-line block ×3, first 2 shown]
	v_mul_f64 v[53:54], v[47:48], v[43:44]
	v_mul_f64 v[43:44], v[45:46], v[43:44]
	s_waitcnt lgkmcnt(0)
	s_barrier
	buffer_gl0_inv
	v_fma_f64 v[67:68], v[33:34], v[37:38], -v[89:90]
	v_fma_f64 v[25:26], v[35:36], v[37:38], v[25:26]
	v_add_f64 v[49:50], v[49:50], v[83:84]
	v_fma_f64 v[33:34], v[33:34], v[41:42], -v[91:92]
	v_fma_f64 v[35:36], v[35:36], v[41:42], v[95:96]
	v_fma_f64 v[77:78], v[45:46], v[37:38], -v[97:98]
	v_fma_f64 v[37:38], v[47:48], v[37:38], v[39:40]
	v_add_f64 v[39:40], v[55:56], v[69:70]
	v_add_f64 v[55:56], v[71:72], v[59:60]
	;; [unrolled: 1-line block ×7, first 2 shown]
	v_fma_f64 v[45:46], v[45:46], v[41:42], -v[53:54]
	v_fma_f64 v[41:42], v[47:48], v[41:42], v[43:44]
	v_mul_f64 v[43:44], v[5:6], v[17:18]
	v_mul_f64 v[47:48], v[3:4], v[17:18]
	;; [unrolled: 1-line block ×8, first 2 shown]
	v_add_f64 v[39:40], v[39:40], v[67:68]
	v_add_f64 v[25:26], v[25:26], v[55:56]
	;; [unrolled: 1-line block ×8, first 2 shown]
	v_fma_f64 v[23:24], v[3:4], v[15:16], -v[43:44]
	v_fma_f64 v[43:44], v[5:6], v[15:16], v[47:48]
	v_fma_f64 v[3:4], v[3:4], v[19:20], -v[51:52]
	v_fma_f64 v[5:6], v[5:6], v[19:20], v[53:54]
	;; [unrolled: 2-line block ×4, first 2 shown]
	v_add_f64 v[23:24], v[39:40], v[23:24]
	v_add_f64 v[25:26], v[43:44], v[25:26]
	;; [unrolled: 1-line block ×8, first 2 shown]
	s_cbranch_scc0 .LBB401_13
.LBB401_7:                              ; =>This Inner Loop Header: Depth=1
	v_add_nc_u32_e32 v3, s9, v28
	v_cmp_le_i32_e64 s0, s11, v3
	s_or_b32 s0, s1, s0
	s_and_saveexec_b32 s6, s0
	s_xor_b32 s0, exec_lo, s6
	s_cbranch_execz .LBB401_9
; %bb.8:                                ;   in Loop: Header=BB401_7 Depth=1
	v_mov_b32_e32 v3, v2
	v_mov_b32_e32 v4, v2
	;; [unrolled: 1-line block ×3, first 2 shown]
	ds_write_b128 v29, v[2:5]
.LBB401_9:                              ;   in Loop: Header=BB401_7 Depth=1
	s_andn2_saveexec_b32 s0, s0
	s_cbranch_execz .LBB401_11
; %bb.10:                               ;   in Loop: Header=BB401_7 Depth=1
	flat_load_dwordx4 v[3:6], v[11:12]
	s_waitcnt vmcnt(0) lgkmcnt(0)
	ds_write2_b64 v29, v[3:4], v[5:6] offset1:1
.LBB401_11:                             ;   in Loop: Header=BB401_7 Depth=1
	s_or_b32 exec_lo, exec_lo, s0
	v_add_nc_u32_e32 v3, s9, v27
	v_mov_b32_e32 v5, 0
	v_mov_b32_e32 v6, 0
	v_cmp_gt_i32_e64 s0, s11, v3
	v_mov_b32_e32 v3, 0
	v_mov_b32_e32 v4, 0
	s_and_b32 s6, s0, vcc_lo
	s_and_saveexec_b32 s0, s6
	s_cbranch_execz .LBB401_6
; %bb.12:                               ;   in Loop: Header=BB401_7 Depth=1
	flat_load_dwordx4 v[3:6], v[13:14]
	s_waitcnt vmcnt(0) lgkmcnt(0)
	v_xor_b32_e32 v6, 0x80000000, v6
	s_branch .LBB401_6
.LBB401_13:
	s_clause 0x1
	s_load_dword s2, s[4:5], 0x50
	s_load_dwordx2 s[4:5], s[4:5], 0x58
	v_cmp_neq_f64_e64 s6, s[12:13], 0
	v_add_nc_u32_e32 v27, s31, v1
	v_add_nc_u32_e32 v4, s8, v0
	v_cmp_gt_i32_e64 s0, s10, v27
	v_cmp_le_i32_e32 vcc_lo, v4, v27
	v_ashrrev_i32_e32 v5, 31, v4
	s_waitcnt lgkmcnt(0)
	v_mad_i64_i32 v[1:2], null, v27, s2, 0
	s_lshl_b64 s[4:5], s[4:5], 4
	s_add_u32 s3, s22, s4
	s_addc_u32 s4, s23, s5
	s_xor_b32 s5, s30, -1
	s_or_b32 s5, s6, s5
	v_lshlrev_b64 v[0:1], 4, v[1:2]
	v_cndmask_b32_e64 v6, 0, 1, s5
	s_and_b32 s6, s0, vcc_lo
	v_add_co_u32 v13, s1, s3, v0
	v_add_co_ci_u32_e64 v14, null, s4, v1, s1
	s_and_saveexec_b32 s1, s6
	s_cbranch_execz .LBB401_17
; %bb.14:
	v_mul_f64 v[0:1], s[18:19], v[25:26]
	v_mul_f64 v[2:3], s[16:17], v[25:26]
	v_lshlrev_b64 v[11:12], 4, v[4:5]
	v_add_co_u32 v11, vcc_lo, v13, v11
	v_add_co_ci_u32_e64 v12, null, v14, v12, vcc_lo
	s_andn2_b32 vcc_lo, exec_lo, s5
	v_fma_f64 v[0:1], s[16:17], v[23:24], -v[0:1]
	v_fma_f64 v[2:3], s[18:19], v[23:24], v[2:3]
	s_cbranch_vccnz .LBB401_16
; %bb.15:
	flat_load_dwordx4 v[23:26], v[11:12]
	s_waitcnt vmcnt(0) lgkmcnt(0)
	v_mul_f64 v[28:29], s[14:15], v[25:26]
	v_mul_f64 v[25:26], s[12:13], v[25:26]
	v_fma_f64 v[28:29], s[12:13], v[23:24], -v[28:29]
	v_fma_f64 v[23:24], s[14:15], v[23:24], v[25:26]
	v_add_f64 v[0:1], v[0:1], v[28:29]
	v_add_f64 v[2:3], v[2:3], v[23:24]
.LBB401_16:
	flat_store_dwordx4 v[11:12], v[0:3]
.LBB401_17:
	s_or_b32 exec_lo, exec_lo, s1
	v_add_nc_u32_e32 v11, 16, v4
	v_cmp_le_i32_e32 vcc_lo, v11, v27
	v_ashrrev_i32_e32 v12, 31, v11
	s_and_b32 s0, s0, vcc_lo
	s_and_saveexec_b32 s1, s0
	s_cbranch_execz .LBB401_21
; %bb.18:
	v_mul_f64 v[0:1], s[18:19], v[21:22]
	v_mul_f64 v[2:3], s[16:17], v[21:22]
	v_cmp_ne_u32_e32 vcc_lo, 1, v6
	s_and_b32 vcc_lo, exec_lo, vcc_lo
	v_fma_f64 v[0:1], s[16:17], v[19:20], -v[0:1]
	v_fma_f64 v[2:3], s[18:19], v[19:20], v[2:3]
	v_lshlrev_b64 v[19:20], 4, v[11:12]
	v_add_co_u32 v13, s0, v13, v19
	v_add_co_ci_u32_e64 v14, null, v14, v20, s0
	s_cbranch_vccnz .LBB401_20
; %bb.19:
	flat_load_dwordx4 v[19:22], v[13:14]
	s_waitcnt vmcnt(0) lgkmcnt(0)
	v_mul_f64 v[23:24], s[14:15], v[21:22]
	v_mul_f64 v[21:22], s[12:13], v[21:22]
	v_fma_f64 v[23:24], s[12:13], v[19:20], -v[23:24]
	v_fma_f64 v[19:20], s[14:15], v[19:20], v[21:22]
	v_add_f64 v[0:1], v[0:1], v[23:24]
	v_add_f64 v[2:3], v[2:3], v[19:20]
.LBB401_20:
	flat_store_dwordx4 v[13:14], v[0:3]
.LBB401_21:
	s_or_b32 exec_lo, exec_lo, s1
	v_add_nc_u32_e32 v19, 16, v27
	v_mad_i64_i32 v[0:1], null, v19, s2, 0
	v_cmp_gt_i32_e64 s0, s10, v19
	v_cmp_le_i32_e32 vcc_lo, v4, v19
	v_lshlrev_b64 v[0:1], 4, v[0:1]
	v_add_co_u32 v13, s1, s3, v0
	v_add_co_ci_u32_e64 v14, null, s4, v1, s1
	s_and_b32 s1, s0, vcc_lo
	s_and_saveexec_b32 s2, s1
	s_cbranch_execz .LBB401_25
; %bb.22:
	v_mul_f64 v[0:1], s[18:19], v[17:18]
	v_mul_f64 v[2:3], s[16:17], v[17:18]
	v_lshlrev_b64 v[4:5], 4, v[4:5]
	v_cmp_ne_u32_e32 vcc_lo, 1, v6
	s_and_b32 vcc_lo, exec_lo, vcc_lo
	v_add_co_u32 v4, s1, v13, v4
	v_add_co_ci_u32_e64 v5, null, v14, v5, s1
	v_fma_f64 v[0:1], s[16:17], v[15:16], -v[0:1]
	v_fma_f64 v[2:3], s[18:19], v[15:16], v[2:3]
	s_cbranch_vccnz .LBB401_24
; %bb.23:
	flat_load_dwordx4 v[15:18], v[4:5]
	s_waitcnt vmcnt(0) lgkmcnt(0)
	v_mul_f64 v[20:21], s[14:15], v[17:18]
	v_mul_f64 v[17:18], s[12:13], v[17:18]
	v_fma_f64 v[20:21], s[12:13], v[15:16], -v[20:21]
	v_fma_f64 v[15:16], s[14:15], v[15:16], v[17:18]
	v_add_f64 v[0:1], v[0:1], v[20:21]
	v_add_f64 v[2:3], v[2:3], v[15:16]
.LBB401_24:
	flat_store_dwordx4 v[4:5], v[0:3]
.LBB401_25:
	s_or_b32 exec_lo, exec_lo, s2
	v_cmp_le_i32_e32 vcc_lo, v11, v19
	s_and_b32 s0, s0, vcc_lo
	s_and_saveexec_b32 s1, s0
	s_cbranch_execz .LBB401_30
; %bb.26:
	v_mul_f64 v[0:1], s[18:19], v[7:8]
	v_mul_f64 v[2:3], s[16:17], v[7:8]
	v_lshlrev_b64 v[4:5], 4, v[11:12]
	v_cmp_ne_u32_e32 vcc_lo, 1, v6
	s_and_b32 vcc_lo, exec_lo, vcc_lo
	v_add_co_u32 v4, s0, v13, v4
	v_add_co_ci_u32_e64 v5, null, v14, v5, s0
	v_fma_f64 v[0:1], s[16:17], v[9:10], -v[0:1]
	v_fma_f64 v[2:3], s[18:19], v[9:10], v[2:3]
	s_cbranch_vccnz .LBB401_28
; %bb.27:
	flat_load_dwordx4 v[6:9], v[4:5]
	s_waitcnt vmcnt(0) lgkmcnt(0)
	v_mul_f64 v[10:11], s[14:15], v[8:9]
	v_mul_f64 v[8:9], s[12:13], v[8:9]
	v_fma_f64 v[10:11], s[12:13], v[6:7], -v[10:11]
	v_fma_f64 v[6:7], s[14:15], v[6:7], v[8:9]
	v_add_f64 v[0:1], v[0:1], v[10:11]
	v_add_f64 v[2:3], v[2:3], v[6:7]
.LBB401_28:
	flat_store_dwordx4 v[4:5], v[0:3]
	s_endpgm
.LBB401_29:
.LBB401_30:
	s_endpgm
	.section	.rodata,"a",@progbits
	.p2align	6, 0x0
	.amdhsa_kernel _ZL29rocblas_internal_gemmt_kernelIiLi16ELi32ELi8ELc84ELc67ELc85ELb0ELb1E19rocblas_complex_numIdEPKS1_PKS3_PKPS1_EviT_T9_T10_S9_lSB_S9_lSA_T11_S9_li
		.amdhsa_group_segment_fixed_size 8192
		.amdhsa_private_segment_fixed_size 0
		.amdhsa_kernarg_size 100
		.amdhsa_user_sgpr_count 6
		.amdhsa_user_sgpr_private_segment_buffer 1
		.amdhsa_user_sgpr_dispatch_ptr 0
		.amdhsa_user_sgpr_queue_ptr 0
		.amdhsa_user_sgpr_kernarg_segment_ptr 1
		.amdhsa_user_sgpr_dispatch_id 0
		.amdhsa_user_sgpr_flat_scratch_init 0
		.amdhsa_user_sgpr_private_segment_size 0
		.amdhsa_wavefront_size32 1
		.amdhsa_uses_dynamic_stack 0
		.amdhsa_system_sgpr_private_segment_wavefront_offset 0
		.amdhsa_system_sgpr_workgroup_id_x 1
		.amdhsa_system_sgpr_workgroup_id_y 1
		.amdhsa_system_sgpr_workgroup_id_z 1
		.amdhsa_system_sgpr_workgroup_info 0
		.amdhsa_system_vgpr_workitem_id 1
		.amdhsa_next_free_vgpr 127
		.amdhsa_next_free_sgpr 32
		.amdhsa_reserve_vcc 1
		.amdhsa_reserve_flat_scratch 0
		.amdhsa_float_round_mode_32 0
		.amdhsa_float_round_mode_16_64 0
		.amdhsa_float_denorm_mode_32 3
		.amdhsa_float_denorm_mode_16_64 3
		.amdhsa_dx10_clamp 1
		.amdhsa_ieee_mode 1
		.amdhsa_fp16_overflow 0
		.amdhsa_workgroup_processor_mode 1
		.amdhsa_memory_ordered 1
		.amdhsa_forward_progress 1
		.amdhsa_shared_vgpr_count 0
		.amdhsa_exception_fp_ieee_invalid_op 0
		.amdhsa_exception_fp_denorm_src 0
		.amdhsa_exception_fp_ieee_div_zero 0
		.amdhsa_exception_fp_ieee_overflow 0
		.amdhsa_exception_fp_ieee_underflow 0
		.amdhsa_exception_fp_ieee_inexact 0
		.amdhsa_exception_int_div_zero 0
	.end_amdhsa_kernel
	.section	.text._ZL29rocblas_internal_gemmt_kernelIiLi16ELi32ELi8ELc84ELc67ELc85ELb0ELb1E19rocblas_complex_numIdEPKS1_PKS3_PKPS1_EviT_T9_T10_S9_lSB_S9_lSA_T11_S9_li,"axG",@progbits,_ZL29rocblas_internal_gemmt_kernelIiLi16ELi32ELi8ELc84ELc67ELc85ELb0ELb1E19rocblas_complex_numIdEPKS1_PKS3_PKPS1_EviT_T9_T10_S9_lSB_S9_lSA_T11_S9_li,comdat
.Lfunc_end401:
	.size	_ZL29rocblas_internal_gemmt_kernelIiLi16ELi32ELi8ELc84ELc67ELc85ELb0ELb1E19rocblas_complex_numIdEPKS1_PKS3_PKPS1_EviT_T9_T10_S9_lSB_S9_lSA_T11_S9_li, .Lfunc_end401-_ZL29rocblas_internal_gemmt_kernelIiLi16ELi32ELi8ELc84ELc67ELc85ELb0ELb1E19rocblas_complex_numIdEPKS1_PKS3_PKPS1_EviT_T9_T10_S9_lSB_S9_lSA_T11_S9_li
                                        ; -- End function
	.set _ZL29rocblas_internal_gemmt_kernelIiLi16ELi32ELi8ELc84ELc67ELc85ELb0ELb1E19rocblas_complex_numIdEPKS1_PKS3_PKPS1_EviT_T9_T10_S9_lSB_S9_lSA_T11_S9_li.num_vgpr, 127
	.set _ZL29rocblas_internal_gemmt_kernelIiLi16ELi32ELi8ELc84ELc67ELc85ELb0ELb1E19rocblas_complex_numIdEPKS1_PKS3_PKPS1_EviT_T9_T10_S9_lSB_S9_lSA_T11_S9_li.num_agpr, 0
	.set _ZL29rocblas_internal_gemmt_kernelIiLi16ELi32ELi8ELc84ELc67ELc85ELb0ELb1E19rocblas_complex_numIdEPKS1_PKS3_PKPS1_EviT_T9_T10_S9_lSB_S9_lSA_T11_S9_li.numbered_sgpr, 32
	.set _ZL29rocblas_internal_gemmt_kernelIiLi16ELi32ELi8ELc84ELc67ELc85ELb0ELb1E19rocblas_complex_numIdEPKS1_PKS3_PKPS1_EviT_T9_T10_S9_lSB_S9_lSA_T11_S9_li.num_named_barrier, 0
	.set _ZL29rocblas_internal_gemmt_kernelIiLi16ELi32ELi8ELc84ELc67ELc85ELb0ELb1E19rocblas_complex_numIdEPKS1_PKS3_PKPS1_EviT_T9_T10_S9_lSB_S9_lSA_T11_S9_li.private_seg_size, 0
	.set _ZL29rocblas_internal_gemmt_kernelIiLi16ELi32ELi8ELc84ELc67ELc85ELb0ELb1E19rocblas_complex_numIdEPKS1_PKS3_PKPS1_EviT_T9_T10_S9_lSB_S9_lSA_T11_S9_li.uses_vcc, 1
	.set _ZL29rocblas_internal_gemmt_kernelIiLi16ELi32ELi8ELc84ELc67ELc85ELb0ELb1E19rocblas_complex_numIdEPKS1_PKS3_PKPS1_EviT_T9_T10_S9_lSB_S9_lSA_T11_S9_li.uses_flat_scratch, 0
	.set _ZL29rocblas_internal_gemmt_kernelIiLi16ELi32ELi8ELc84ELc67ELc85ELb0ELb1E19rocblas_complex_numIdEPKS1_PKS3_PKPS1_EviT_T9_T10_S9_lSB_S9_lSA_T11_S9_li.has_dyn_sized_stack, 0
	.set _ZL29rocblas_internal_gemmt_kernelIiLi16ELi32ELi8ELc84ELc67ELc85ELb0ELb1E19rocblas_complex_numIdEPKS1_PKS3_PKPS1_EviT_T9_T10_S9_lSB_S9_lSA_T11_S9_li.has_recursion, 0
	.set _ZL29rocblas_internal_gemmt_kernelIiLi16ELi32ELi8ELc84ELc67ELc85ELb0ELb1E19rocblas_complex_numIdEPKS1_PKS3_PKPS1_EviT_T9_T10_S9_lSB_S9_lSA_T11_S9_li.has_indirect_call, 0
	.section	.AMDGPU.csdata,"",@progbits
; Kernel info:
; codeLenInByte = 3560
; TotalNumSgprs: 34
; NumVgprs: 127
; ScratchSize: 0
; MemoryBound: 1
; FloatMode: 240
; IeeeMode: 1
; LDSByteSize: 8192 bytes/workgroup (compile time only)
; SGPRBlocks: 0
; VGPRBlocks: 15
; NumSGPRsForWavesPerEU: 34
; NumVGPRsForWavesPerEU: 127
; Occupancy: 8
; WaveLimiterHint : 1
; COMPUTE_PGM_RSRC2:SCRATCH_EN: 0
; COMPUTE_PGM_RSRC2:USER_SGPR: 6
; COMPUTE_PGM_RSRC2:TRAP_HANDLER: 0
; COMPUTE_PGM_RSRC2:TGID_X_EN: 1
; COMPUTE_PGM_RSRC2:TGID_Y_EN: 1
; COMPUTE_PGM_RSRC2:TGID_Z_EN: 1
; COMPUTE_PGM_RSRC2:TIDIG_COMP_CNT: 1
	.section	.text._ZL29rocblas_internal_gemmt_kernelIiLi16ELi32ELi8ELc67ELc78ELc85ELb1ELb0E19rocblas_complex_numIdEPKS1_PKS3_PKPS1_EviT_T9_T10_S9_lSB_S9_lSA_T11_S9_li,"axG",@progbits,_ZL29rocblas_internal_gemmt_kernelIiLi16ELi32ELi8ELc67ELc78ELc85ELb1ELb0E19rocblas_complex_numIdEPKS1_PKS3_PKPS1_EviT_T9_T10_S9_lSB_S9_lSA_T11_S9_li,comdat
	.globl	_ZL29rocblas_internal_gemmt_kernelIiLi16ELi32ELi8ELc67ELc78ELc85ELb1ELb0E19rocblas_complex_numIdEPKS1_PKS3_PKPS1_EviT_T9_T10_S9_lSB_S9_lSA_T11_S9_li ; -- Begin function _ZL29rocblas_internal_gemmt_kernelIiLi16ELi32ELi8ELc67ELc78ELc85ELb1ELb0E19rocblas_complex_numIdEPKS1_PKS3_PKPS1_EviT_T9_T10_S9_lSB_S9_lSA_T11_S9_li
	.p2align	8
	.type	_ZL29rocblas_internal_gemmt_kernelIiLi16ELi32ELi8ELc67ELc78ELc85ELb1ELb0E19rocblas_complex_numIdEPKS1_PKS3_PKPS1_EviT_T9_T10_S9_lSB_S9_lSA_T11_S9_li,@function
_ZL29rocblas_internal_gemmt_kernelIiLi16ELi32ELi8ELc67ELc78ELc85ELb1ELb0E19rocblas_complex_numIdEPKS1_PKS3_PKPS1_EviT_T9_T10_S9_lSB_S9_lSA_T11_S9_li: ; @_ZL29rocblas_internal_gemmt_kernelIiLi16ELi32ELi8ELc67ELc78ELc85ELb1ELb0E19rocblas_complex_numIdEPKS1_PKS3_PKPS1_EviT_T9_T10_S9_lSB_S9_lSA_T11_S9_li
; %bb.0:
	s_load_dwordx4 s[20:23], s[4:5], 0x38
	s_waitcnt lgkmcnt(0)
	s_load_dwordx4 s[12:15], s[22:23], 0x0
	s_clause 0x1
	s_load_dwordx4 s[0:3], s[4:5], 0x8
	s_load_dwordx2 s[10:11], s[4:5], 0x0
	s_waitcnt lgkmcnt(0)
	s_load_dwordx4 s[16:19], s[0:1], 0x0
	v_cmp_eq_f64_e64 s9, s[12:13], 1.0
	v_cmp_eq_f64_e64 s30, s[14:15], 0
	s_and_b32 s0, s9, s30
	s_andn2_b32 vcc_lo, exec_lo, s0
	s_mov_b32 s0, -1
	s_cbranch_vccnz .LBB402_3
; %bb.1:
	s_cmp_lg_u32 s11, 0
	s_cbranch_scc0 .LBB402_29
; %bb.2:
	s_waitcnt lgkmcnt(0)
	v_cmp_neq_f64_e64 s0, s[16:17], 0
	v_cmp_neq_f64_e64 s1, s[18:19], 0
	s_or_b32 s0, s0, s1
.LBB402_3:
	s_and_b32 vcc_lo, exec_lo, s0
	s_cbranch_vccz .LBB402_30
; %bb.4:
	s_load_dwordx2 s[0:1], s[4:5], 0x48
	s_waitcnt lgkmcnt(0)
	v_cmp_eq_f64_e64 s24, s[16:17], 0
	v_cmp_eq_f64_e64 s25, s[18:19], 0
	s_mov_b32 s9, 0
	v_mov_b32_e32 v23, 0
	s_lshl_b64 s[28:29], s[8:9], 3
	v_mov_b32_e32 v25, 0
	v_mov_b32_e32 v19, 0
	;; [unrolled: 1-line block ×14, first 2 shown]
	s_add_u32 s0, s0, s28
	s_addc_u32 s1, s1, s29
	s_lshl_b32 s6, s6, 5
	s_load_dwordx2 s[22:23], s[0:1], 0x0
	s_lshl_b32 s7, s7, 5
	s_and_b32 s0, s24, s25
	s_cmp_lt_i32 s11, 1
	v_mov_b32_e32 v8, 0
	s_cselect_b32 s1, -1, 0
	s_or_b32 s0, s0, s1
	s_and_b32 vcc_lo, exec_lo, s0
	s_cbranch_vccnz .LBB402_13
; %bb.5:
	s_clause 0x2
	s_load_dword s1, s[4:5], 0x18
	s_load_dwordx4 s[24:27], s[4:5], 0x20
	s_load_dword s8, s[4:5], 0x30
	v_lshl_add_u32 v2, v1, 4, v0
	v_and_b32_e32 v27, 7, v0
	v_mov_b32_e32 v9, 0
	v_mov_b32_e32 v17, 0
	;; [unrolled: 1-line block ×3, first 2 shown]
	v_and_b32_e32 v3, 31, v2
	v_lshrrev_b32_e32 v4, 3, v2
	v_lshlrev_b32_e32 v6, 4, v27
	v_lshrrev_b32_e32 v30, 5, v2
	v_mov_b32_e32 v21, 0
	v_or_b32_e32 v2, s6, v3
	v_lshlrev_b32_e32 v5, 4, v3
	v_add_nc_u32_e32 v3, s6, v3
	v_add_nc_u32_e32 v7, s7, v4
	v_lshl_or_b32 v4, v4, 7, v6
	v_cmp_gt_i32_e32 vcc_lo, s10, v2
	v_lshl_or_b32 v31, v30, 9, v5
	s_waitcnt lgkmcnt(0)
	v_mad_i64_i32 v[2:3], null, s1, v3, 0
	s_add_u32 s26, s26, s28
	s_addc_u32 s27, s27, s29
	s_add_u32 s2, s2, s28
	v_add_nc_u32_e32 v32, 0x1000, v4
	v_mad_i64_i32 v[4:5], null, s8, v7, 0
	s_addc_u32 s3, s3, s29
	s_load_dwordx2 s[26:27], s[26:27], 0x0
	s_load_dwordx2 s[2:3], s[2:3], 0x0
	v_lshlrev_b64 v[2:3], 4, v[2:3]
	s_lshl_b64 s[24:25], s[24:25], 4
	v_cmp_gt_i32_e64 s0, s10, v7
	v_lshlrev_b64 v[4:5], 4, v[4:5]
	v_lshlrev_b32_e32 v7, 4, v30
	s_lshl_b64 s[20:21], s[20:21], 4
	v_add_co_u32 v2, s1, v2, s24
	v_add_co_ci_u32_e64 v3, null, s25, v3, s1
	v_add_co_u32 v4, s1, v4, s20
	v_add_co_ci_u32_e64 v5, null, s21, v5, s1
	;; [unrolled: 2-line block ×4, first 2 shown]
	s_waitcnt lgkmcnt(0)
	v_add_co_u32 v11, s1, s2, v2
	v_add_co_ci_u32_e64 v12, null, s3, v3, s1
	v_add_co_u32 v13, s1, s26, v4
	v_mov_b32_e32 v7, 0
	v_mov_b32_e32 v19, 0
	;; [unrolled: 1-line block ×4, first 2 shown]
	v_lshlrev_b32_e32 v28, 4, v0
	v_lshl_add_u32 v29, v1, 7, 0x1000
	v_add_co_ci_u32_e64 v14, null, s27, v5, s1
	v_mov_b32_e32 v8, 0
	v_mov_b32_e32 v10, 0
	;; [unrolled: 1-line block ×9, first 2 shown]
	s_xor_b32 s1, s0, -1
	s_branch .LBB402_7
.LBB402_6:                              ;   in Loop: Header=BB402_7 Depth=1
	s_or_b32 exec_lo, exec_lo, s0
	s_waitcnt lgkmcnt(0)
	s_barrier
	buffer_gl0_inv
	ds_read_b128 v[3:6], v29
	ds_read_b128 v[33:36], v28
	ds_read_b128 v[37:40], v28 offset:256
	ds_read_b128 v[41:44], v29 offset:2048
	;; [unrolled: 1-line block ×12, first 2 shown]
	v_add_co_u32 v11, s0, 0x80, v11
	v_add_co_ci_u32_e64 v12, null, 0, v12, s0
	v_add_co_u32 v13, s0, 0x80, v13
	v_add_co_ci_u32_e64 v14, null, 0, v14, s0
	s_waitcnt lgkmcnt(12)
	v_mul_f64 v[85:86], v[5:6], v[35:36]
	v_mul_f64 v[87:88], v[3:4], v[35:36]
	s_waitcnt lgkmcnt(11)
	v_mul_f64 v[89:90], v[5:6], v[39:40]
	v_mul_f64 v[91:92], v[3:4], v[39:40]
	;; [unrolled: 3-line block ×3, first 2 shown]
	v_mul_f64 v[95:96], v[43:44], v[39:40]
	v_mul_f64 v[39:40], v[41:42], v[39:40]
	s_waitcnt lgkmcnt(8)
	v_mul_f64 v[97:98], v[47:48], v[51:52]
	v_mul_f64 v[99:100], v[45:46], v[51:52]
	s_waitcnt lgkmcnt(7)
	;; [unrolled: 3-line block ×3, first 2 shown]
	v_mul_f64 v[105:106], v[59:60], v[51:52]
	v_mul_f64 v[51:52], v[57:58], v[51:52]
	;; [unrolled: 1-line block ×4, first 2 shown]
	s_waitcnt lgkmcnt(4)
	v_mul_f64 v[109:110], v[63:64], v[67:68]
	v_mul_f64 v[111:112], v[61:62], v[67:68]
	s_waitcnt lgkmcnt(3)
	v_mul_f64 v[113:114], v[63:64], v[71:72]
	v_mul_f64 v[115:116], v[61:62], v[71:72]
	;; [unrolled: 3-line block ×3, first 2 shown]
	v_fma_f64 v[85:86], v[3:4], v[33:34], -v[85:86]
	v_fma_f64 v[87:88], v[5:6], v[33:34], v[87:88]
	v_fma_f64 v[89:90], v[3:4], v[37:38], -v[89:90]
	v_fma_f64 v[91:92], v[5:6], v[37:38], v[91:92]
	;; [unrolled: 2-line block ×4, first 2 shown]
	v_mul_f64 v[123:124], v[75:76], v[71:72]
	v_mul_f64 v[71:72], v[73:74], v[71:72]
	v_fma_f64 v[97:98], v[45:46], v[49:50], -v[97:98]
	v_fma_f64 v[99:100], v[47:48], v[49:50], v[99:100]
	v_fma_f64 v[101:102], v[45:46], v[53:54], -v[101:102]
	v_fma_f64 v[103:104], v[47:48], v[53:54], v[103:104]
	;; [unrolled: 2-line block ×7, first 2 shown]
	v_add_f64 v[23:24], v[23:24], v[85:86]
	v_add_f64 v[25:26], v[87:88], v[25:26]
	;; [unrolled: 1-line block ×6, first 2 shown]
	v_fma_f64 v[73:74], v[73:74], v[69:70], -v[123:124]
	v_fma_f64 v[69:70], v[75:76], v[69:70], v[71:72]
	v_add_f64 v[71:72], v[15:16], v[93:94]
	v_add_f64 v[75:76], v[119:120], v[17:18]
	ds_read_b128 v[3:6], v28 offset:1536
	ds_read_b128 v[33:36], v28 offset:1792
	;; [unrolled: 1-line block ×7, first 2 shown]
	s_add_i32 s9, s9, 8
	s_cmp_lt_i32 s9, s11
	v_add_f64 v[97:98], v[23:24], v[97:98]
	v_add_f64 v[99:100], v[99:100], v[25:26]
	;; [unrolled: 1-line block ×6, first 2 shown]
	ds_read_b128 v[19:22], v28 offset:2560
	ds_read_b128 v[23:26], v28 offset:2816
	s_waitcnt lgkmcnt(8)
	v_mul_f64 v[109:110], v[79:80], v[5:6]
	v_mul_f64 v[111:112], v[77:78], v[5:6]
	s_waitcnt lgkmcnt(7)
	v_mul_f64 v[67:68], v[79:80], v[35:36]
	v_mul_f64 v[113:114], v[77:78], v[35:36]
	;; [unrolled: 1-line block ×6, first 2 shown]
	s_waitcnt lgkmcnt(4)
	v_mul_f64 v[95:96], v[39:40], v[47:48]
	v_add_f64 v[71:72], v[71:72], v[105:106]
	v_add_f64 v[75:76], v[125:126], v[75:76]
	v_mul_f64 v[93:94], v[37:38], v[43:44]
	ds_read_b128 v[5:8], v29 offset:80
	v_add_f64 v[55:56], v[97:98], v[55:56]
	v_add_f64 v[59:60], v[59:60], v[99:100]
	;; [unrolled: 1-line block ×6, first 2 shown]
	s_waitcnt lgkmcnt(2)
	v_mul_f64 v[99:100], v[17:18], v[21:22]
	s_waitcnt lgkmcnt(1)
	v_mul_f64 v[101:102], v[17:18], v[25:26]
	v_fma_f64 v[89:90], v[77:78], v[3:4], -v[109:110]
	v_fma_f64 v[91:92], v[79:80], v[3:4], v[111:112]
	v_fma_f64 v[67:68], v[77:78], v[33:34], -v[67:68]
	v_mul_f64 v[77:78], v[39:40], v[43:44]
	v_mul_f64 v[109:110], v[37:38], v[47:48]
	v_fma_f64 v[79:80], v[79:80], v[33:34], v[113:114]
	v_mul_f64 v[111:112], v[51:52], v[43:44]
	v_mul_f64 v[43:44], v[49:50], v[43:44]
	v_fma_f64 v[57:58], v[81:82], v[3:4], -v[115:116]
	v_fma_f64 v[3:4], v[83:84], v[3:4], v[117:118]
	v_fma_f64 v[81:82], v[81:82], v[33:34], -v[87:88]
	v_fma_f64 v[83:84], v[83:84], v[33:34], v[35:36]
	v_fma_f64 v[87:88], v[37:38], v[45:46], -v[95:96]
	v_mul_f64 v[95:96], v[51:52], v[47:48]
	v_mul_f64 v[47:48], v[49:50], v[47:48]
	v_add_f64 v[71:72], v[71:72], v[107:108]
	v_add_f64 v[65:66], v[65:66], v[75:76]
	v_fma_f64 v[85:86], v[39:40], v[41:42], v[93:94]
	s_waitcnt lgkmcnt(0)
	v_mul_f64 v[69:70], v[7:8], v[21:22]
	v_mul_f64 v[73:74], v[5:6], v[21:22]
	;; [unrolled: 1-line block ×6, first 2 shown]
	v_add_f64 v[55:56], v[55:56], v[89:90]
	v_fma_f64 v[77:78], v[37:38], v[41:42], -v[77:78]
	v_fma_f64 v[93:94], v[39:40], v[45:46], v[109:110]
	v_add_f64 v[59:60], v[91:92], v[59:60]
	v_fma_f64 v[105:106], v[49:50], v[41:42], -v[111:112]
	v_fma_f64 v[109:110], v[51:52], v[41:42], v[43:44]
	v_add_f64 v[61:62], v[61:62], v[67:68]
	v_add_f64 v[63:64], v[79:80], v[63:64]
	;; [unrolled: 1-line block ×4, first 2 shown]
	ds_read_b128 v[33:36], v29 offset:96
	ds_read_b128 v[37:40], v28 offset:3072
	v_fma_f64 v[49:50], v[49:50], v[45:46], -v[95:96]
	v_fma_f64 v[51:52], v[51:52], v[45:46], v[47:48]
	v_add_f64 v[57:58], v[71:72], v[57:58]
	v_add_f64 v[65:66], v[3:4], v[65:66]
	ds_read_b128 v[41:44], v28 offset:3328
	ds_read_b128 v[45:48], v29 offset:2144
	v_fma_f64 v[69:70], v[5:6], v[19:20], -v[69:70]
	v_fma_f64 v[71:72], v[7:8], v[19:20], v[73:74]
	v_fma_f64 v[73:74], v[5:6], v[23:24], -v[75:76]
	v_fma_f64 v[75:76], v[7:8], v[23:24], v[97:98]
	;; [unrolled: 2-line block ×4, first 2 shown]
	v_add_f64 v[55:56], v[55:56], v[77:78]
	v_add_f64 v[59:60], v[85:86], v[59:60]
	ds_read_b128 v[3:6], v29 offset:112
	ds_read_b128 v[7:10], v29 offset:2160
	v_add_f64 v[61:62], v[61:62], v[87:88]
	v_add_f64 v[63:64], v[93:94], v[63:64]
	s_waitcnt lgkmcnt(4)
	v_mul_f64 v[89:90], v[35:36], v[39:40]
	v_mul_f64 v[25:26], v[33:34], v[39:40]
	ds_read_b128 v[15:18], v28 offset:3584
	ds_read_b128 v[19:22], v28 offset:3840
	v_add_f64 v[49:50], v[67:68], v[49:50]
	s_waitcnt lgkmcnt(5)
	v_mul_f64 v[91:92], v[35:36], v[43:44]
	v_mul_f64 v[95:96], v[33:34], v[43:44]
	s_waitcnt lgkmcnt(4)
	v_mul_f64 v[97:98], v[47:48], v[39:40]
	v_mul_f64 v[39:40], v[45:46], v[39:40]
	v_add_f64 v[57:58], v[57:58], v[105:106]
	v_add_f64 v[65:66], v[109:110], v[65:66]
	;; [unrolled: 1-line block ×3, first 2 shown]
	v_mul_f64 v[53:54], v[47:48], v[43:44]
	v_mul_f64 v[43:44], v[45:46], v[43:44]
	s_waitcnt lgkmcnt(0)
	s_barrier
	buffer_gl0_inv
	v_fma_f64 v[67:68], v[33:34], v[37:38], -v[89:90]
	v_fma_f64 v[25:26], v[35:36], v[37:38], v[25:26]
	v_add_f64 v[49:50], v[49:50], v[83:84]
	v_fma_f64 v[33:34], v[33:34], v[41:42], -v[91:92]
	v_fma_f64 v[35:36], v[35:36], v[41:42], v[95:96]
	v_fma_f64 v[77:78], v[45:46], v[37:38], -v[97:98]
	v_fma_f64 v[37:38], v[47:48], v[37:38], v[39:40]
	v_add_f64 v[39:40], v[55:56], v[69:70]
	v_add_f64 v[55:56], v[71:72], v[59:60]
	v_add_f64 v[59:60], v[61:62], v[73:74]
	v_add_f64 v[61:62], v[75:76], v[63:64]
	v_add_f64 v[57:58], v[57:58], v[79:80]
	v_add_f64 v[63:64], v[81:82], v[65:66]
	v_add_f64 v[23:24], v[23:24], v[51:52]
	v_fma_f64 v[45:46], v[45:46], v[41:42], -v[53:54]
	v_fma_f64 v[41:42], v[47:48], v[41:42], v[43:44]
	v_mul_f64 v[43:44], v[5:6], v[17:18]
	v_mul_f64 v[47:48], v[3:4], v[17:18]
	;; [unrolled: 1-line block ×8, first 2 shown]
	v_add_f64 v[39:40], v[39:40], v[67:68]
	v_add_f64 v[25:26], v[25:26], v[55:56]
	;; [unrolled: 1-line block ×8, first 2 shown]
	v_fma_f64 v[23:24], v[3:4], v[15:16], -v[43:44]
	v_fma_f64 v[43:44], v[5:6], v[15:16], v[47:48]
	v_fma_f64 v[3:4], v[3:4], v[19:20], -v[51:52]
	v_fma_f64 v[5:6], v[5:6], v[19:20], v[53:54]
	;; [unrolled: 2-line block ×4, first 2 shown]
	v_add_f64 v[23:24], v[39:40], v[23:24]
	v_add_f64 v[25:26], v[43:44], v[25:26]
	;; [unrolled: 1-line block ×8, first 2 shown]
	s_cbranch_scc0 .LBB402_13
.LBB402_7:                              ; =>This Inner Loop Header: Depth=1
	v_add_nc_u32_e32 v3, s9, v30
	v_mov_b32_e32 v5, 0
	v_mov_b32_e32 v6, 0
	v_cmp_gt_i32_e64 s0, s11, v3
	v_mov_b32_e32 v3, 0
	v_mov_b32_e32 v4, 0
	s_and_b32 s2, vcc_lo, s0
	s_and_saveexec_b32 s0, s2
	s_cbranch_execz .LBB402_9
; %bb.8:                                ;   in Loop: Header=BB402_7 Depth=1
	flat_load_dwordx4 v[3:6], v[11:12]
	s_waitcnt vmcnt(0) lgkmcnt(0)
	v_xor_b32_e32 v6, 0x80000000, v6
.LBB402_9:                              ;   in Loop: Header=BB402_7 Depth=1
	s_or_b32 exec_lo, exec_lo, s0
	v_add_nc_u32_e32 v33, s9, v27
	ds_write_b128 v31, v[3:6]
	v_cmp_le_i32_e64 s0, s11, v33
	s_or_b32 s0, s0, s1
	s_and_saveexec_b32 s2, s0
	s_xor_b32 s0, exec_lo, s2
	s_cbranch_execz .LBB402_11
; %bb.10:                               ;   in Loop: Header=BB402_7 Depth=1
	v_mov_b32_e32 v3, v2
	v_mov_b32_e32 v4, v2
	;; [unrolled: 1-line block ×3, first 2 shown]
	ds_write_b128 v32, v[2:5]
.LBB402_11:                             ;   in Loop: Header=BB402_7 Depth=1
	s_andn2_saveexec_b32 s0, s0
	s_cbranch_execz .LBB402_6
; %bb.12:                               ;   in Loop: Header=BB402_7 Depth=1
	flat_load_dwordx4 v[3:6], v[13:14]
	s_waitcnt vmcnt(0) lgkmcnt(0)
	ds_write2_b64 v32, v[3:4], v[5:6] offset1:1
	s_branch .LBB402_6
.LBB402_13:
	s_clause 0x1
	s_load_dword s2, s[4:5], 0x50
	s_load_dwordx2 s[4:5], s[4:5], 0x58
	v_cmp_neq_f64_e64 s8, s[12:13], 0
	v_add_nc_u32_e32 v27, s7, v1
	v_add_nc_u32_e32 v4, s6, v0
	v_cmp_gt_i32_e64 s0, s10, v27
	v_cmp_le_i32_e32 vcc_lo, v4, v27
	v_ashrrev_i32_e32 v5, 31, v4
	s_waitcnt lgkmcnt(0)
	v_mad_i64_i32 v[1:2], null, v27, s2, 0
	s_lshl_b64 s[4:5], s[4:5], 4
	s_add_u32 s3, s22, s4
	s_addc_u32 s4, s23, s5
	s_xor_b32 s5, s30, -1
	s_and_b32 s6, s0, vcc_lo
	v_lshlrev_b64 v[0:1], 4, v[1:2]
	s_or_b32 s5, s8, s5
	v_cndmask_b32_e64 v6, 0, 1, s5
	v_add_co_u32 v13, s1, s3, v0
	v_add_co_ci_u32_e64 v14, null, s4, v1, s1
	s_and_saveexec_b32 s1, s6
	s_cbranch_execz .LBB402_17
; %bb.14:
	v_mul_f64 v[0:1], s[18:19], v[25:26]
	v_mul_f64 v[2:3], s[16:17], v[25:26]
	v_lshlrev_b64 v[11:12], 4, v[4:5]
	v_add_co_u32 v11, vcc_lo, v13, v11
	v_add_co_ci_u32_e64 v12, null, v14, v12, vcc_lo
	s_andn2_b32 vcc_lo, exec_lo, s5
	v_fma_f64 v[0:1], s[16:17], v[23:24], -v[0:1]
	v_fma_f64 v[2:3], s[18:19], v[23:24], v[2:3]
	s_cbranch_vccnz .LBB402_16
; %bb.15:
	flat_load_dwordx4 v[23:26], v[11:12]
	s_waitcnt vmcnt(0) lgkmcnt(0)
	v_mul_f64 v[28:29], s[14:15], v[25:26]
	v_mul_f64 v[25:26], s[12:13], v[25:26]
	v_fma_f64 v[28:29], s[12:13], v[23:24], -v[28:29]
	v_fma_f64 v[23:24], s[14:15], v[23:24], v[25:26]
	v_add_f64 v[0:1], v[0:1], v[28:29]
	v_add_f64 v[2:3], v[2:3], v[23:24]
.LBB402_16:
	flat_store_dwordx4 v[11:12], v[0:3]
.LBB402_17:
	s_or_b32 exec_lo, exec_lo, s1
	v_add_nc_u32_e32 v11, 16, v4
	v_cmp_le_i32_e32 vcc_lo, v11, v27
	v_ashrrev_i32_e32 v12, 31, v11
	s_and_b32 s0, s0, vcc_lo
	s_and_saveexec_b32 s1, s0
	s_cbranch_execz .LBB402_21
; %bb.18:
	v_mul_f64 v[0:1], s[18:19], v[21:22]
	v_mul_f64 v[2:3], s[16:17], v[21:22]
	v_cmp_ne_u32_e32 vcc_lo, 1, v6
	s_and_b32 vcc_lo, exec_lo, vcc_lo
	v_fma_f64 v[0:1], s[16:17], v[19:20], -v[0:1]
	v_fma_f64 v[2:3], s[18:19], v[19:20], v[2:3]
	v_lshlrev_b64 v[19:20], 4, v[11:12]
	v_add_co_u32 v13, s0, v13, v19
	v_add_co_ci_u32_e64 v14, null, v14, v20, s0
	s_cbranch_vccnz .LBB402_20
; %bb.19:
	flat_load_dwordx4 v[19:22], v[13:14]
	s_waitcnt vmcnt(0) lgkmcnt(0)
	v_mul_f64 v[23:24], s[14:15], v[21:22]
	v_mul_f64 v[21:22], s[12:13], v[21:22]
	v_fma_f64 v[23:24], s[12:13], v[19:20], -v[23:24]
	v_fma_f64 v[19:20], s[14:15], v[19:20], v[21:22]
	v_add_f64 v[0:1], v[0:1], v[23:24]
	v_add_f64 v[2:3], v[2:3], v[19:20]
.LBB402_20:
	flat_store_dwordx4 v[13:14], v[0:3]
.LBB402_21:
	s_or_b32 exec_lo, exec_lo, s1
	v_add_nc_u32_e32 v19, 16, v27
	v_mad_i64_i32 v[0:1], null, v19, s2, 0
	v_cmp_gt_i32_e64 s0, s10, v19
	v_cmp_le_i32_e32 vcc_lo, v4, v19
	v_lshlrev_b64 v[0:1], 4, v[0:1]
	v_add_co_u32 v13, s1, s3, v0
	v_add_co_ci_u32_e64 v14, null, s4, v1, s1
	s_and_b32 s1, s0, vcc_lo
	s_and_saveexec_b32 s2, s1
	s_cbranch_execz .LBB402_25
; %bb.22:
	v_mul_f64 v[0:1], s[18:19], v[17:18]
	v_mul_f64 v[2:3], s[16:17], v[17:18]
	v_lshlrev_b64 v[4:5], 4, v[4:5]
	v_cmp_ne_u32_e32 vcc_lo, 1, v6
	s_and_b32 vcc_lo, exec_lo, vcc_lo
	v_add_co_u32 v4, s1, v13, v4
	v_add_co_ci_u32_e64 v5, null, v14, v5, s1
	v_fma_f64 v[0:1], s[16:17], v[15:16], -v[0:1]
	v_fma_f64 v[2:3], s[18:19], v[15:16], v[2:3]
	s_cbranch_vccnz .LBB402_24
; %bb.23:
	flat_load_dwordx4 v[15:18], v[4:5]
	s_waitcnt vmcnt(0) lgkmcnt(0)
	v_mul_f64 v[20:21], s[14:15], v[17:18]
	v_mul_f64 v[17:18], s[12:13], v[17:18]
	v_fma_f64 v[20:21], s[12:13], v[15:16], -v[20:21]
	v_fma_f64 v[15:16], s[14:15], v[15:16], v[17:18]
	v_add_f64 v[0:1], v[0:1], v[20:21]
	v_add_f64 v[2:3], v[2:3], v[15:16]
.LBB402_24:
	flat_store_dwordx4 v[4:5], v[0:3]
.LBB402_25:
	s_or_b32 exec_lo, exec_lo, s2
	v_cmp_le_i32_e32 vcc_lo, v11, v19
	s_and_b32 s0, s0, vcc_lo
	s_and_saveexec_b32 s1, s0
	s_cbranch_execz .LBB402_30
; %bb.26:
	v_mul_f64 v[0:1], s[18:19], v[7:8]
	v_mul_f64 v[2:3], s[16:17], v[7:8]
	v_lshlrev_b64 v[4:5], 4, v[11:12]
	v_cmp_ne_u32_e32 vcc_lo, 1, v6
	s_and_b32 vcc_lo, exec_lo, vcc_lo
	v_add_co_u32 v4, s0, v13, v4
	v_add_co_ci_u32_e64 v5, null, v14, v5, s0
	v_fma_f64 v[0:1], s[16:17], v[9:10], -v[0:1]
	v_fma_f64 v[2:3], s[18:19], v[9:10], v[2:3]
	s_cbranch_vccnz .LBB402_28
; %bb.27:
	flat_load_dwordx4 v[6:9], v[4:5]
	s_waitcnt vmcnt(0) lgkmcnt(0)
	v_mul_f64 v[10:11], s[14:15], v[8:9]
	v_mul_f64 v[8:9], s[12:13], v[8:9]
	v_fma_f64 v[10:11], s[12:13], v[6:7], -v[10:11]
	v_fma_f64 v[6:7], s[14:15], v[6:7], v[8:9]
	v_add_f64 v[0:1], v[0:1], v[10:11]
	v_add_f64 v[2:3], v[2:3], v[6:7]
.LBB402_28:
	flat_store_dwordx4 v[4:5], v[0:3]
	s_endpgm
.LBB402_29:
.LBB402_30:
	s_endpgm
	.section	.rodata,"a",@progbits
	.p2align	6, 0x0
	.amdhsa_kernel _ZL29rocblas_internal_gemmt_kernelIiLi16ELi32ELi8ELc67ELc78ELc85ELb1ELb0E19rocblas_complex_numIdEPKS1_PKS3_PKPS1_EviT_T9_T10_S9_lSB_S9_lSA_T11_S9_li
		.amdhsa_group_segment_fixed_size 8192
		.amdhsa_private_segment_fixed_size 0
		.amdhsa_kernarg_size 100
		.amdhsa_user_sgpr_count 6
		.amdhsa_user_sgpr_private_segment_buffer 1
		.amdhsa_user_sgpr_dispatch_ptr 0
		.amdhsa_user_sgpr_queue_ptr 0
		.amdhsa_user_sgpr_kernarg_segment_ptr 1
		.amdhsa_user_sgpr_dispatch_id 0
		.amdhsa_user_sgpr_flat_scratch_init 0
		.amdhsa_user_sgpr_private_segment_size 0
		.amdhsa_wavefront_size32 1
		.amdhsa_uses_dynamic_stack 0
		.amdhsa_system_sgpr_private_segment_wavefront_offset 0
		.amdhsa_system_sgpr_workgroup_id_x 1
		.amdhsa_system_sgpr_workgroup_id_y 1
		.amdhsa_system_sgpr_workgroup_id_z 1
		.amdhsa_system_sgpr_workgroup_info 0
		.amdhsa_system_vgpr_workitem_id 1
		.amdhsa_next_free_vgpr 127
		.amdhsa_next_free_sgpr 31
		.amdhsa_reserve_vcc 1
		.amdhsa_reserve_flat_scratch 0
		.amdhsa_float_round_mode_32 0
		.amdhsa_float_round_mode_16_64 0
		.amdhsa_float_denorm_mode_32 3
		.amdhsa_float_denorm_mode_16_64 3
		.amdhsa_dx10_clamp 1
		.amdhsa_ieee_mode 1
		.amdhsa_fp16_overflow 0
		.amdhsa_workgroup_processor_mode 1
		.amdhsa_memory_ordered 1
		.amdhsa_forward_progress 1
		.amdhsa_shared_vgpr_count 0
		.amdhsa_exception_fp_ieee_invalid_op 0
		.amdhsa_exception_fp_denorm_src 0
		.amdhsa_exception_fp_ieee_div_zero 0
		.amdhsa_exception_fp_ieee_overflow 0
		.amdhsa_exception_fp_ieee_underflow 0
		.amdhsa_exception_fp_ieee_inexact 0
		.amdhsa_exception_int_div_zero 0
	.end_amdhsa_kernel
	.section	.text._ZL29rocblas_internal_gemmt_kernelIiLi16ELi32ELi8ELc67ELc78ELc85ELb1ELb0E19rocblas_complex_numIdEPKS1_PKS3_PKPS1_EviT_T9_T10_S9_lSB_S9_lSA_T11_S9_li,"axG",@progbits,_ZL29rocblas_internal_gemmt_kernelIiLi16ELi32ELi8ELc67ELc78ELc85ELb1ELb0E19rocblas_complex_numIdEPKS1_PKS3_PKPS1_EviT_T9_T10_S9_lSB_S9_lSA_T11_S9_li,comdat
.Lfunc_end402:
	.size	_ZL29rocblas_internal_gemmt_kernelIiLi16ELi32ELi8ELc67ELc78ELc85ELb1ELb0E19rocblas_complex_numIdEPKS1_PKS3_PKPS1_EviT_T9_T10_S9_lSB_S9_lSA_T11_S9_li, .Lfunc_end402-_ZL29rocblas_internal_gemmt_kernelIiLi16ELi32ELi8ELc67ELc78ELc85ELb1ELb0E19rocblas_complex_numIdEPKS1_PKS3_PKPS1_EviT_T9_T10_S9_lSB_S9_lSA_T11_S9_li
                                        ; -- End function
	.set _ZL29rocblas_internal_gemmt_kernelIiLi16ELi32ELi8ELc67ELc78ELc85ELb1ELb0E19rocblas_complex_numIdEPKS1_PKS3_PKPS1_EviT_T9_T10_S9_lSB_S9_lSA_T11_S9_li.num_vgpr, 127
	.set _ZL29rocblas_internal_gemmt_kernelIiLi16ELi32ELi8ELc67ELc78ELc85ELb1ELb0E19rocblas_complex_numIdEPKS1_PKS3_PKPS1_EviT_T9_T10_S9_lSB_S9_lSA_T11_S9_li.num_agpr, 0
	.set _ZL29rocblas_internal_gemmt_kernelIiLi16ELi32ELi8ELc67ELc78ELc85ELb1ELb0E19rocblas_complex_numIdEPKS1_PKS3_PKPS1_EviT_T9_T10_S9_lSB_S9_lSA_T11_S9_li.numbered_sgpr, 31
	.set _ZL29rocblas_internal_gemmt_kernelIiLi16ELi32ELi8ELc67ELc78ELc85ELb1ELb0E19rocblas_complex_numIdEPKS1_PKS3_PKPS1_EviT_T9_T10_S9_lSB_S9_lSA_T11_S9_li.num_named_barrier, 0
	.set _ZL29rocblas_internal_gemmt_kernelIiLi16ELi32ELi8ELc67ELc78ELc85ELb1ELb0E19rocblas_complex_numIdEPKS1_PKS3_PKPS1_EviT_T9_T10_S9_lSB_S9_lSA_T11_S9_li.private_seg_size, 0
	.set _ZL29rocblas_internal_gemmt_kernelIiLi16ELi32ELi8ELc67ELc78ELc85ELb1ELb0E19rocblas_complex_numIdEPKS1_PKS3_PKPS1_EviT_T9_T10_S9_lSB_S9_lSA_T11_S9_li.uses_vcc, 1
	.set _ZL29rocblas_internal_gemmt_kernelIiLi16ELi32ELi8ELc67ELc78ELc85ELb1ELb0E19rocblas_complex_numIdEPKS1_PKS3_PKPS1_EviT_T9_T10_S9_lSB_S9_lSA_T11_S9_li.uses_flat_scratch, 0
	.set _ZL29rocblas_internal_gemmt_kernelIiLi16ELi32ELi8ELc67ELc78ELc85ELb1ELb0E19rocblas_complex_numIdEPKS1_PKS3_PKPS1_EviT_T9_T10_S9_lSB_S9_lSA_T11_S9_li.has_dyn_sized_stack, 0
	.set _ZL29rocblas_internal_gemmt_kernelIiLi16ELi32ELi8ELc67ELc78ELc85ELb1ELb0E19rocblas_complex_numIdEPKS1_PKS3_PKPS1_EviT_T9_T10_S9_lSB_S9_lSA_T11_S9_li.has_recursion, 0
	.set _ZL29rocblas_internal_gemmt_kernelIiLi16ELi32ELi8ELc67ELc78ELc85ELb1ELb0E19rocblas_complex_numIdEPKS1_PKS3_PKPS1_EviT_T9_T10_S9_lSB_S9_lSA_T11_S9_li.has_indirect_call, 0
	.section	.AMDGPU.csdata,"",@progbits
; Kernel info:
; codeLenInByte = 3544
; TotalNumSgprs: 33
; NumVgprs: 127
; ScratchSize: 0
; MemoryBound: 1
; FloatMode: 240
; IeeeMode: 1
; LDSByteSize: 8192 bytes/workgroup (compile time only)
; SGPRBlocks: 0
; VGPRBlocks: 15
; NumSGPRsForWavesPerEU: 33
; NumVGPRsForWavesPerEU: 127
; Occupancy: 8
; WaveLimiterHint : 1
; COMPUTE_PGM_RSRC2:SCRATCH_EN: 0
; COMPUTE_PGM_RSRC2:USER_SGPR: 6
; COMPUTE_PGM_RSRC2:TRAP_HANDLER: 0
; COMPUTE_PGM_RSRC2:TGID_X_EN: 1
; COMPUTE_PGM_RSRC2:TGID_Y_EN: 1
; COMPUTE_PGM_RSRC2:TGID_Z_EN: 1
; COMPUTE_PGM_RSRC2:TIDIG_COMP_CNT: 1
	.section	.text._ZL29rocblas_internal_gemmt_kernelIiLi16ELi32ELi8ELc67ELc84ELc85ELb1ELb0E19rocblas_complex_numIdEPKS1_PKS3_PKPS1_EviT_T9_T10_S9_lSB_S9_lSA_T11_S9_li,"axG",@progbits,_ZL29rocblas_internal_gemmt_kernelIiLi16ELi32ELi8ELc67ELc84ELc85ELb1ELb0E19rocblas_complex_numIdEPKS1_PKS3_PKPS1_EviT_T9_T10_S9_lSB_S9_lSA_T11_S9_li,comdat
	.globl	_ZL29rocblas_internal_gemmt_kernelIiLi16ELi32ELi8ELc67ELc84ELc85ELb1ELb0E19rocblas_complex_numIdEPKS1_PKS3_PKPS1_EviT_T9_T10_S9_lSB_S9_lSA_T11_S9_li ; -- Begin function _ZL29rocblas_internal_gemmt_kernelIiLi16ELi32ELi8ELc67ELc84ELc85ELb1ELb0E19rocblas_complex_numIdEPKS1_PKS3_PKPS1_EviT_T9_T10_S9_lSB_S9_lSA_T11_S9_li
	.p2align	8
	.type	_ZL29rocblas_internal_gemmt_kernelIiLi16ELi32ELi8ELc67ELc84ELc85ELb1ELb0E19rocblas_complex_numIdEPKS1_PKS3_PKPS1_EviT_T9_T10_S9_lSB_S9_lSA_T11_S9_li,@function
_ZL29rocblas_internal_gemmt_kernelIiLi16ELi32ELi8ELc67ELc84ELc85ELb1ELb0E19rocblas_complex_numIdEPKS1_PKS3_PKPS1_EviT_T9_T10_S9_lSB_S9_lSA_T11_S9_li: ; @_ZL29rocblas_internal_gemmt_kernelIiLi16ELi32ELi8ELc67ELc84ELc85ELb1ELb0E19rocblas_complex_numIdEPKS1_PKS3_PKPS1_EviT_T9_T10_S9_lSB_S9_lSA_T11_S9_li
; %bb.0:
	s_load_dwordx4 s[20:23], s[4:5], 0x38
	s_waitcnt lgkmcnt(0)
	s_load_dwordx4 s[12:15], s[22:23], 0x0
	s_clause 0x1
	s_load_dwordx4 s[0:3], s[4:5], 0x8
	s_load_dwordx2 s[10:11], s[4:5], 0x0
	s_waitcnt lgkmcnt(0)
	s_load_dwordx4 s[16:19], s[0:1], 0x0
	v_cmp_eq_f64_e64 s9, s[12:13], 1.0
	v_cmp_eq_f64_e64 s28, s[14:15], 0
	s_and_b32 s0, s9, s28
	s_andn2_b32 vcc_lo, exec_lo, s0
	s_mov_b32 s0, -1
	s_cbranch_vccnz .LBB403_3
; %bb.1:
	s_cmp_lg_u32 s11, 0
	s_cbranch_scc0 .LBB403_29
; %bb.2:
	s_waitcnt lgkmcnt(0)
	v_cmp_neq_f64_e64 s0, s[16:17], 0
	v_cmp_neq_f64_e64 s1, s[18:19], 0
	s_or_b32 s0, s0, s1
.LBB403_3:
	s_and_b32 vcc_lo, exec_lo, s0
	s_cbranch_vccz .LBB403_30
; %bb.4:
	s_load_dwordx2 s[22:23], s[4:5], 0x48
	s_waitcnt lgkmcnt(0)
	v_cmp_eq_f64_e64 s24, s[16:17], 0
	v_cmp_eq_f64_e64 s25, s[18:19], 0
	s_mov_b32 s9, 0
	v_mov_b32_e32 v23, 0
	s_lshl_b64 s[0:1], s[8:9], 3
	v_mov_b32_e32 v25, 0
	v_mov_b32_e32 v19, 0
	v_mov_b32_e32 v21, 0
	v_mov_b32_e32 v15, 0
	v_mov_b32_e32 v17, 0
	v_mov_b32_e32 v9, 0
	v_mov_b32_e32 v7, 0
	v_mov_b32_e32 v24, 0
	v_mov_b32_e32 v26, 0
	v_mov_b32_e32 v20, 0
	v_mov_b32_e32 v22, 0
	v_mov_b32_e32 v16, 0
	v_mov_b32_e32 v18, 0
	v_mov_b32_e32 v10, 0
	s_add_u32 s22, s22, s0
	s_addc_u32 s23, s23, s1
	s_lshl_b32 s8, s6, 5
	s_load_dwordx2 s[22:23], s[22:23], 0x0
	s_lshl_b32 s29, s7, 5
	s_and_b32 s6, s24, s25
	s_cmp_lt_i32 s11, 1
	v_mov_b32_e32 v8, 0
	s_cselect_b32 s7, -1, 0
	s_or_b32 s6, s6, s7
	s_and_b32 vcc_lo, exec_lo, s6
	s_cbranch_vccnz .LBB403_13
; %bb.5:
	s_clause 0x2
	s_load_dword s6, s[4:5], 0x30
	s_load_dword s30, s[4:5], 0x18
	s_load_dwordx4 s[24:27], s[4:5], 0x20
	v_lshl_add_u32 v2, v1, 4, v0
	v_and_b32_e32 v27, 7, v0
	v_mov_b32_e32 v9, 0
	v_mov_b32_e32 v17, 0
	;; [unrolled: 1-line block ×3, first 2 shown]
	v_and_b32_e32 v3, 31, v2
	v_lshrrev_b32_e32 v4, 3, v2
	v_lshlrev_b32_e32 v5, 4, v27
	v_lshrrev_b32_e32 v28, 5, v2
	v_mov_b32_e32 v21, 0
	v_or_b32_e32 v6, s8, v3
	v_lshlrev_b32_e32 v7, 4, v3
	v_add_nc_u32_e32 v3, s8, v3
	v_add_nc_u32_e32 v2, s29, v4
	v_lshl_or_b32 v8, v4, 7, v5
	v_cmp_gt_i32_e32 vcc_lo, s10, v6
	v_lshl_or_b32 v29, v28, 9, v7
	s_waitcnt lgkmcnt(0)
	s_ashr_i32 s7, s6, 31
	v_mad_i64_i32 v[4:5], null, s30, v3, 0
	s_add_u32 s26, s26, s0
	s_addc_u32 s27, s27, s1
	v_mad_i64_i32 v[6:7], null, s6, v27, 0
	s_add_u32 s0, s2, s0
	s_addc_u32 s1, s3, s1
	s_load_dwordx2 s[2:3], s[26:27], 0x0
	s_load_dwordx2 s[26:27], s[0:1], 0x0
	v_lshlrev_b64 v[4:5], 4, v[4:5]
	v_ashrrev_i32_e32 v3, 31, v2
	s_lshl_b64 s[24:25], s[24:25], 4
	v_lshlrev_b64 v[6:7], 4, v[6:7]
	v_add_nc_u32_e32 v30, 0x1000, v8
	v_lshlrev_b32_e32 v8, 4, v28
	v_add_co_u32 v4, s1, v4, s24
	s_lshl_b64 s[20:21], s[20:21], 4
	v_cmp_gt_i32_e64 s0, s10, v2
	v_lshlrev_b64 v[2:3], 4, v[2:3]
	v_add_co_ci_u32_e64 v5, null, s25, v5, s1
	v_add_co_u32 v6, s1, v6, s20
	v_add_co_ci_u32_e64 v7, null, s21, v7, s1
	v_add_co_u32 v4, s1, v4, v8
	;; [unrolled: 2-line block ×3, first 2 shown]
	v_add_co_ci_u32_e64 v3, null, v7, v3, s1
	s_waitcnt lgkmcnt(0)
	v_add_co_u32 v11, s1, s26, v4
	v_add_co_ci_u32_e64 v12, null, s27, v5, s1
	v_add_co_u32 v13, s1, s2, v2
	v_mov_b32_e32 v7, 0
	v_mov_b32_e32 v19, 0
	;; [unrolled: 1-line block ×4, first 2 shown]
	v_lshlrev_b32_e32 v31, 4, v0
	v_lshl_add_u32 v32, v1, 7, 0x1000
	v_add_co_ci_u32_e64 v14, null, s3, v3, s1
	v_mov_b32_e32 v8, 0
	v_mov_b32_e32 v10, 0
	;; [unrolled: 1-line block ×9, first 2 shown]
	s_lshl_b64 s[2:3], s[6:7], 7
	s_xor_b32 s1, s0, -1
	s_branch .LBB403_7
.LBB403_6:                              ;   in Loop: Header=BB403_7 Depth=1
	s_or_b32 exec_lo, exec_lo, s0
	s_waitcnt lgkmcnt(0)
	s_barrier
	buffer_gl0_inv
	ds_read_b128 v[3:6], v32
	ds_read_b128 v[33:36], v31
	ds_read_b128 v[37:40], v31 offset:256
	ds_read_b128 v[41:44], v32 offset:2048
	;; [unrolled: 1-line block ×12, first 2 shown]
	v_add_co_u32 v11, s0, 0x80, v11
	v_add_co_ci_u32_e64 v12, null, 0, v12, s0
	v_add_co_u32 v13, s0, v13, s2
	v_add_co_ci_u32_e64 v14, null, s3, v14, s0
	s_waitcnt lgkmcnt(12)
	v_mul_f64 v[85:86], v[5:6], v[35:36]
	v_mul_f64 v[87:88], v[3:4], v[35:36]
	s_waitcnt lgkmcnt(11)
	v_mul_f64 v[89:90], v[5:6], v[39:40]
	v_mul_f64 v[91:92], v[3:4], v[39:40]
	;; [unrolled: 3-line block ×3, first 2 shown]
	v_mul_f64 v[95:96], v[43:44], v[39:40]
	v_mul_f64 v[39:40], v[41:42], v[39:40]
	s_waitcnt lgkmcnt(8)
	v_mul_f64 v[97:98], v[47:48], v[51:52]
	v_mul_f64 v[99:100], v[45:46], v[51:52]
	s_waitcnt lgkmcnt(7)
	;; [unrolled: 3-line block ×3, first 2 shown]
	v_mul_f64 v[105:106], v[59:60], v[51:52]
	v_mul_f64 v[51:52], v[57:58], v[51:52]
	;; [unrolled: 1-line block ×4, first 2 shown]
	s_waitcnt lgkmcnt(4)
	v_mul_f64 v[109:110], v[63:64], v[67:68]
	v_mul_f64 v[111:112], v[61:62], v[67:68]
	s_waitcnt lgkmcnt(3)
	v_mul_f64 v[113:114], v[63:64], v[71:72]
	v_mul_f64 v[115:116], v[61:62], v[71:72]
	;; [unrolled: 3-line block ×3, first 2 shown]
	v_fma_f64 v[85:86], v[3:4], v[33:34], -v[85:86]
	v_fma_f64 v[87:88], v[5:6], v[33:34], v[87:88]
	v_fma_f64 v[89:90], v[3:4], v[37:38], -v[89:90]
	v_fma_f64 v[91:92], v[5:6], v[37:38], v[91:92]
	;; [unrolled: 2-line block ×4, first 2 shown]
	v_mul_f64 v[123:124], v[75:76], v[71:72]
	v_mul_f64 v[71:72], v[73:74], v[71:72]
	v_fma_f64 v[97:98], v[45:46], v[49:50], -v[97:98]
	v_fma_f64 v[99:100], v[47:48], v[49:50], v[99:100]
	v_fma_f64 v[101:102], v[45:46], v[53:54], -v[101:102]
	v_fma_f64 v[103:104], v[47:48], v[53:54], v[103:104]
	;; [unrolled: 2-line block ×7, first 2 shown]
	v_add_f64 v[23:24], v[23:24], v[85:86]
	v_add_f64 v[25:26], v[87:88], v[25:26]
	;; [unrolled: 1-line block ×6, first 2 shown]
	v_fma_f64 v[73:74], v[73:74], v[69:70], -v[123:124]
	v_fma_f64 v[69:70], v[75:76], v[69:70], v[71:72]
	v_add_f64 v[71:72], v[15:16], v[93:94]
	v_add_f64 v[75:76], v[119:120], v[17:18]
	ds_read_b128 v[3:6], v31 offset:1536
	ds_read_b128 v[33:36], v31 offset:1792
	ds_read_b128 v[37:40], v32 offset:64
	ds_read_b128 v[41:44], v31 offset:2048
	ds_read_b128 v[45:48], v31 offset:2304
	ds_read_b128 v[49:52], v32 offset:2112
	ds_read_b128 v[15:18], v32 offset:2128
	s_add_i32 s9, s9, 8
	s_cmp_lt_i32 s9, s11
	v_add_f64 v[97:98], v[23:24], v[97:98]
	v_add_f64 v[99:100], v[99:100], v[25:26]
	;; [unrolled: 1-line block ×6, first 2 shown]
	ds_read_b128 v[19:22], v31 offset:2560
	ds_read_b128 v[23:26], v31 offset:2816
	s_waitcnt lgkmcnt(8)
	v_mul_f64 v[109:110], v[79:80], v[5:6]
	v_mul_f64 v[111:112], v[77:78], v[5:6]
	s_waitcnt lgkmcnt(7)
	v_mul_f64 v[67:68], v[79:80], v[35:36]
	v_mul_f64 v[113:114], v[77:78], v[35:36]
	;; [unrolled: 1-line block ×6, first 2 shown]
	s_waitcnt lgkmcnt(4)
	v_mul_f64 v[95:96], v[39:40], v[47:48]
	v_add_f64 v[71:72], v[71:72], v[105:106]
	v_add_f64 v[75:76], v[125:126], v[75:76]
	v_mul_f64 v[93:94], v[37:38], v[43:44]
	ds_read_b128 v[5:8], v32 offset:80
	v_add_f64 v[55:56], v[97:98], v[55:56]
	v_add_f64 v[59:60], v[59:60], v[99:100]
	v_add_f64 v[61:62], v[101:102], v[61:62]
	v_add_f64 v[63:64], v[63:64], v[103:104]
	v_add_f64 v[9:10], v[9:10], v[73:74]
	v_add_f64 v[53:54], v[69:70], v[53:54]
	s_waitcnt lgkmcnt(2)
	v_mul_f64 v[99:100], v[17:18], v[21:22]
	s_waitcnt lgkmcnt(1)
	v_mul_f64 v[101:102], v[17:18], v[25:26]
	v_fma_f64 v[89:90], v[77:78], v[3:4], -v[109:110]
	v_fma_f64 v[91:92], v[79:80], v[3:4], v[111:112]
	v_fma_f64 v[67:68], v[77:78], v[33:34], -v[67:68]
	v_mul_f64 v[77:78], v[39:40], v[43:44]
	v_mul_f64 v[109:110], v[37:38], v[47:48]
	v_fma_f64 v[79:80], v[79:80], v[33:34], v[113:114]
	v_mul_f64 v[111:112], v[51:52], v[43:44]
	v_mul_f64 v[43:44], v[49:50], v[43:44]
	v_fma_f64 v[57:58], v[81:82], v[3:4], -v[115:116]
	v_fma_f64 v[3:4], v[83:84], v[3:4], v[117:118]
	v_fma_f64 v[81:82], v[81:82], v[33:34], -v[87:88]
	v_fma_f64 v[83:84], v[83:84], v[33:34], v[35:36]
	v_fma_f64 v[87:88], v[37:38], v[45:46], -v[95:96]
	v_mul_f64 v[95:96], v[51:52], v[47:48]
	v_mul_f64 v[47:48], v[49:50], v[47:48]
	v_add_f64 v[71:72], v[71:72], v[107:108]
	v_add_f64 v[65:66], v[65:66], v[75:76]
	v_fma_f64 v[85:86], v[39:40], v[41:42], v[93:94]
	s_waitcnt lgkmcnt(0)
	v_mul_f64 v[69:70], v[7:8], v[21:22]
	v_mul_f64 v[73:74], v[5:6], v[21:22]
	;; [unrolled: 1-line block ×6, first 2 shown]
	v_add_f64 v[55:56], v[55:56], v[89:90]
	v_fma_f64 v[77:78], v[37:38], v[41:42], -v[77:78]
	v_fma_f64 v[93:94], v[39:40], v[45:46], v[109:110]
	v_add_f64 v[59:60], v[91:92], v[59:60]
	v_fma_f64 v[105:106], v[49:50], v[41:42], -v[111:112]
	v_fma_f64 v[109:110], v[51:52], v[41:42], v[43:44]
	v_add_f64 v[61:62], v[61:62], v[67:68]
	v_add_f64 v[63:64], v[79:80], v[63:64]
	;; [unrolled: 1-line block ×4, first 2 shown]
	ds_read_b128 v[33:36], v32 offset:96
	ds_read_b128 v[37:40], v31 offset:3072
	v_fma_f64 v[49:50], v[49:50], v[45:46], -v[95:96]
	v_fma_f64 v[51:52], v[51:52], v[45:46], v[47:48]
	v_add_f64 v[57:58], v[71:72], v[57:58]
	v_add_f64 v[65:66], v[3:4], v[65:66]
	ds_read_b128 v[41:44], v31 offset:3328
	ds_read_b128 v[45:48], v32 offset:2144
	v_fma_f64 v[69:70], v[5:6], v[19:20], -v[69:70]
	v_fma_f64 v[71:72], v[7:8], v[19:20], v[73:74]
	v_fma_f64 v[73:74], v[5:6], v[23:24], -v[75:76]
	v_fma_f64 v[75:76], v[7:8], v[23:24], v[97:98]
	;; [unrolled: 2-line block ×4, first 2 shown]
	v_add_f64 v[55:56], v[55:56], v[77:78]
	v_add_f64 v[59:60], v[85:86], v[59:60]
	ds_read_b128 v[3:6], v32 offset:112
	ds_read_b128 v[7:10], v32 offset:2160
	v_add_f64 v[61:62], v[61:62], v[87:88]
	v_add_f64 v[63:64], v[93:94], v[63:64]
	s_waitcnt lgkmcnt(4)
	v_mul_f64 v[89:90], v[35:36], v[39:40]
	v_mul_f64 v[25:26], v[33:34], v[39:40]
	ds_read_b128 v[15:18], v31 offset:3584
	ds_read_b128 v[19:22], v31 offset:3840
	v_add_f64 v[49:50], v[67:68], v[49:50]
	s_waitcnt lgkmcnt(5)
	v_mul_f64 v[91:92], v[35:36], v[43:44]
	v_mul_f64 v[95:96], v[33:34], v[43:44]
	s_waitcnt lgkmcnt(4)
	v_mul_f64 v[97:98], v[47:48], v[39:40]
	v_mul_f64 v[39:40], v[45:46], v[39:40]
	v_add_f64 v[57:58], v[57:58], v[105:106]
	v_add_f64 v[65:66], v[109:110], v[65:66]
	;; [unrolled: 1-line block ×3, first 2 shown]
	v_mul_f64 v[53:54], v[47:48], v[43:44]
	v_mul_f64 v[43:44], v[45:46], v[43:44]
	s_waitcnt lgkmcnt(0)
	s_barrier
	buffer_gl0_inv
	v_fma_f64 v[67:68], v[33:34], v[37:38], -v[89:90]
	v_fma_f64 v[25:26], v[35:36], v[37:38], v[25:26]
	v_add_f64 v[49:50], v[49:50], v[83:84]
	v_fma_f64 v[33:34], v[33:34], v[41:42], -v[91:92]
	v_fma_f64 v[35:36], v[35:36], v[41:42], v[95:96]
	v_fma_f64 v[77:78], v[45:46], v[37:38], -v[97:98]
	v_fma_f64 v[37:38], v[47:48], v[37:38], v[39:40]
	v_add_f64 v[39:40], v[55:56], v[69:70]
	v_add_f64 v[55:56], v[71:72], v[59:60]
	;; [unrolled: 1-line block ×7, first 2 shown]
	v_fma_f64 v[45:46], v[45:46], v[41:42], -v[53:54]
	v_fma_f64 v[41:42], v[47:48], v[41:42], v[43:44]
	v_mul_f64 v[43:44], v[5:6], v[17:18]
	v_mul_f64 v[47:48], v[3:4], v[17:18]
	v_mul_f64 v[51:52], v[5:6], v[21:22]
	v_mul_f64 v[53:54], v[3:4], v[21:22]
	v_mul_f64 v[65:66], v[9:10], v[17:18]
	v_mul_f64 v[17:18], v[7:8], v[17:18]
	v_mul_f64 v[69:70], v[9:10], v[21:22]
	v_mul_f64 v[21:22], v[7:8], v[21:22]
	v_add_f64 v[39:40], v[39:40], v[67:68]
	v_add_f64 v[25:26], v[25:26], v[55:56]
	;; [unrolled: 1-line block ×8, first 2 shown]
	v_fma_f64 v[23:24], v[3:4], v[15:16], -v[43:44]
	v_fma_f64 v[43:44], v[5:6], v[15:16], v[47:48]
	v_fma_f64 v[3:4], v[3:4], v[19:20], -v[51:52]
	v_fma_f64 v[5:6], v[5:6], v[19:20], v[53:54]
	;; [unrolled: 2-line block ×4, first 2 shown]
	v_add_f64 v[23:24], v[39:40], v[23:24]
	v_add_f64 v[25:26], v[43:44], v[25:26]
	;; [unrolled: 1-line block ×8, first 2 shown]
	s_cbranch_scc0 .LBB403_13
.LBB403_7:                              ; =>This Inner Loop Header: Depth=1
	v_add_nc_u32_e32 v3, s9, v28
	v_mov_b32_e32 v5, 0
	v_mov_b32_e32 v6, 0
	v_cmp_gt_i32_e64 s0, s11, v3
	v_mov_b32_e32 v3, 0
	v_mov_b32_e32 v4, 0
	s_and_b32 s6, vcc_lo, s0
	s_and_saveexec_b32 s0, s6
	s_cbranch_execz .LBB403_9
; %bb.8:                                ;   in Loop: Header=BB403_7 Depth=1
	flat_load_dwordx4 v[3:6], v[11:12]
	s_waitcnt vmcnt(0) lgkmcnt(0)
	v_xor_b32_e32 v6, 0x80000000, v6
.LBB403_9:                              ;   in Loop: Header=BB403_7 Depth=1
	s_or_b32 exec_lo, exec_lo, s0
	v_add_nc_u32_e32 v33, s9, v27
	ds_write_b128 v29, v[3:6]
	v_cmp_le_i32_e64 s0, s11, v33
	s_or_b32 s0, s0, s1
	s_and_saveexec_b32 s6, s0
	s_xor_b32 s0, exec_lo, s6
	s_cbranch_execz .LBB403_11
; %bb.10:                               ;   in Loop: Header=BB403_7 Depth=1
	v_mov_b32_e32 v3, v2
	v_mov_b32_e32 v4, v2
	;; [unrolled: 1-line block ×3, first 2 shown]
	ds_write_b128 v30, v[2:5]
.LBB403_11:                             ;   in Loop: Header=BB403_7 Depth=1
	s_andn2_saveexec_b32 s0, s0
	s_cbranch_execz .LBB403_6
; %bb.12:                               ;   in Loop: Header=BB403_7 Depth=1
	flat_load_dwordx4 v[3:6], v[13:14]
	s_waitcnt vmcnt(0) lgkmcnt(0)
	ds_write2_b64 v30, v[3:4], v[5:6] offset1:1
	s_branch .LBB403_6
.LBB403_13:
	s_clause 0x1
	s_load_dword s2, s[4:5], 0x50
	s_load_dwordx2 s[4:5], s[4:5], 0x58
	v_cmp_neq_f64_e64 s6, s[12:13], 0
	v_add_nc_u32_e32 v27, s29, v1
	v_add_nc_u32_e32 v4, s8, v0
	v_cmp_gt_i32_e64 s0, s10, v27
	v_cmp_le_i32_e32 vcc_lo, v4, v27
	v_ashrrev_i32_e32 v5, 31, v4
	s_waitcnt lgkmcnt(0)
	v_mad_i64_i32 v[1:2], null, v27, s2, 0
	s_lshl_b64 s[4:5], s[4:5], 4
	s_add_u32 s3, s22, s4
	s_addc_u32 s4, s23, s5
	s_xor_b32 s5, s28, -1
	s_or_b32 s5, s6, s5
	v_lshlrev_b64 v[0:1], 4, v[1:2]
	v_cndmask_b32_e64 v6, 0, 1, s5
	s_and_b32 s6, s0, vcc_lo
	v_add_co_u32 v13, s1, s3, v0
	v_add_co_ci_u32_e64 v14, null, s4, v1, s1
	s_and_saveexec_b32 s1, s6
	s_cbranch_execz .LBB403_17
; %bb.14:
	v_mul_f64 v[0:1], s[18:19], v[25:26]
	v_mul_f64 v[2:3], s[16:17], v[25:26]
	v_lshlrev_b64 v[11:12], 4, v[4:5]
	v_add_co_u32 v11, vcc_lo, v13, v11
	v_add_co_ci_u32_e64 v12, null, v14, v12, vcc_lo
	s_andn2_b32 vcc_lo, exec_lo, s5
	v_fma_f64 v[0:1], s[16:17], v[23:24], -v[0:1]
	v_fma_f64 v[2:3], s[18:19], v[23:24], v[2:3]
	s_cbranch_vccnz .LBB403_16
; %bb.15:
	flat_load_dwordx4 v[23:26], v[11:12]
	s_waitcnt vmcnt(0) lgkmcnt(0)
	v_mul_f64 v[28:29], s[14:15], v[25:26]
	v_mul_f64 v[25:26], s[12:13], v[25:26]
	v_fma_f64 v[28:29], s[12:13], v[23:24], -v[28:29]
	v_fma_f64 v[23:24], s[14:15], v[23:24], v[25:26]
	v_add_f64 v[0:1], v[0:1], v[28:29]
	v_add_f64 v[2:3], v[2:3], v[23:24]
.LBB403_16:
	flat_store_dwordx4 v[11:12], v[0:3]
.LBB403_17:
	s_or_b32 exec_lo, exec_lo, s1
	v_add_nc_u32_e32 v11, 16, v4
	v_cmp_le_i32_e32 vcc_lo, v11, v27
	v_ashrrev_i32_e32 v12, 31, v11
	s_and_b32 s0, s0, vcc_lo
	s_and_saveexec_b32 s1, s0
	s_cbranch_execz .LBB403_21
; %bb.18:
	v_mul_f64 v[0:1], s[18:19], v[21:22]
	v_mul_f64 v[2:3], s[16:17], v[21:22]
	v_cmp_ne_u32_e32 vcc_lo, 1, v6
	s_and_b32 vcc_lo, exec_lo, vcc_lo
	v_fma_f64 v[0:1], s[16:17], v[19:20], -v[0:1]
	v_fma_f64 v[2:3], s[18:19], v[19:20], v[2:3]
	v_lshlrev_b64 v[19:20], 4, v[11:12]
	v_add_co_u32 v13, s0, v13, v19
	v_add_co_ci_u32_e64 v14, null, v14, v20, s0
	s_cbranch_vccnz .LBB403_20
; %bb.19:
	flat_load_dwordx4 v[19:22], v[13:14]
	s_waitcnt vmcnt(0) lgkmcnt(0)
	v_mul_f64 v[23:24], s[14:15], v[21:22]
	v_mul_f64 v[21:22], s[12:13], v[21:22]
	v_fma_f64 v[23:24], s[12:13], v[19:20], -v[23:24]
	v_fma_f64 v[19:20], s[14:15], v[19:20], v[21:22]
	v_add_f64 v[0:1], v[0:1], v[23:24]
	v_add_f64 v[2:3], v[2:3], v[19:20]
.LBB403_20:
	flat_store_dwordx4 v[13:14], v[0:3]
.LBB403_21:
	s_or_b32 exec_lo, exec_lo, s1
	v_add_nc_u32_e32 v19, 16, v27
	v_mad_i64_i32 v[0:1], null, v19, s2, 0
	v_cmp_gt_i32_e64 s0, s10, v19
	v_cmp_le_i32_e32 vcc_lo, v4, v19
	v_lshlrev_b64 v[0:1], 4, v[0:1]
	v_add_co_u32 v13, s1, s3, v0
	v_add_co_ci_u32_e64 v14, null, s4, v1, s1
	s_and_b32 s1, s0, vcc_lo
	s_and_saveexec_b32 s2, s1
	s_cbranch_execz .LBB403_25
; %bb.22:
	v_mul_f64 v[0:1], s[18:19], v[17:18]
	v_mul_f64 v[2:3], s[16:17], v[17:18]
	v_lshlrev_b64 v[4:5], 4, v[4:5]
	v_cmp_ne_u32_e32 vcc_lo, 1, v6
	s_and_b32 vcc_lo, exec_lo, vcc_lo
	v_add_co_u32 v4, s1, v13, v4
	v_add_co_ci_u32_e64 v5, null, v14, v5, s1
	v_fma_f64 v[0:1], s[16:17], v[15:16], -v[0:1]
	v_fma_f64 v[2:3], s[18:19], v[15:16], v[2:3]
	s_cbranch_vccnz .LBB403_24
; %bb.23:
	flat_load_dwordx4 v[15:18], v[4:5]
	s_waitcnt vmcnt(0) lgkmcnt(0)
	v_mul_f64 v[20:21], s[14:15], v[17:18]
	v_mul_f64 v[17:18], s[12:13], v[17:18]
	v_fma_f64 v[20:21], s[12:13], v[15:16], -v[20:21]
	v_fma_f64 v[15:16], s[14:15], v[15:16], v[17:18]
	v_add_f64 v[0:1], v[0:1], v[20:21]
	v_add_f64 v[2:3], v[2:3], v[15:16]
.LBB403_24:
	flat_store_dwordx4 v[4:5], v[0:3]
.LBB403_25:
	s_or_b32 exec_lo, exec_lo, s2
	v_cmp_le_i32_e32 vcc_lo, v11, v19
	s_and_b32 s0, s0, vcc_lo
	s_and_saveexec_b32 s1, s0
	s_cbranch_execz .LBB403_30
; %bb.26:
	v_mul_f64 v[0:1], s[18:19], v[7:8]
	v_mul_f64 v[2:3], s[16:17], v[7:8]
	v_lshlrev_b64 v[4:5], 4, v[11:12]
	v_cmp_ne_u32_e32 vcc_lo, 1, v6
	s_and_b32 vcc_lo, exec_lo, vcc_lo
	v_add_co_u32 v4, s0, v13, v4
	v_add_co_ci_u32_e64 v5, null, v14, v5, s0
	v_fma_f64 v[0:1], s[16:17], v[9:10], -v[0:1]
	v_fma_f64 v[2:3], s[18:19], v[9:10], v[2:3]
	s_cbranch_vccnz .LBB403_28
; %bb.27:
	flat_load_dwordx4 v[6:9], v[4:5]
	s_waitcnt vmcnt(0) lgkmcnt(0)
	v_mul_f64 v[10:11], s[14:15], v[8:9]
	v_mul_f64 v[8:9], s[12:13], v[8:9]
	v_fma_f64 v[10:11], s[12:13], v[6:7], -v[10:11]
	v_fma_f64 v[6:7], s[14:15], v[6:7], v[8:9]
	v_add_f64 v[0:1], v[0:1], v[10:11]
	v_add_f64 v[2:3], v[2:3], v[6:7]
.LBB403_28:
	flat_store_dwordx4 v[4:5], v[0:3]
	s_endpgm
.LBB403_29:
.LBB403_30:
	s_endpgm
	.section	.rodata,"a",@progbits
	.p2align	6, 0x0
	.amdhsa_kernel _ZL29rocblas_internal_gemmt_kernelIiLi16ELi32ELi8ELc67ELc84ELc85ELb1ELb0E19rocblas_complex_numIdEPKS1_PKS3_PKPS1_EviT_T9_T10_S9_lSB_S9_lSA_T11_S9_li
		.amdhsa_group_segment_fixed_size 8192
		.amdhsa_private_segment_fixed_size 0
		.amdhsa_kernarg_size 100
		.amdhsa_user_sgpr_count 6
		.amdhsa_user_sgpr_private_segment_buffer 1
		.amdhsa_user_sgpr_dispatch_ptr 0
		.amdhsa_user_sgpr_queue_ptr 0
		.amdhsa_user_sgpr_kernarg_segment_ptr 1
		.amdhsa_user_sgpr_dispatch_id 0
		.amdhsa_user_sgpr_flat_scratch_init 0
		.amdhsa_user_sgpr_private_segment_size 0
		.amdhsa_wavefront_size32 1
		.amdhsa_uses_dynamic_stack 0
		.amdhsa_system_sgpr_private_segment_wavefront_offset 0
		.amdhsa_system_sgpr_workgroup_id_x 1
		.amdhsa_system_sgpr_workgroup_id_y 1
		.amdhsa_system_sgpr_workgroup_id_z 1
		.amdhsa_system_sgpr_workgroup_info 0
		.amdhsa_system_vgpr_workitem_id 1
		.amdhsa_next_free_vgpr 127
		.amdhsa_next_free_sgpr 31
		.amdhsa_reserve_vcc 1
		.amdhsa_reserve_flat_scratch 0
		.amdhsa_float_round_mode_32 0
		.amdhsa_float_round_mode_16_64 0
		.amdhsa_float_denorm_mode_32 3
		.amdhsa_float_denorm_mode_16_64 3
		.amdhsa_dx10_clamp 1
		.amdhsa_ieee_mode 1
		.amdhsa_fp16_overflow 0
		.amdhsa_workgroup_processor_mode 1
		.amdhsa_memory_ordered 1
		.amdhsa_forward_progress 1
		.amdhsa_shared_vgpr_count 0
		.amdhsa_exception_fp_ieee_invalid_op 0
		.amdhsa_exception_fp_denorm_src 0
		.amdhsa_exception_fp_ieee_div_zero 0
		.amdhsa_exception_fp_ieee_overflow 0
		.amdhsa_exception_fp_ieee_underflow 0
		.amdhsa_exception_fp_ieee_inexact 0
		.amdhsa_exception_int_div_zero 0
	.end_amdhsa_kernel
	.section	.text._ZL29rocblas_internal_gemmt_kernelIiLi16ELi32ELi8ELc67ELc84ELc85ELb1ELb0E19rocblas_complex_numIdEPKS1_PKS3_PKPS1_EviT_T9_T10_S9_lSB_S9_lSA_T11_S9_li,"axG",@progbits,_ZL29rocblas_internal_gemmt_kernelIiLi16ELi32ELi8ELc67ELc84ELc85ELb1ELb0E19rocblas_complex_numIdEPKS1_PKS3_PKPS1_EviT_T9_T10_S9_lSB_S9_lSA_T11_S9_li,comdat
.Lfunc_end403:
	.size	_ZL29rocblas_internal_gemmt_kernelIiLi16ELi32ELi8ELc67ELc84ELc85ELb1ELb0E19rocblas_complex_numIdEPKS1_PKS3_PKPS1_EviT_T9_T10_S9_lSB_S9_lSA_T11_S9_li, .Lfunc_end403-_ZL29rocblas_internal_gemmt_kernelIiLi16ELi32ELi8ELc67ELc84ELc85ELb1ELb0E19rocblas_complex_numIdEPKS1_PKS3_PKPS1_EviT_T9_T10_S9_lSB_S9_lSA_T11_S9_li
                                        ; -- End function
	.set _ZL29rocblas_internal_gemmt_kernelIiLi16ELi32ELi8ELc67ELc84ELc85ELb1ELb0E19rocblas_complex_numIdEPKS1_PKS3_PKPS1_EviT_T9_T10_S9_lSB_S9_lSA_T11_S9_li.num_vgpr, 127
	.set _ZL29rocblas_internal_gemmt_kernelIiLi16ELi32ELi8ELc67ELc84ELc85ELb1ELb0E19rocblas_complex_numIdEPKS1_PKS3_PKPS1_EviT_T9_T10_S9_lSB_S9_lSA_T11_S9_li.num_agpr, 0
	.set _ZL29rocblas_internal_gemmt_kernelIiLi16ELi32ELi8ELc67ELc84ELc85ELb1ELb0E19rocblas_complex_numIdEPKS1_PKS3_PKPS1_EviT_T9_T10_S9_lSB_S9_lSA_T11_S9_li.numbered_sgpr, 31
	.set _ZL29rocblas_internal_gemmt_kernelIiLi16ELi32ELi8ELc67ELc84ELc85ELb1ELb0E19rocblas_complex_numIdEPKS1_PKS3_PKPS1_EviT_T9_T10_S9_lSB_S9_lSA_T11_S9_li.num_named_barrier, 0
	.set _ZL29rocblas_internal_gemmt_kernelIiLi16ELi32ELi8ELc67ELc84ELc85ELb1ELb0E19rocblas_complex_numIdEPKS1_PKS3_PKPS1_EviT_T9_T10_S9_lSB_S9_lSA_T11_S9_li.private_seg_size, 0
	.set _ZL29rocblas_internal_gemmt_kernelIiLi16ELi32ELi8ELc67ELc84ELc85ELb1ELb0E19rocblas_complex_numIdEPKS1_PKS3_PKPS1_EviT_T9_T10_S9_lSB_S9_lSA_T11_S9_li.uses_vcc, 1
	.set _ZL29rocblas_internal_gemmt_kernelIiLi16ELi32ELi8ELc67ELc84ELc85ELb1ELb0E19rocblas_complex_numIdEPKS1_PKS3_PKPS1_EviT_T9_T10_S9_lSB_S9_lSA_T11_S9_li.uses_flat_scratch, 0
	.set _ZL29rocblas_internal_gemmt_kernelIiLi16ELi32ELi8ELc67ELc84ELc85ELb1ELb0E19rocblas_complex_numIdEPKS1_PKS3_PKPS1_EviT_T9_T10_S9_lSB_S9_lSA_T11_S9_li.has_dyn_sized_stack, 0
	.set _ZL29rocblas_internal_gemmt_kernelIiLi16ELi32ELi8ELc67ELc84ELc85ELb1ELb0E19rocblas_complex_numIdEPKS1_PKS3_PKPS1_EviT_T9_T10_S9_lSB_S9_lSA_T11_S9_li.has_recursion, 0
	.set _ZL29rocblas_internal_gemmt_kernelIiLi16ELi32ELi8ELc67ELc84ELc85ELb1ELb0E19rocblas_complex_numIdEPKS1_PKS3_PKPS1_EviT_T9_T10_S9_lSB_S9_lSA_T11_S9_li.has_indirect_call, 0
	.section	.AMDGPU.csdata,"",@progbits
; Kernel info:
; codeLenInByte = 3560
; TotalNumSgprs: 33
; NumVgprs: 127
; ScratchSize: 0
; MemoryBound: 1
; FloatMode: 240
; IeeeMode: 1
; LDSByteSize: 8192 bytes/workgroup (compile time only)
; SGPRBlocks: 0
; VGPRBlocks: 15
; NumSGPRsForWavesPerEU: 33
; NumVGPRsForWavesPerEU: 127
; Occupancy: 8
; WaveLimiterHint : 1
; COMPUTE_PGM_RSRC2:SCRATCH_EN: 0
; COMPUTE_PGM_RSRC2:USER_SGPR: 6
; COMPUTE_PGM_RSRC2:TRAP_HANDLER: 0
; COMPUTE_PGM_RSRC2:TGID_X_EN: 1
; COMPUTE_PGM_RSRC2:TGID_Y_EN: 1
; COMPUTE_PGM_RSRC2:TGID_Z_EN: 1
; COMPUTE_PGM_RSRC2:TIDIG_COMP_CNT: 1
	.section	.text._ZL29rocblas_internal_gemmt_kernelIiLi16ELi32ELi8ELc67ELc67ELc85ELb1ELb1E19rocblas_complex_numIdEPKS1_PKS3_PKPS1_EviT_T9_T10_S9_lSB_S9_lSA_T11_S9_li,"axG",@progbits,_ZL29rocblas_internal_gemmt_kernelIiLi16ELi32ELi8ELc67ELc67ELc85ELb1ELb1E19rocblas_complex_numIdEPKS1_PKS3_PKPS1_EviT_T9_T10_S9_lSB_S9_lSA_T11_S9_li,comdat
	.globl	_ZL29rocblas_internal_gemmt_kernelIiLi16ELi32ELi8ELc67ELc67ELc85ELb1ELb1E19rocblas_complex_numIdEPKS1_PKS3_PKPS1_EviT_T9_T10_S9_lSB_S9_lSA_T11_S9_li ; -- Begin function _ZL29rocblas_internal_gemmt_kernelIiLi16ELi32ELi8ELc67ELc67ELc85ELb1ELb1E19rocblas_complex_numIdEPKS1_PKS3_PKPS1_EviT_T9_T10_S9_lSB_S9_lSA_T11_S9_li
	.p2align	8
	.type	_ZL29rocblas_internal_gemmt_kernelIiLi16ELi32ELi8ELc67ELc67ELc85ELb1ELb1E19rocblas_complex_numIdEPKS1_PKS3_PKPS1_EviT_T9_T10_S9_lSB_S9_lSA_T11_S9_li,@function
_ZL29rocblas_internal_gemmt_kernelIiLi16ELi32ELi8ELc67ELc67ELc85ELb1ELb1E19rocblas_complex_numIdEPKS1_PKS3_PKPS1_EviT_T9_T10_S9_lSB_S9_lSA_T11_S9_li: ; @_ZL29rocblas_internal_gemmt_kernelIiLi16ELi32ELi8ELc67ELc67ELc85ELb1ELb1E19rocblas_complex_numIdEPKS1_PKS3_PKPS1_EviT_T9_T10_S9_lSB_S9_lSA_T11_S9_li
; %bb.0:
	s_load_dwordx4 s[20:23], s[4:5], 0x38
	s_waitcnt lgkmcnt(0)
	s_load_dwordx4 s[12:15], s[22:23], 0x0
	s_clause 0x1
	s_load_dwordx4 s[0:3], s[4:5], 0x8
	s_load_dwordx2 s[10:11], s[4:5], 0x0
	s_waitcnt lgkmcnt(0)
	s_load_dwordx4 s[16:19], s[0:1], 0x0
	v_cmp_eq_f64_e64 s9, s[12:13], 1.0
	v_cmp_eq_f64_e64 s30, s[14:15], 0
	s_and_b32 s0, s9, s30
	s_andn2_b32 vcc_lo, exec_lo, s0
	s_mov_b32 s0, -1
	s_cbranch_vccnz .LBB404_3
; %bb.1:
	s_cmp_lg_u32 s11, 0
	s_cbranch_scc0 .LBB404_27
; %bb.2:
	s_waitcnt lgkmcnt(0)
	v_cmp_neq_f64_e64 s0, s[16:17], 0
	v_cmp_neq_f64_e64 s1, s[18:19], 0
	s_or_b32 s0, s0, s1
.LBB404_3:
	s_and_b32 vcc_lo, exec_lo, s0
	s_cbranch_vccz .LBB404_28
; %bb.4:
	s_load_dwordx2 s[0:1], s[4:5], 0x48
	s_waitcnt lgkmcnt(0)
	v_cmp_eq_f64_e64 s24, s[16:17], 0
	v_cmp_eq_f64_e64 s25, s[18:19], 0
	s_mov_b32 s9, 0
	v_mov_b32_e32 v26, 0
	s_lshl_b64 s[28:29], s[8:9], 3
	v_mov_b32_e32 v28, 0
	v_mov_b32_e32 v22, 0
	;; [unrolled: 1-line block ×14, first 2 shown]
	s_add_u32 s0, s0, s28
	s_addc_u32 s1, s1, s29
	s_lshl_b32 s8, s6, 5
	s_load_dwordx2 s[22:23], s[0:1], 0x0
	s_lshl_b32 s31, s7, 5
	s_and_b32 s0, s24, s25
	s_cmp_lt_i32 s11, 1
	v_mov_b32_e32 v11, 0
	s_cselect_b32 s1, -1, 0
	s_or_b32 s0, s0, s1
	s_and_b32 vcc_lo, exec_lo, s0
	s_cbranch_vccnz .LBB404_11
; %bb.5:
	s_clause 0x2
	s_load_dword s6, s[4:5], 0x30
	s_load_dword s1, s[4:5], 0x18
	s_load_dwordx4 s[24:27], s[4:5], 0x20
	v_lshl_add_u32 v2, v1, 4, v0
	v_and_b32_e32 v30, 7, v0
	v_mov_b32_e32 v12, 0
	v_mov_b32_e32 v20, 0
	;; [unrolled: 1-line block ×3, first 2 shown]
	v_and_b32_e32 v3, 31, v2
	v_lshrrev_b32_e32 v4, 3, v2
	v_lshlrev_b32_e32 v5, 4, v30
	v_lshrrev_b32_e32 v31, 5, v2
	v_mov_b32_e32 v24, 0
	v_or_b32_e32 v6, s8, v3
	v_lshlrev_b32_e32 v7, 4, v3
	v_add_nc_u32_e32 v2, s31, v4
	v_lshl_or_b32 v4, v4, 7, v5
	v_add_nc_u32_e32 v3, s8, v3
	v_cmp_gt_i32_e32 vcc_lo, s10, v6
	v_lshl_or_b32 v32, v31, 9, v7
	v_lshlrev_b32_e32 v8, 4, v31
	v_add_nc_u32_e32 v33, 0x1000, v4
	s_waitcnt lgkmcnt(0)
	s_ashr_i32 s7, s6, 31
	v_mad_i64_i32 v[4:5], null, s1, v3, 0
	s_add_u32 s26, s26, s28
	s_addc_u32 s27, s27, s29
	s_add_u32 s2, s2, s28
	s_addc_u32 s3, s3, s29
	s_load_dwordx2 s[26:27], s[26:27], 0x0
	s_load_dwordx2 s[2:3], s[2:3], 0x0
	v_mad_i64_i32 v[6:7], null, s6, v30, 0
	v_lshlrev_b64 v[4:5], 4, v[4:5]
	s_lshl_b64 s[24:25], s[24:25], 4
	v_ashrrev_i32_e32 v3, 31, v2
	s_lshl_b64 s[20:21], s[20:21], 4
	v_cmp_gt_i32_e64 s0, s10, v2
	v_mov_b32_e32 v22, 0
	v_add_co_u32 v9, s1, v4, s24
	v_add_co_ci_u32_e64 v10, null, s25, v5, s1
	v_lshlrev_b64 v[4:5], 4, v[6:7]
	v_add_co_u32 v6, s1, v9, v8
	v_lshlrev_b64 v[2:3], 4, v[2:3]
	v_add_co_ci_u32_e64 v7, null, 0, v10, s1
	v_add_co_u32 v4, s1, v4, s20
	v_add_co_ci_u32_e64 v5, null, s21, v5, s1
	s_waitcnt lgkmcnt(0)
	v_add_co_u32 v14, s1, s2, v6
	v_add_co_ci_u32_e64 v15, null, s3, v7, s1
	v_add_co_u32 v2, s1, v4, v2
	v_add_co_ci_u32_e64 v3, null, v5, v3, s1
	v_mov_b32_e32 v10, 0
	v_add_co_u32 v18, s1, s26, v2
	v_mov_b32_e32 v28, 0
	v_mov_b32_e32 v26, 0
	v_lshlrev_b32_e32 v34, 4, v0
	v_lshl_add_u32 v35, v1, 7, 0x1000
	v_mov_b32_e32 v11, 0
	v_mov_b32_e32 v13, 0
	;; [unrolled: 1-line block ×8, first 2 shown]
	v_add_co_ci_u32_e64 v19, null, s27, v3, s1
	s_lshl_b64 s[2:3], s[6:7], 7
	s_branch .LBB404_7
.LBB404_6:                              ;   in Loop: Header=BB404_7 Depth=1
	s_or_b32 exec_lo, exec_lo, s1
	ds_write_b128 v33, v[6:9]
	s_waitcnt lgkmcnt(0)
	s_barrier
	buffer_gl0_inv
	ds_read_b128 v[2:5], v35
	ds_read_b128 v[6:9], v34
	ds_read_b128 v[36:39], v34 offset:256
	ds_read_b128 v[40:43], v35 offset:2048
	;; [unrolled: 1-line block ×12, first 2 shown]
	v_add_co_u32 v14, s1, 0x80, v14
	v_add_co_ci_u32_e64 v15, null, 0, v15, s1
	v_add_co_u32 v18, s1, v18, s2
	v_add_co_ci_u32_e64 v19, null, s3, v19, s1
	s_waitcnt lgkmcnt(12)
	v_mul_f64 v[84:85], v[4:5], v[8:9]
	v_mul_f64 v[86:87], v[2:3], v[8:9]
	s_waitcnt lgkmcnt(11)
	v_mul_f64 v[88:89], v[4:5], v[38:39]
	v_mul_f64 v[90:91], v[2:3], v[38:39]
	;; [unrolled: 3-line block ×3, first 2 shown]
	v_mul_f64 v[94:95], v[42:43], v[38:39]
	v_mul_f64 v[38:39], v[40:41], v[38:39]
	s_waitcnt lgkmcnt(8)
	v_mul_f64 v[96:97], v[46:47], v[50:51]
	v_mul_f64 v[98:99], v[44:45], v[50:51]
	s_waitcnt lgkmcnt(7)
	;; [unrolled: 3-line block ×3, first 2 shown]
	v_mul_f64 v[104:105], v[58:59], v[50:51]
	v_mul_f64 v[50:51], v[56:57], v[50:51]
	;; [unrolled: 1-line block ×4, first 2 shown]
	s_waitcnt lgkmcnt(4)
	v_mul_f64 v[108:109], v[62:63], v[66:67]
	v_mul_f64 v[110:111], v[60:61], v[66:67]
	s_waitcnt lgkmcnt(3)
	v_mul_f64 v[112:113], v[62:63], v[70:71]
	v_mul_f64 v[114:115], v[60:61], v[70:71]
	s_waitcnt lgkmcnt(2)
	v_mul_f64 v[116:117], v[74:75], v[66:67]
	v_mul_f64 v[66:67], v[72:73], v[66:67]
	v_fma_f64 v[84:85], v[2:3], v[6:7], -v[84:85]
	v_fma_f64 v[86:87], v[4:5], v[6:7], v[86:87]
	v_fma_f64 v[88:89], v[2:3], v[36:37], -v[88:89]
	v_fma_f64 v[90:91], v[4:5], v[36:37], v[90:91]
	;; [unrolled: 2-line block ×4, first 2 shown]
	v_mul_f64 v[122:123], v[74:75], v[70:71]
	v_mul_f64 v[70:71], v[72:73], v[70:71]
	ds_read_b128 v[2:5], v34 offset:1536
	ds_read_b128 v[6:9], v34 offset:1792
	v_fma_f64 v[96:97], v[44:45], v[48:49], -v[96:97]
	v_fma_f64 v[98:99], v[46:47], v[48:49], v[98:99]
	v_fma_f64 v[100:101], v[44:45], v[52:53], -v[100:101]
	v_fma_f64 v[102:103], v[46:47], v[52:53], v[102:103]
	;; [unrolled: 2-line block ×7, first 2 shown]
	v_add_f64 v[26:27], v[26:27], v[84:85]
	v_add_f64 v[28:29], v[86:87], v[28:29]
	;; [unrolled: 1-line block ×4, first 2 shown]
	s_waitcnt lgkmcnt(1)
	v_mul_f64 v[108:109], v[78:79], v[4:5]
	v_mul_f64 v[110:111], v[76:77], v[4:5]
	s_waitcnt lgkmcnt(0)
	v_mul_f64 v[66:67], v[78:79], v[8:9]
	v_fma_f64 v[72:73], v[72:73], v[68:69], -v[122:123]
	v_mul_f64 v[114:115], v[82:83], v[4:5]
	v_mul_f64 v[4:5], v[80:81], v[4:5]
	v_fma_f64 v[68:69], v[74:75], v[68:69], v[70:71]
	v_add_f64 v[70:71], v[22:23], v[88:89]
	v_add_f64 v[74:75], v[118:119], v[20:21]
	;; [unrolled: 1-line block ×4, first 2 shown]
	ds_read_b128 v[36:39], v35 offset:64
	ds_read_b128 v[40:43], v34 offset:2048
	;; [unrolled: 1-line block ×3, first 2 shown]
	v_mul_f64 v[112:113], v[76:77], v[8:9]
	v_mul_f64 v[86:87], v[82:83], v[8:9]
	;; [unrolled: 1-line block ×3, first 2 shown]
	ds_read_b128 v[48:51], v35 offset:2112
	ds_read_b128 v[20:23], v35 offset:2128
	v_add_f64 v[96:97], v[26:27], v[96:97]
	v_add_f64 v[28:29], v[98:99], v[28:29]
	;; [unrolled: 1-line block ×4, first 2 shown]
	v_fma_f64 v[88:89], v[76:77], v[2:3], -v[108:109]
	v_fma_f64 v[90:91], v[78:79], v[2:3], v[110:111]
	v_fma_f64 v[66:67], v[76:77], v[6:7], -v[66:67]
	ds_read_b128 v[8:11], v35 offset:80
	ds_read_b128 v[24:27], v34 offset:2816
	s_add_i32 s9, s9, 8
	v_add_f64 v[70:71], v[70:71], v[100:101]
	v_add_f64 v[74:75], v[124:125], v[74:75]
	s_waitcnt lgkmcnt(5)
	v_mul_f64 v[76:77], v[38:39], v[42:43]
	v_mul_f64 v[94:95], v[36:37], v[42:43]
	v_add_f64 v[12:13], v[12:13], v[56:57]
	v_add_f64 v[52:53], v[52:53], v[84:85]
	v_fma_f64 v[56:57], v[80:81], v[2:3], -v[114:115]
	v_fma_f64 v[84:85], v[82:83], v[2:3], v[4:5]
	ds_read_b128 v[2:5], v34 offset:2560
	s_waitcnt lgkmcnt(5)
	v_mul_f64 v[108:109], v[38:39], v[46:47]
	v_mul_f64 v[110:111], v[36:37], v[46:47]
	v_fma_f64 v[78:79], v[78:79], v[6:7], v[112:113]
	s_waitcnt lgkmcnt(4)
	v_mul_f64 v[112:113], v[50:51], v[42:43]
	v_mul_f64 v[42:43], v[48:49], v[42:43]
	v_fma_f64 v[80:81], v[80:81], v[6:7], -v[86:87]
	v_fma_f64 v[82:83], v[82:83], v[6:7], v[92:93]
	v_add_f64 v[54:55], v[96:97], v[54:55]
	v_add_f64 v[58:59], v[58:59], v[28:29]
	;; [unrolled: 1-line block ×4, first 2 shown]
	s_waitcnt lgkmcnt(1)
	v_mul_f64 v[102:103], v[22:23], v[26:27]
	v_mul_f64 v[104:105], v[20:21], v[26:27]
	v_add_f64 v[60:61], v[70:71], v[60:61]
	v_add_f64 v[64:65], v[64:65], v[74:75]
	v_fma_f64 v[76:77], v[36:37], v[40:41], -v[76:77]
	v_fma_f64 v[86:87], v[38:39], v[40:41], v[94:95]
	v_add_f64 v[12:13], v[12:13], v[72:73]
	v_add_f64 v[52:53], v[68:69], v[52:53]
	s_waitcnt lgkmcnt(0)
	v_mul_f64 v[68:69], v[10:11], v[4:5]
	v_mul_f64 v[70:71], v[8:9], v[4:5]
	;; [unrolled: 1-line block ×3, first 2 shown]
	v_fma_f64 v[92:93], v[36:37], v[44:45], -v[108:109]
	v_fma_f64 v[94:95], v[38:39], v[44:45], v[110:111]
	v_mul_f64 v[36:37], v[50:51], v[46:47]
	v_mul_f64 v[38:39], v[48:49], v[46:47]
	v_fma_f64 v[46:47], v[48:49], v[40:41], -v[112:113]
	v_fma_f64 v[100:101], v[50:51], v[40:41], v[42:43]
	v_mul_f64 v[74:75], v[8:9], v[26:27]
	v_mul_f64 v[96:97], v[22:23], v[4:5]
	v_mul_f64 v[98:99], v[20:21], v[4:5]
	ds_read_b128 v[4:7], v35 offset:96
	ds_read_b128 v[26:29], v34 offset:3072
	v_add_f64 v[16:17], v[16:17], v[56:57]
	s_cmp_lt_i32 s9, s11
	v_add_f64 v[56:57], v[84:85], v[64:65]
	v_add_f64 v[12:13], v[12:13], v[80:81]
	;; [unrolled: 1-line block ×3, first 2 shown]
	v_fma_f64 v[64:65], v[10:11], v[2:3], v[70:71]
	v_fma_f64 v[48:49], v[48:49], v[44:45], -v[36:37]
	v_fma_f64 v[44:45], v[50:51], v[44:45], v[38:39]
	v_add_f64 v[50:51], v[54:55], v[88:89]
	v_add_f64 v[54:55], v[90:91], v[58:59]
	;; [unrolled: 1-line block ×4, first 2 shown]
	ds_read_b128 v[36:39], v34 offset:3328
	ds_read_b128 v[40:43], v35 offset:2144
	v_fma_f64 v[62:63], v[8:9], v[2:3], -v[68:69]
	v_fma_f64 v[66:67], v[8:9], v[24:25], -v[72:73]
	v_fma_f64 v[68:69], v[10:11], v[24:25], v[74:75]
	v_fma_f64 v[70:71], v[20:21], v[2:3], -v[96:97]
	v_fma_f64 v[2:3], v[22:23], v[2:3], v[98:99]
	v_fma_f64 v[72:73], v[20:21], v[24:25], -v[102:103]
	s_waitcnt lgkmcnt(2)
	v_mul_f64 v[74:75], v[6:7], v[28:29]
	v_fma_f64 v[24:25], v[22:23], v[24:25], v[104:105]
	v_mul_f64 v[78:79], v[4:5], v[28:29]
	v_add_f64 v[16:17], v[16:17], v[46:47]
	v_add_f64 v[56:57], v[100:101], v[56:57]
	ds_read_b128 v[8:11], v35 offset:112
	ds_read_b128 v[20:23], v35 offset:2160
	v_add_f64 v[12:13], v[12:13], v[48:49]
	v_add_f64 v[52:53], v[44:45], v[52:53]
	;; [unrolled: 1-line block ×3, first 2 shown]
	s_waitcnt lgkmcnt(3)
	v_mul_f64 v[80:81], v[6:7], v[38:39]
	v_mul_f64 v[82:83], v[4:5], v[38:39]
	s_waitcnt lgkmcnt(2)
	v_mul_f64 v[84:85], v[42:43], v[28:29]
	v_mul_f64 v[28:29], v[40:41], v[28:29]
	v_add_f64 v[54:55], v[86:87], v[54:55]
	v_add_f64 v[58:59], v[58:59], v[92:93]
	;; [unrolled: 1-line block ×3, first 2 shown]
	v_mul_f64 v[86:87], v[42:43], v[38:39]
	v_mul_f64 v[38:39], v[40:41], v[38:39]
	ds_read_b128 v[44:47], v34 offset:3584
	ds_read_b128 v[48:51], v34 offset:3840
	v_fma_f64 v[74:75], v[4:5], v[26:27], -v[74:75]
	s_waitcnt lgkmcnt(0)
	v_fma_f64 v[78:79], v[6:7], v[26:27], v[78:79]
	v_add_f64 v[16:17], v[16:17], v[70:71]
	v_add_f64 v[2:3], v[2:3], v[56:57]
	s_barrier
	buffer_gl0_inv
	v_add_f64 v[12:13], v[12:13], v[72:73]
	v_add_f64 v[24:25], v[24:25], v[52:53]
	v_fma_f64 v[4:5], v[4:5], v[36:37], -v[80:81]
	v_fma_f64 v[6:7], v[6:7], v[36:37], v[82:83]
	v_fma_f64 v[80:81], v[40:41], v[26:27], -v[84:85]
	v_fma_f64 v[26:27], v[42:43], v[26:27], v[28:29]
	v_add_f64 v[28:29], v[76:77], v[62:63]
	v_add_f64 v[54:55], v[64:65], v[54:55]
	;; [unrolled: 1-line block ×4, first 2 shown]
	v_fma_f64 v[40:41], v[40:41], v[36:37], -v[86:87]
	v_fma_f64 v[36:37], v[42:43], v[36:37], v[38:39]
	v_mul_f64 v[38:39], v[10:11], v[46:47]
	v_mul_f64 v[42:43], v[8:9], v[46:47]
	;; [unrolled: 1-line block ×8, first 2 shown]
	v_add_f64 v[16:17], v[16:17], v[80:81]
	v_add_f64 v[2:3], v[26:27], v[2:3]
	;; [unrolled: 1-line block ×8, first 2 shown]
	v_fma_f64 v[24:25], v[8:9], v[44:45], -v[38:39]
	v_fma_f64 v[38:39], v[10:11], v[44:45], v[42:43]
	v_fma_f64 v[8:9], v[8:9], v[48:49], -v[52:53]
	v_fma_f64 v[10:11], v[10:11], v[48:49], v[56:57]
	;; [unrolled: 2-line block ×4, first 2 shown]
	v_add_f64 v[26:27], v[28:29], v[24:25]
	v_add_f64 v[28:29], v[38:39], v[54:55]
	;; [unrolled: 1-line block ×8, first 2 shown]
	s_cbranch_scc0 .LBB404_11
.LBB404_7:                              ; =>This Inner Loop Header: Depth=1
	v_add_nc_u32_e32 v2, s9, v31
	v_mov_b32_e32 v4, 0
	v_mov_b32_e32 v5, 0
	v_cmp_gt_i32_e64 s1, s11, v2
	v_mov_b32_e32 v2, 0
	v_mov_b32_e32 v3, 0
	s_and_b32 s6, vcc_lo, s1
	s_and_saveexec_b32 s1, s6
	s_cbranch_execz .LBB404_9
; %bb.8:                                ;   in Loop: Header=BB404_7 Depth=1
	flat_load_dwordx4 v[2:5], v[14:15]
	s_waitcnt vmcnt(0) lgkmcnt(0)
	v_xor_b32_e32 v5, 0x80000000, v5
.LBB404_9:                              ;   in Loop: Header=BB404_7 Depth=1
	s_or_b32 exec_lo, exec_lo, s1
	v_add_nc_u32_e32 v6, s9, v30
	v_mov_b32_e32 v8, 0
	v_mov_b32_e32 v9, 0
	ds_write_b128 v32, v[2:5]
	v_cmp_gt_i32_e64 s1, s11, v6
	v_mov_b32_e32 v6, 0
	v_mov_b32_e32 v7, 0
	s_and_b32 s6, s1, s0
	s_and_saveexec_b32 s1, s6
	s_cbranch_execz .LBB404_6
; %bb.10:                               ;   in Loop: Header=BB404_7 Depth=1
	flat_load_dwordx4 v[6:9], v[18:19]
	s_waitcnt vmcnt(0) lgkmcnt(0)
	v_xor_b32_e32 v9, 0x80000000, v9
	s_branch .LBB404_6
.LBB404_11:
	s_clause 0x1
	s_load_dword s2, s[4:5], 0x50
	s_load_dwordx2 s[4:5], s[4:5], 0x58
	v_cmp_neq_f64_e64 s6, s[12:13], 0
	v_add_nc_u32_e32 v15, s31, v1
	v_add_nc_u32_e32 v4, s8, v0
	v_cmp_gt_i32_e64 s0, s10, v15
	v_cmp_le_i32_e32 vcc_lo, v4, v15
	v_ashrrev_i32_e32 v5, 31, v4
	s_waitcnt lgkmcnt(0)
	v_mad_i64_i32 v[1:2], null, v15, s2, 0
	s_lshl_b64 s[4:5], s[4:5], 4
	s_add_u32 s3, s22, s4
	s_addc_u32 s4, s23, s5
	s_xor_b32 s5, s30, -1
	s_or_b32 s5, s6, s5
	v_lshlrev_b64 v[0:1], 4, v[1:2]
	v_cndmask_b32_e64 v14, 0, 1, s5
	s_and_b32 s6, s0, vcc_lo
	v_add_co_u32 v8, s1, s3, v0
	v_add_co_ci_u32_e64 v9, null, s4, v1, s1
	s_and_saveexec_b32 s1, s6
	s_cbranch_execz .LBB404_15
; %bb.12:
	v_mul_f64 v[0:1], s[18:19], v[28:29]
	v_mul_f64 v[2:3], s[16:17], v[28:29]
	v_lshlrev_b64 v[6:7], 4, v[4:5]
	v_add_co_u32 v6, vcc_lo, v8, v6
	v_add_co_ci_u32_e64 v7, null, v9, v7, vcc_lo
	s_andn2_b32 vcc_lo, exec_lo, s5
	v_fma_f64 v[0:1], s[16:17], v[26:27], -v[0:1]
	v_fma_f64 v[2:3], s[18:19], v[26:27], v[2:3]
	s_cbranch_vccnz .LBB404_14
; %bb.13:
	flat_load_dwordx4 v[26:29], v[6:7]
	s_waitcnt vmcnt(0) lgkmcnt(0)
	v_mul_f64 v[18:19], s[14:15], v[28:29]
	v_mul_f64 v[28:29], s[12:13], v[28:29]
	v_fma_f64 v[18:19], s[12:13], v[26:27], -v[18:19]
	v_fma_f64 v[26:27], s[14:15], v[26:27], v[28:29]
	v_add_f64 v[0:1], v[0:1], v[18:19]
	v_add_f64 v[2:3], v[2:3], v[26:27]
.LBB404_14:
	flat_store_dwordx4 v[6:7], v[0:3]
.LBB404_15:
	s_or_b32 exec_lo, exec_lo, s1
	v_add_nc_u32_e32 v6, 16, v4
	v_cmp_le_i32_e32 vcc_lo, v6, v15
	v_ashrrev_i32_e32 v7, 31, v6
	s_and_b32 s0, s0, vcc_lo
	s_and_saveexec_b32 s1, s0
	s_cbranch_execz .LBB404_19
; %bb.16:
	v_mul_f64 v[0:1], s[18:19], v[24:25]
	v_mul_f64 v[2:3], s[16:17], v[24:25]
	v_lshlrev_b64 v[18:19], 4, v[6:7]
	v_cmp_ne_u32_e32 vcc_lo, 1, v14
	s_and_b32 vcc_lo, exec_lo, vcc_lo
	v_add_co_u32 v8, s0, v8, v18
	v_add_co_ci_u32_e64 v9, null, v9, v19, s0
	v_fma_f64 v[0:1], s[16:17], v[22:23], -v[0:1]
	v_fma_f64 v[2:3], s[18:19], v[22:23], v[2:3]
	s_cbranch_vccnz .LBB404_18
; %bb.17:
	flat_load_dwordx4 v[22:25], v[8:9]
	s_waitcnt vmcnt(0) lgkmcnt(0)
	v_mul_f64 v[18:19], s[14:15], v[24:25]
	v_mul_f64 v[24:25], s[12:13], v[24:25]
	v_fma_f64 v[18:19], s[12:13], v[22:23], -v[18:19]
	v_fma_f64 v[22:23], s[14:15], v[22:23], v[24:25]
	v_add_f64 v[0:1], v[0:1], v[18:19]
	v_add_f64 v[2:3], v[2:3], v[22:23]
.LBB404_18:
	flat_store_dwordx4 v[8:9], v[0:3]
.LBB404_19:
	s_or_b32 exec_lo, exec_lo, s1
	v_add_nc_u32_e32 v15, 16, v15
	v_mad_i64_i32 v[0:1], null, v15, s2, 0
	v_cmp_gt_i32_e64 s0, s10, v15
	v_cmp_le_i32_e32 vcc_lo, v4, v15
	v_lshlrev_b64 v[0:1], 4, v[0:1]
	v_add_co_u32 v8, s1, s3, v0
	v_add_co_ci_u32_e64 v9, null, s4, v1, s1
	s_and_b32 s1, s0, vcc_lo
	s_and_saveexec_b32 s2, s1
	s_cbranch_execz .LBB404_23
; %bb.20:
	v_mul_f64 v[0:1], s[18:19], v[20:21]
	v_mul_f64 v[2:3], s[16:17], v[20:21]
	v_lshlrev_b64 v[4:5], 4, v[4:5]
	v_cmp_ne_u32_e32 vcc_lo, 1, v14
	s_and_b32 vcc_lo, exec_lo, vcc_lo
	v_add_co_u32 v4, s1, v8, v4
	v_add_co_ci_u32_e64 v5, null, v9, v5, s1
	v_fma_f64 v[0:1], s[16:17], v[16:17], -v[0:1]
	v_fma_f64 v[2:3], s[18:19], v[16:17], v[2:3]
	s_cbranch_vccnz .LBB404_22
; %bb.21:
	flat_load_dwordx4 v[16:19], v[4:5]
	s_waitcnt vmcnt(0) lgkmcnt(0)
	v_mul_f64 v[20:21], s[14:15], v[18:19]
	v_mul_f64 v[18:19], s[12:13], v[18:19]
	v_fma_f64 v[20:21], s[12:13], v[16:17], -v[20:21]
	v_fma_f64 v[16:17], s[14:15], v[16:17], v[18:19]
	v_add_f64 v[0:1], v[0:1], v[20:21]
	v_add_f64 v[2:3], v[2:3], v[16:17]
.LBB404_22:
	flat_store_dwordx4 v[4:5], v[0:3]
.LBB404_23:
	s_or_b32 exec_lo, exec_lo, s2
	v_cmp_le_i32_e32 vcc_lo, v6, v15
	s_and_b32 s0, s0, vcc_lo
	s_and_saveexec_b32 s1, s0
	s_cbranch_execz .LBB404_28
; %bb.24:
	v_mul_f64 v[0:1], s[18:19], v[10:11]
	v_mul_f64 v[2:3], s[16:17], v[10:11]
	v_lshlrev_b64 v[4:5], 4, v[6:7]
	v_cmp_ne_u32_e32 vcc_lo, 1, v14
	s_and_b32 vcc_lo, exec_lo, vcc_lo
	v_add_co_u32 v4, s0, v8, v4
	v_add_co_ci_u32_e64 v5, null, v9, v5, s0
	v_fma_f64 v[0:1], s[16:17], v[12:13], -v[0:1]
	v_fma_f64 v[2:3], s[18:19], v[12:13], v[2:3]
	s_cbranch_vccnz .LBB404_26
; %bb.25:
	flat_load_dwordx4 v[6:9], v[4:5]
	s_waitcnt vmcnt(0) lgkmcnt(0)
	v_mul_f64 v[10:11], s[14:15], v[8:9]
	v_mul_f64 v[8:9], s[12:13], v[8:9]
	v_fma_f64 v[10:11], s[12:13], v[6:7], -v[10:11]
	v_fma_f64 v[6:7], s[14:15], v[6:7], v[8:9]
	v_add_f64 v[0:1], v[0:1], v[10:11]
	v_add_f64 v[2:3], v[2:3], v[6:7]
.LBB404_26:
	flat_store_dwordx4 v[4:5], v[0:3]
	s_endpgm
.LBB404_27:
.LBB404_28:
	s_endpgm
	.section	.rodata,"a",@progbits
	.p2align	6, 0x0
	.amdhsa_kernel _ZL29rocblas_internal_gemmt_kernelIiLi16ELi32ELi8ELc67ELc67ELc85ELb1ELb1E19rocblas_complex_numIdEPKS1_PKS3_PKPS1_EviT_T9_T10_S9_lSB_S9_lSA_T11_S9_li
		.amdhsa_group_segment_fixed_size 8192
		.amdhsa_private_segment_fixed_size 0
		.amdhsa_kernarg_size 100
		.amdhsa_user_sgpr_count 6
		.amdhsa_user_sgpr_private_segment_buffer 1
		.amdhsa_user_sgpr_dispatch_ptr 0
		.amdhsa_user_sgpr_queue_ptr 0
		.amdhsa_user_sgpr_kernarg_segment_ptr 1
		.amdhsa_user_sgpr_dispatch_id 0
		.amdhsa_user_sgpr_flat_scratch_init 0
		.amdhsa_user_sgpr_private_segment_size 0
		.amdhsa_wavefront_size32 1
		.amdhsa_uses_dynamic_stack 0
		.amdhsa_system_sgpr_private_segment_wavefront_offset 0
		.amdhsa_system_sgpr_workgroup_id_x 1
		.amdhsa_system_sgpr_workgroup_id_y 1
		.amdhsa_system_sgpr_workgroup_id_z 1
		.amdhsa_system_sgpr_workgroup_info 0
		.amdhsa_system_vgpr_workitem_id 1
		.amdhsa_next_free_vgpr 126
		.amdhsa_next_free_sgpr 32
		.amdhsa_reserve_vcc 1
		.amdhsa_reserve_flat_scratch 0
		.amdhsa_float_round_mode_32 0
		.amdhsa_float_round_mode_16_64 0
		.amdhsa_float_denorm_mode_32 3
		.amdhsa_float_denorm_mode_16_64 3
		.amdhsa_dx10_clamp 1
		.amdhsa_ieee_mode 1
		.amdhsa_fp16_overflow 0
		.amdhsa_workgroup_processor_mode 1
		.amdhsa_memory_ordered 1
		.amdhsa_forward_progress 1
		.amdhsa_shared_vgpr_count 0
		.amdhsa_exception_fp_ieee_invalid_op 0
		.amdhsa_exception_fp_denorm_src 0
		.amdhsa_exception_fp_ieee_div_zero 0
		.amdhsa_exception_fp_ieee_overflow 0
		.amdhsa_exception_fp_ieee_underflow 0
		.amdhsa_exception_fp_ieee_inexact 0
		.amdhsa_exception_int_div_zero 0
	.end_amdhsa_kernel
	.section	.text._ZL29rocblas_internal_gemmt_kernelIiLi16ELi32ELi8ELc67ELc67ELc85ELb1ELb1E19rocblas_complex_numIdEPKS1_PKS3_PKPS1_EviT_T9_T10_S9_lSB_S9_lSA_T11_S9_li,"axG",@progbits,_ZL29rocblas_internal_gemmt_kernelIiLi16ELi32ELi8ELc67ELc67ELc85ELb1ELb1E19rocblas_complex_numIdEPKS1_PKS3_PKPS1_EviT_T9_T10_S9_lSB_S9_lSA_T11_S9_li,comdat
.Lfunc_end404:
	.size	_ZL29rocblas_internal_gemmt_kernelIiLi16ELi32ELi8ELc67ELc67ELc85ELb1ELb1E19rocblas_complex_numIdEPKS1_PKS3_PKPS1_EviT_T9_T10_S9_lSB_S9_lSA_T11_S9_li, .Lfunc_end404-_ZL29rocblas_internal_gemmt_kernelIiLi16ELi32ELi8ELc67ELc67ELc85ELb1ELb1E19rocblas_complex_numIdEPKS1_PKS3_PKPS1_EviT_T9_T10_S9_lSB_S9_lSA_T11_S9_li
                                        ; -- End function
	.set _ZL29rocblas_internal_gemmt_kernelIiLi16ELi32ELi8ELc67ELc67ELc85ELb1ELb1E19rocblas_complex_numIdEPKS1_PKS3_PKPS1_EviT_T9_T10_S9_lSB_S9_lSA_T11_S9_li.num_vgpr, 126
	.set _ZL29rocblas_internal_gemmt_kernelIiLi16ELi32ELi8ELc67ELc67ELc85ELb1ELb1E19rocblas_complex_numIdEPKS1_PKS3_PKPS1_EviT_T9_T10_S9_lSB_S9_lSA_T11_S9_li.num_agpr, 0
	.set _ZL29rocblas_internal_gemmt_kernelIiLi16ELi32ELi8ELc67ELc67ELc85ELb1ELb1E19rocblas_complex_numIdEPKS1_PKS3_PKPS1_EviT_T9_T10_S9_lSB_S9_lSA_T11_S9_li.numbered_sgpr, 32
	.set _ZL29rocblas_internal_gemmt_kernelIiLi16ELi32ELi8ELc67ELc67ELc85ELb1ELb1E19rocblas_complex_numIdEPKS1_PKS3_PKPS1_EviT_T9_T10_S9_lSB_S9_lSA_T11_S9_li.num_named_barrier, 0
	.set _ZL29rocblas_internal_gemmt_kernelIiLi16ELi32ELi8ELc67ELc67ELc85ELb1ELb1E19rocblas_complex_numIdEPKS1_PKS3_PKPS1_EviT_T9_T10_S9_lSB_S9_lSA_T11_S9_li.private_seg_size, 0
	.set _ZL29rocblas_internal_gemmt_kernelIiLi16ELi32ELi8ELc67ELc67ELc85ELb1ELb1E19rocblas_complex_numIdEPKS1_PKS3_PKPS1_EviT_T9_T10_S9_lSB_S9_lSA_T11_S9_li.uses_vcc, 1
	.set _ZL29rocblas_internal_gemmt_kernelIiLi16ELi32ELi8ELc67ELc67ELc85ELb1ELb1E19rocblas_complex_numIdEPKS1_PKS3_PKPS1_EviT_T9_T10_S9_lSB_S9_lSA_T11_S9_li.uses_flat_scratch, 0
	.set _ZL29rocblas_internal_gemmt_kernelIiLi16ELi32ELi8ELc67ELc67ELc85ELb1ELb1E19rocblas_complex_numIdEPKS1_PKS3_PKPS1_EviT_T9_T10_S9_lSB_S9_lSA_T11_S9_li.has_dyn_sized_stack, 0
	.set _ZL29rocblas_internal_gemmt_kernelIiLi16ELi32ELi8ELc67ELc67ELc85ELb1ELb1E19rocblas_complex_numIdEPKS1_PKS3_PKPS1_EviT_T9_T10_S9_lSB_S9_lSA_T11_S9_li.has_recursion, 0
	.set _ZL29rocblas_internal_gemmt_kernelIiLi16ELi32ELi8ELc67ELc67ELc85ELb1ELb1E19rocblas_complex_numIdEPKS1_PKS3_PKPS1_EviT_T9_T10_S9_lSB_S9_lSA_T11_S9_li.has_indirect_call, 0
	.section	.AMDGPU.csdata,"",@progbits
; Kernel info:
; codeLenInByte = 3548
; TotalNumSgprs: 34
; NumVgprs: 126
; ScratchSize: 0
; MemoryBound: 1
; FloatMode: 240
; IeeeMode: 1
; LDSByteSize: 8192 bytes/workgroup (compile time only)
; SGPRBlocks: 0
; VGPRBlocks: 15
; NumSGPRsForWavesPerEU: 34
; NumVGPRsForWavesPerEU: 126
; Occupancy: 8
; WaveLimiterHint : 1
; COMPUTE_PGM_RSRC2:SCRATCH_EN: 0
; COMPUTE_PGM_RSRC2:USER_SGPR: 6
; COMPUTE_PGM_RSRC2:TRAP_HANDLER: 0
; COMPUTE_PGM_RSRC2:TGID_X_EN: 1
; COMPUTE_PGM_RSRC2:TGID_Y_EN: 1
; COMPUTE_PGM_RSRC2:TGID_Z_EN: 1
; COMPUTE_PGM_RSRC2:TIDIG_COMP_CNT: 1
	.section	.text._ZL29rocblas_internal_gemmt_kernelIiLi16ELi32ELi8ELc78ELc78ELc76ELb0ELb0E19rocblas_complex_numIdEPKS1_PKS3_PKPS1_EviT_T9_T10_S9_lSB_S9_lSA_T11_S9_li,"axG",@progbits,_ZL29rocblas_internal_gemmt_kernelIiLi16ELi32ELi8ELc78ELc78ELc76ELb0ELb0E19rocblas_complex_numIdEPKS1_PKS3_PKPS1_EviT_T9_T10_S9_lSB_S9_lSA_T11_S9_li,comdat
	.globl	_ZL29rocblas_internal_gemmt_kernelIiLi16ELi32ELi8ELc78ELc78ELc76ELb0ELb0E19rocblas_complex_numIdEPKS1_PKS3_PKPS1_EviT_T9_T10_S9_lSB_S9_lSA_T11_S9_li ; -- Begin function _ZL29rocblas_internal_gemmt_kernelIiLi16ELi32ELi8ELc78ELc78ELc76ELb0ELb0E19rocblas_complex_numIdEPKS1_PKS3_PKPS1_EviT_T9_T10_S9_lSB_S9_lSA_T11_S9_li
	.p2align	8
	.type	_ZL29rocblas_internal_gemmt_kernelIiLi16ELi32ELi8ELc78ELc78ELc76ELb0ELb0E19rocblas_complex_numIdEPKS1_PKS3_PKPS1_EviT_T9_T10_S9_lSB_S9_lSA_T11_S9_li,@function
_ZL29rocblas_internal_gemmt_kernelIiLi16ELi32ELi8ELc78ELc78ELc76ELb0ELb0E19rocblas_complex_numIdEPKS1_PKS3_PKPS1_EviT_T9_T10_S9_lSB_S9_lSA_T11_S9_li: ; @_ZL29rocblas_internal_gemmt_kernelIiLi16ELi32ELi8ELc78ELc78ELc76ELb0ELb0E19rocblas_complex_numIdEPKS1_PKS3_PKPS1_EviT_T9_T10_S9_lSB_S9_lSA_T11_S9_li
; %bb.0:
	s_load_dwordx4 s[20:23], s[4:5], 0x38
	s_waitcnt lgkmcnt(0)
	s_load_dwordx4 s[12:15], s[22:23], 0x0
	s_clause 0x1
	s_load_dwordx4 s[0:3], s[4:5], 0x8
	s_load_dwordx2 s[10:11], s[4:5], 0x0
	s_waitcnt lgkmcnt(0)
	s_load_dwordx4 s[16:19], s[0:1], 0x0
	v_cmp_eq_f64_e64 s9, s[12:13], 1.0
	v_cmp_eq_f64_e64 s30, s[14:15], 0
	s_and_b32 s0, s9, s30
	s_andn2_b32 vcc_lo, exec_lo, s0
	s_mov_b32 s0, -1
	s_cbranch_vccnz .LBB405_3
; %bb.1:
	s_cmp_lg_u32 s11, 0
	s_cbranch_scc0 .LBB405_31
; %bb.2:
	s_waitcnt lgkmcnt(0)
	v_cmp_neq_f64_e64 s0, s[16:17], 0
	v_cmp_neq_f64_e64 s1, s[18:19], 0
	s_or_b32 s0, s0, s1
.LBB405_3:
	s_and_b32 vcc_lo, exec_lo, s0
	s_cbranch_vccz .LBB405_32
; %bb.4:
	s_load_dwordx2 s[0:1], s[4:5], 0x48
	s_waitcnt lgkmcnt(0)
	v_cmp_eq_f64_e64 s24, s[16:17], 0
	v_cmp_eq_f64_e64 s25, s[18:19], 0
	s_mov_b32 s9, 0
	v_mov_b32_e32 v22, 0
	s_lshl_b64 s[28:29], s[8:9], 3
	v_mov_b32_e32 v24, 0
	v_mov_b32_e32 v18, 0
	;; [unrolled: 1-line block ×14, first 2 shown]
	s_add_u32 s0, s0, s28
	s_addc_u32 s1, s1, s29
	s_lshl_b32 s8, s6, 5
	s_load_dwordx2 s[22:23], s[0:1], 0x0
	s_lshl_b32 s31, s7, 5
	s_and_b32 s0, s24, s25
	s_cmp_lt_i32 s11, 1
	v_mov_b32_e32 v7, 0
	s_cselect_b32 s1, -1, 0
	s_or_b32 s0, s0, s1
	s_and_b32 vcc_lo, exec_lo, s0
	s_cbranch_vccnz .LBB405_15
; %bb.5:
	s_clause 0x2
	s_load_dword s6, s[4:5], 0x18
	s_load_dword s1, s[4:5], 0x30
	s_load_dwordx4 s[24:27], s[4:5], 0x20
	v_lshl_add_u32 v2, v1, 4, v0
	v_and_b32_e32 v26, 7, v0
	v_mov_b32_e32 v16, 0
	v_mov_b32_e32 v14, 0
	;; [unrolled: 1-line block ×3, first 2 shown]
	v_and_b32_e32 v6, 31, v2
	v_lshrrev_b32_e32 v3, 3, v2
	v_lshrrev_b32_e32 v27, 5, v2
	v_lshlrev_b32_e32 v8, 4, v26
	v_mov_b32_e32 v18, 0
	v_or_b32_e32 v2, s8, v6
	v_lshlrev_b32_e32 v4, 4, v6
	v_add_nc_u32_e32 v5, s31, v3
	v_lshl_or_b32 v7, v3, 7, v8
	v_add_nc_u32_e32 v6, s8, v6
	v_cmp_gt_i32_e32 vcc_lo, s10, v2
	v_lshl_or_b32 v28, v27, 9, v4
	v_cmp_gt_i32_e64 s0, s10, v5
	s_waitcnt lgkmcnt(0)
	v_mad_i64_i32 v[2:3], null, v27, s6, 0
	s_ashr_i32 s7, s6, 31
	s_add_u32 s26, s26, s28
	s_addc_u32 s27, s27, s29
	v_mad_i64_i32 v[4:5], null, s1, v5, 0
	s_add_u32 s2, s2, s28
	s_addc_u32 s3, s3, s29
	s_load_dwordx2 s[26:27], s[26:27], 0x0
	s_load_dwordx2 s[2:3], s[2:3], 0x0
	v_lshlrev_b64 v[2:3], 4, v[2:3]
	v_add_nc_u32_e32 v29, 0x1000, v7
	v_ashrrev_i32_e32 v7, 31, v6
	s_lshl_b64 s[24:25], s[24:25], 4
	v_lshlrev_b64 v[4:5], 4, v[4:5]
	s_lshl_b64 s[20:21], s[20:21], 4
	v_add_co_u32 v9, s1, v2, s24
	v_add_co_ci_u32_e64 v10, null, s25, v3, s1
	v_lshlrev_b64 v[2:3], 4, v[6:7]
	v_add_co_u32 v4, s1, v4, s20
	v_add_co_ci_u32_e64 v5, null, s21, v5, s1
	v_mov_b32_e32 v6, 0
	v_add_co_u32 v2, s1, v9, v2
	v_add_co_ci_u32_e64 v3, null, v10, v3, s1
	v_add_co_u32 v4, s1, v4, v8
	v_add_co_ci_u32_e64 v5, null, 0, v5, s1
	s_waitcnt lgkmcnt(0)
	v_add_co_u32 v10, s1, s2, v2
	v_add_co_ci_u32_e64 v11, null, s3, v3, s1
	v_add_co_u32 v12, s1, s26, v4
	v_mov_b32_e32 v8, 0
	v_mov_b32_e32 v24, 0
	v_mov_b32_e32 v22, 0
	v_lshlrev_b32_e32 v30, 4, v0
	v_lshl_add_u32 v31, v1, 7, 0x1000
	v_add_co_ci_u32_e64 v13, null, s27, v5, s1
	v_mov_b32_e32 v7, 0
	v_mov_b32_e32 v9, 0
	;; [unrolled: 1-line block ×9, first 2 shown]
	s_lshl_b64 s[2:3], s[6:7], 7
	s_xor_b32 s1, vcc_lo, -1
	s_xor_b32 s0, s0, -1
	s_branch .LBB405_7
.LBB405_6:                              ;   in Loop: Header=BB405_7 Depth=1
	s_or_b32 exec_lo, exec_lo, s6
	s_waitcnt lgkmcnt(0)
	s_barrier
	buffer_gl0_inv
	ds_read_b128 v[32:35], v31
	ds_read_b128 v[36:39], v30
	ds_read_b128 v[40:43], v30 offset:256
	ds_read_b128 v[44:47], v31 offset:2048
	;; [unrolled: 1-line block ×12, first 2 shown]
	v_add_co_u32 v10, vcc_lo, v10, s2
	v_add_co_ci_u32_e64 v11, null, s3, v11, vcc_lo
	v_add_co_u32 v12, vcc_lo, 0x80, v12
	v_add_co_ci_u32_e64 v13, null, 0, v13, vcc_lo
	s_waitcnt lgkmcnt(12)
	v_mul_f64 v[3:4], v[34:35], v[38:39]
	v_mul_f64 v[88:89], v[32:33], v[38:39]
	s_waitcnt lgkmcnt(11)
	v_mul_f64 v[90:91], v[34:35], v[42:43]
	v_mul_f64 v[92:93], v[32:33], v[42:43]
	;; [unrolled: 3-line block ×3, first 2 shown]
	v_mul_f64 v[96:97], v[46:47], v[42:43]
	v_mul_f64 v[42:43], v[44:45], v[42:43]
	s_waitcnt lgkmcnt(8)
	v_mul_f64 v[98:99], v[50:51], v[54:55]
	v_mul_f64 v[100:101], v[48:49], v[54:55]
	s_waitcnt lgkmcnt(7)
	;; [unrolled: 3-line block ×3, first 2 shown]
	v_mul_f64 v[106:107], v[62:63], v[54:55]
	v_mul_f64 v[54:55], v[60:61], v[54:55]
	;; [unrolled: 1-line block ×4, first 2 shown]
	s_waitcnt lgkmcnt(4)
	v_mul_f64 v[110:111], v[66:67], v[70:71]
	v_mul_f64 v[112:113], v[64:65], v[70:71]
	s_waitcnt lgkmcnt(3)
	v_mul_f64 v[114:115], v[66:67], v[74:75]
	v_mul_f64 v[116:117], v[64:65], v[74:75]
	s_waitcnt lgkmcnt(2)
	v_mul_f64 v[118:119], v[78:79], v[70:71]
	v_mul_f64 v[70:71], v[76:77], v[70:71]
	v_fma_f64 v[3:4], v[32:33], v[36:37], -v[3:4]
	v_fma_f64 v[88:89], v[34:35], v[36:37], v[88:89]
	v_fma_f64 v[90:91], v[32:33], v[40:41], -v[90:91]
	v_fma_f64 v[92:93], v[34:35], v[40:41], v[92:93]
	;; [unrolled: 2-line block ×4, first 2 shown]
	v_mul_f64 v[124:125], v[78:79], v[74:75]
	v_mul_f64 v[74:75], v[76:77], v[74:75]
	ds_read_b128 v[32:35], v30 offset:1536
	ds_read_b128 v[36:39], v30 offset:1792
	v_fma_f64 v[98:99], v[48:49], v[52:53], -v[98:99]
	v_fma_f64 v[100:101], v[50:51], v[52:53], v[100:101]
	v_fma_f64 v[102:103], v[48:49], v[56:57], -v[102:103]
	v_fma_f64 v[104:105], v[50:51], v[56:57], v[104:105]
	;; [unrolled: 2-line block ×7, first 2 shown]
	v_add_f64 v[22:23], v[22:23], v[3:4]
	v_add_f64 v[24:25], v[88:89], v[24:25]
	;; [unrolled: 1-line block ×4, first 2 shown]
	s_waitcnt lgkmcnt(1)
	v_mul_f64 v[110:111], v[82:83], v[34:35]
	v_mul_f64 v[112:113], v[80:81], v[34:35]
	s_waitcnt lgkmcnt(0)
	v_mul_f64 v[70:71], v[82:83], v[38:39]
	v_fma_f64 v[76:77], v[76:77], v[72:73], -v[124:125]
	v_fma_f64 v[72:73], v[78:79], v[72:73], v[74:75]
	v_add_f64 v[74:75], v[14:15], v[94:95]
	v_add_f64 v[78:79], v[120:121], v[16:17]
	;; [unrolled: 1-line block ×4, first 2 shown]
	ds_read_b128 v[40:43], v31 offset:64
	ds_read_b128 v[44:47], v30 offset:2048
	;; [unrolled: 1-line block ×3, first 2 shown]
	v_mul_f64 v[114:115], v[80:81], v[38:39]
	v_mul_f64 v[116:117], v[86:87], v[34:35]
	;; [unrolled: 1-line block ×5, first 2 shown]
	ds_read_b128 v[52:55], v31 offset:2112
	ds_read_b128 v[14:17], v31 offset:2128
	v_add_f64 v[98:99], v[22:23], v[98:99]
	v_add_f64 v[100:101], v[100:101], v[24:25]
	;; [unrolled: 1-line block ×4, first 2 shown]
	v_fma_f64 v[92:93], v[80:81], v[32:33], -v[110:111]
	v_fma_f64 v[94:95], v[82:83], v[32:33], v[112:113]
	v_fma_f64 v[70:71], v[80:81], v[36:37], -v[70:71]
	ds_read_b128 v[18:21], v30 offset:2560
	ds_read_b128 v[3:6], v31 offset:80
	;; [unrolled: 1-line block ×3, first 2 shown]
	v_add_f64 v[74:75], v[74:75], v[106:107]
	s_waitcnt lgkmcnt(6)
	v_mul_f64 v[80:81], v[42:43], v[46:47]
	v_mul_f64 v[96:97], v[40:41], v[46:47]
	s_waitcnt lgkmcnt(5)
	v_mul_f64 v[110:111], v[42:43], v[50:51]
	v_mul_f64 v[112:113], v[40:41], v[50:51]
	v_add_f64 v[78:79], v[126:127], v[78:79]
	v_add_f64 v[7:8], v[8:9], v[60:61]
	;; [unrolled: 1-line block ×3, first 2 shown]
	v_fma_f64 v[82:83], v[82:83], v[36:37], v[114:115]
	s_waitcnt lgkmcnt(4)
	v_mul_f64 v[114:115], v[54:55], v[46:47]
	v_mul_f64 v[46:47], v[52:53], v[46:47]
	v_fma_f64 v[60:61], v[84:85], v[32:33], -v[116:117]
	v_fma_f64 v[88:89], v[86:87], v[32:33], v[34:35]
	v_fma_f64 v[84:85], v[84:85], v[36:37], -v[90:91]
	v_fma_f64 v[86:87], v[86:87], v[36:37], v[38:39]
	v_add_f64 v[58:59], v[98:99], v[58:59]
	v_add_f64 v[62:63], v[62:63], v[100:101]
	;; [unrolled: 1-line block ×4, first 2 shown]
	s_waitcnt lgkmcnt(0)
	v_mul_f64 v[98:99], v[3:4], v[24:25]
	v_mul_f64 v[100:101], v[16:17], v[20:21]
	;; [unrolled: 1-line block ×3, first 2 shown]
	v_add_f64 v[74:75], v[74:75], v[108:109]
	v_fma_f64 v[80:81], v[40:41], v[44:45], -v[80:81]
	v_fma_f64 v[90:91], v[42:43], v[44:45], v[96:97]
	v_fma_f64 v[96:97], v[40:41], v[48:49], -v[110:111]
	v_fma_f64 v[106:107], v[42:43], v[48:49], v[112:113]
	v_mul_f64 v[40:41], v[54:55], v[50:51]
	v_mul_f64 v[42:43], v[52:53], v[50:51]
	v_add_f64 v[68:69], v[68:69], v[78:79]
	v_add_f64 v[7:8], v[7:8], v[76:77]
	;; [unrolled: 1-line block ×3, first 2 shown]
	v_fma_f64 v[50:51], v[52:53], v[44:45], -v[114:115]
	v_fma_f64 v[110:111], v[54:55], v[44:45], v[46:47]
	v_mul_f64 v[72:73], v[5:6], v[20:21]
	v_mul_f64 v[76:77], v[3:4], v[20:21]
	;; [unrolled: 1-line block ×5, first 2 shown]
	ds_read_b128 v[32:35], v31 offset:96
	ds_read_b128 v[36:39], v30 offset:3072
	s_add_i32 s9, s9, 8
	s_cmp_lt_i32 s9, s11
	v_add_f64 v[60:61], v[74:75], v[60:61]
	v_fma_f64 v[74:75], v[5:6], v[22:23], v[98:99]
	v_fma_f64 v[52:53], v[52:53], v[48:49], -v[40:41]
	v_fma_f64 v[48:49], v[54:55], v[48:49], v[42:43]
	v_add_f64 v[54:55], v[58:59], v[92:93]
	v_add_f64 v[58:59], v[94:95], v[62:63]
	;; [unrolled: 1-line block ×7, first 2 shown]
	ds_read_b128 v[40:43], v30 offset:3328
	ds_read_b128 v[44:47], v31 offset:2144
	v_fma_f64 v[68:69], v[3:4], v[18:19], -v[72:73]
	v_fma_f64 v[70:71], v[5:6], v[18:19], v[76:77]
	v_fma_f64 v[72:73], v[3:4], v[22:23], -v[78:79]
	v_fma_f64 v[76:77], v[14:15], v[18:19], -v[100:101]
	v_fma_f64 v[78:79], v[16:17], v[18:19], v[20:21]
	v_fma_f64 v[82:83], v[14:15], v[22:23], -v[102:103]
	s_waitcnt lgkmcnt(2)
	v_mul_f64 v[84:85], v[34:35], v[38:39]
	v_fma_f64 v[86:87], v[16:17], v[22:23], v[24:25]
	v_mul_f64 v[88:89], v[32:33], v[38:39]
	v_add_f64 v[50:51], v[60:61], v[50:51]
	ds_read_b128 v[3:6], v31 offset:112
	ds_read_b128 v[14:17], v31 offset:2160
	;; [unrolled: 1-line block ×4, first 2 shown]
	s_waitcnt lgkmcnt(0)
	v_add_f64 v[54:55], v[54:55], v[80:81]
	v_add_f64 v[58:59], v[90:91], v[58:59]
	v_add_f64 v[62:63], v[62:63], v[96:97]
	v_add_f64 v[64:65], v[106:107], v[64:65]
	v_mul_f64 v[92:93], v[34:35], v[42:43]
	v_mul_f64 v[94:95], v[32:33], v[42:43]
	;; [unrolled: 1-line block ×4, first 2 shown]
	v_add_f64 v[60:61], v[110:111], v[66:67]
	v_add_f64 v[7:8], v[7:8], v[52:53]
	;; [unrolled: 1-line block ×3, first 2 shown]
	v_mul_f64 v[52:53], v[46:47], v[42:43]
	v_mul_f64 v[42:43], v[44:45], v[42:43]
	s_barrier
	v_fma_f64 v[56:57], v[32:33], v[36:37], -v[84:85]
	buffer_gl0_inv
	v_fma_f64 v[66:67], v[34:35], v[36:37], v[88:89]
	v_add_f64 v[50:51], v[50:51], v[76:77]
	v_fma_f64 v[32:33], v[32:33], v[40:41], -v[92:93]
	v_fma_f64 v[34:35], v[34:35], v[40:41], v[94:95]
	v_fma_f64 v[80:81], v[44:45], v[36:37], -v[98:99]
	v_fma_f64 v[36:37], v[46:47], v[36:37], v[38:39]
	v_add_f64 v[38:39], v[54:55], v[68:69]
	v_add_f64 v[54:55], v[70:71], v[58:59]
	;; [unrolled: 1-line block ×7, first 2 shown]
	v_fma_f64 v[44:45], v[44:45], v[40:41], -v[52:53]
	v_fma_f64 v[40:41], v[46:47], v[40:41], v[42:43]
	v_mul_f64 v[42:43], v[5:6], v[20:21]
	v_mul_f64 v[46:47], v[3:4], v[20:21]
	;; [unrolled: 1-line block ×8, first 2 shown]
	v_add_f64 v[50:51], v[50:51], v[80:81]
	v_add_f64 v[38:39], v[38:39], v[56:57]
	;; [unrolled: 1-line block ×8, first 2 shown]
	v_fma_f64 v[42:43], v[3:4], v[18:19], -v[42:43]
	v_fma_f64 v[44:45], v[5:6], v[18:19], v[46:47]
	v_fma_f64 v[3:4], v[3:4], v[22:23], -v[52:53]
	v_fma_f64 v[5:6], v[5:6], v[22:23], v[64:65]
	;; [unrolled: 2-line block ×4, first 2 shown]
	v_add_f64 v[22:23], v[38:39], v[42:43]
	v_add_f64 v[24:25], v[44:45], v[54:55]
	;; [unrolled: 1-line block ×8, first 2 shown]
	s_cbranch_scc0 .LBB405_15
.LBB405_7:                              ; =>This Inner Loop Header: Depth=1
	v_add_nc_u32_e32 v3, s9, v27
	v_cmp_le_i32_e32 vcc_lo, s11, v3
	s_or_b32 s6, s1, vcc_lo
	s_and_saveexec_b32 s7, s6
	s_xor_b32 s6, exec_lo, s7
	s_cbranch_execz .LBB405_9
; %bb.8:                                ;   in Loop: Header=BB405_7 Depth=1
	v_mov_b32_e32 v3, v2
	v_mov_b32_e32 v4, v2
	;; [unrolled: 1-line block ×3, first 2 shown]
	ds_write_b128 v28, v[2:5]
.LBB405_9:                              ;   in Loop: Header=BB405_7 Depth=1
	s_andn2_saveexec_b32 s6, s6
	s_cbranch_execz .LBB405_11
; %bb.10:                               ;   in Loop: Header=BB405_7 Depth=1
	flat_load_dwordx4 v[32:35], v[10:11]
	s_waitcnt vmcnt(0) lgkmcnt(0)
	ds_write2_b64 v28, v[32:33], v[34:35] offset1:1
.LBB405_11:                             ;   in Loop: Header=BB405_7 Depth=1
	s_or_b32 exec_lo, exec_lo, s6
	v_add_nc_u32_e32 v3, s9, v26
	v_cmp_le_i32_e32 vcc_lo, s11, v3
	s_or_b32 s6, vcc_lo, s0
	s_and_saveexec_b32 s7, s6
	s_xor_b32 s6, exec_lo, s7
	s_cbranch_execz .LBB405_13
; %bb.12:                               ;   in Loop: Header=BB405_7 Depth=1
	v_mov_b32_e32 v3, v2
	v_mov_b32_e32 v4, v2
	;; [unrolled: 1-line block ×3, first 2 shown]
	ds_write_b128 v29, v[2:5]
.LBB405_13:                             ;   in Loop: Header=BB405_7 Depth=1
	s_andn2_saveexec_b32 s6, s6
	s_cbranch_execz .LBB405_6
; %bb.14:                               ;   in Loop: Header=BB405_7 Depth=1
	flat_load_dwordx4 v[32:35], v[12:13]
	s_waitcnt vmcnt(0) lgkmcnt(0)
	ds_write2_b64 v29, v[32:33], v[34:35] offset1:1
	s_branch .LBB405_6
.LBB405_15:
	s_clause 0x1
	s_load_dword s3, s[4:5], 0x50
	s_load_dwordx2 s[4:5], s[4:5], 0x58
	v_cmp_neq_f64_e64 s2, s[12:13], 0
	v_add_nc_u32_e32 v27, s31, v1
	v_add_nc_u32_e32 v4, s8, v0
	v_cmp_le_i32_e32 vcc_lo, v27, v4
	v_cmp_gt_i32_e64 s0, s10, v4
	v_ashrrev_i32_e32 v5, 31, v4
	s_waitcnt lgkmcnt(0)
	v_mad_i64_i32 v[0:1], null, v27, s3, 0
	s_lshl_b64 s[4:5], s[4:5], 4
	s_add_u32 s4, s22, s4
	s_addc_u32 s5, s23, s5
	s_xor_b32 s6, s30, -1
	s_or_b32 s2, s2, s6
	v_lshlrev_b64 v[0:1], 4, v[0:1]
	v_cndmask_b32_e64 v26, 0, 1, s2
	s_and_b32 s6, vcc_lo, s0
	v_add_co_u32 v12, s1, s4, v0
	v_add_co_ci_u32_e64 v13, null, s5, v1, s1
	s_and_saveexec_b32 s1, s6
	s_cbranch_execz .LBB405_19
; %bb.16:
	v_mul_f64 v[0:1], s[18:19], v[24:25]
	v_mul_f64 v[2:3], s[16:17], v[24:25]
	v_lshlrev_b64 v[10:11], 4, v[4:5]
	v_add_co_u32 v10, vcc_lo, v12, v10
	v_add_co_ci_u32_e64 v11, null, v13, v11, vcc_lo
	s_andn2_b32 vcc_lo, exec_lo, s2
	v_fma_f64 v[0:1], s[16:17], v[22:23], -v[0:1]
	v_fma_f64 v[2:3], s[18:19], v[22:23], v[2:3]
	s_cbranch_vccnz .LBB405_18
; %bb.17:
	flat_load_dwordx4 v[22:25], v[10:11]
	s_waitcnt vmcnt(0) lgkmcnt(0)
	v_mul_f64 v[28:29], s[14:15], v[24:25]
	v_mul_f64 v[24:25], s[12:13], v[24:25]
	v_fma_f64 v[28:29], s[12:13], v[22:23], -v[28:29]
	v_fma_f64 v[22:23], s[14:15], v[22:23], v[24:25]
	v_add_f64 v[0:1], v[0:1], v[28:29]
	v_add_f64 v[2:3], v[2:3], v[22:23]
.LBB405_18:
	flat_store_dwordx4 v[10:11], v[0:3]
.LBB405_19:
	s_or_b32 exec_lo, exec_lo, s1
	v_add_nc_u32_e32 v10, 16, v4
	v_cmp_le_i32_e32 vcc_lo, v27, v10
	v_cmp_gt_i32_e64 s1, s10, v10
	v_ashrrev_i32_e32 v11, 31, v10
	s_and_b32 s2, vcc_lo, s1
	s_and_saveexec_b32 s6, s2
	s_cbranch_execz .LBB405_23
; %bb.20:
	v_mul_f64 v[0:1], s[18:19], v[20:21]
	v_mul_f64 v[2:3], s[16:17], v[20:21]
	v_cmp_ne_u32_e32 vcc_lo, 1, v26
	s_and_b32 vcc_lo, exec_lo, vcc_lo
	v_fma_f64 v[0:1], s[16:17], v[18:19], -v[0:1]
	v_fma_f64 v[2:3], s[18:19], v[18:19], v[2:3]
	v_lshlrev_b64 v[18:19], 4, v[10:11]
	v_add_co_u32 v12, s2, v12, v18
	v_add_co_ci_u32_e64 v13, null, v13, v19, s2
	s_cbranch_vccnz .LBB405_22
; %bb.21:
	flat_load_dwordx4 v[18:21], v[12:13]
	s_waitcnt vmcnt(0) lgkmcnt(0)
	v_mul_f64 v[22:23], s[14:15], v[20:21]
	v_mul_f64 v[20:21], s[12:13], v[20:21]
	v_fma_f64 v[22:23], s[12:13], v[18:19], -v[22:23]
	v_fma_f64 v[18:19], s[14:15], v[18:19], v[20:21]
	v_add_f64 v[0:1], v[0:1], v[22:23]
	v_add_f64 v[2:3], v[2:3], v[18:19]
.LBB405_22:
	flat_store_dwordx4 v[12:13], v[0:3]
.LBB405_23:
	s_or_b32 exec_lo, exec_lo, s6
	v_add_nc_u32_e32 v18, 16, v27
	v_mad_i64_i32 v[0:1], null, v18, s3, 0
	v_cmp_le_i32_e32 vcc_lo, v18, v4
	s_and_b32 s0, vcc_lo, s0
	v_lshlrev_b64 v[0:1], 4, v[0:1]
	v_add_co_u32 v12, s2, s4, v0
	v_add_co_ci_u32_e64 v13, null, s5, v1, s2
	s_and_saveexec_b32 s2, s0
	s_cbranch_execz .LBB405_27
; %bb.24:
	v_mul_f64 v[0:1], s[18:19], v[16:17]
	v_mul_f64 v[2:3], s[16:17], v[16:17]
	v_lshlrev_b64 v[4:5], 4, v[4:5]
	v_cmp_ne_u32_e32 vcc_lo, 1, v26
	s_and_b32 vcc_lo, exec_lo, vcc_lo
	v_add_co_u32 v4, s0, v12, v4
	v_add_co_ci_u32_e64 v5, null, v13, v5, s0
	v_fma_f64 v[0:1], s[16:17], v[14:15], -v[0:1]
	v_fma_f64 v[2:3], s[18:19], v[14:15], v[2:3]
	s_cbranch_vccnz .LBB405_26
; %bb.25:
	flat_load_dwordx4 v[14:17], v[4:5]
	s_waitcnt vmcnt(0) lgkmcnt(0)
	v_mul_f64 v[19:20], s[14:15], v[16:17]
	v_mul_f64 v[16:17], s[12:13], v[16:17]
	v_fma_f64 v[19:20], s[12:13], v[14:15], -v[19:20]
	v_fma_f64 v[14:15], s[14:15], v[14:15], v[16:17]
	v_add_f64 v[0:1], v[0:1], v[19:20]
	v_add_f64 v[2:3], v[2:3], v[14:15]
.LBB405_26:
	flat_store_dwordx4 v[4:5], v[0:3]
.LBB405_27:
	s_or_b32 exec_lo, exec_lo, s2
	v_cmp_le_i32_e32 vcc_lo, v18, v10
	s_and_b32 s0, vcc_lo, s1
	s_and_saveexec_b32 s1, s0
	s_cbranch_execz .LBB405_32
; %bb.28:
	v_mul_f64 v[0:1], s[18:19], v[6:7]
	v_mul_f64 v[2:3], s[16:17], v[6:7]
	v_lshlrev_b64 v[4:5], 4, v[10:11]
	v_cmp_ne_u32_e32 vcc_lo, 1, v26
	s_and_b32 vcc_lo, exec_lo, vcc_lo
	v_add_co_u32 v4, s0, v12, v4
	v_add_co_ci_u32_e64 v5, null, v13, v5, s0
	v_fma_f64 v[0:1], s[16:17], v[8:9], -v[0:1]
	v_fma_f64 v[2:3], s[18:19], v[8:9], v[2:3]
	s_cbranch_vccnz .LBB405_30
; %bb.29:
	flat_load_dwordx4 v[6:9], v[4:5]
	s_waitcnt vmcnt(0) lgkmcnt(0)
	v_mul_f64 v[10:11], s[14:15], v[8:9]
	v_mul_f64 v[8:9], s[12:13], v[8:9]
	v_fma_f64 v[10:11], s[12:13], v[6:7], -v[10:11]
	v_fma_f64 v[6:7], s[14:15], v[6:7], v[8:9]
	v_add_f64 v[0:1], v[0:1], v[10:11]
	v_add_f64 v[2:3], v[2:3], v[6:7]
.LBB405_30:
	flat_store_dwordx4 v[4:5], v[0:3]
	s_endpgm
.LBB405_31:
.LBB405_32:
	s_endpgm
	.section	.rodata,"a",@progbits
	.p2align	6, 0x0
	.amdhsa_kernel _ZL29rocblas_internal_gemmt_kernelIiLi16ELi32ELi8ELc78ELc78ELc76ELb0ELb0E19rocblas_complex_numIdEPKS1_PKS3_PKPS1_EviT_T9_T10_S9_lSB_S9_lSA_T11_S9_li
		.amdhsa_group_segment_fixed_size 8192
		.amdhsa_private_segment_fixed_size 0
		.amdhsa_kernarg_size 100
		.amdhsa_user_sgpr_count 6
		.amdhsa_user_sgpr_private_segment_buffer 1
		.amdhsa_user_sgpr_dispatch_ptr 0
		.amdhsa_user_sgpr_queue_ptr 0
		.amdhsa_user_sgpr_kernarg_segment_ptr 1
		.amdhsa_user_sgpr_dispatch_id 0
		.amdhsa_user_sgpr_flat_scratch_init 0
		.amdhsa_user_sgpr_private_segment_size 0
		.amdhsa_wavefront_size32 1
		.amdhsa_uses_dynamic_stack 0
		.amdhsa_system_sgpr_private_segment_wavefront_offset 0
		.amdhsa_system_sgpr_workgroup_id_x 1
		.amdhsa_system_sgpr_workgroup_id_y 1
		.amdhsa_system_sgpr_workgroup_id_z 1
		.amdhsa_system_sgpr_workgroup_info 0
		.amdhsa_system_vgpr_workitem_id 1
		.amdhsa_next_free_vgpr 128
		.amdhsa_next_free_sgpr 32
		.amdhsa_reserve_vcc 1
		.amdhsa_reserve_flat_scratch 0
		.amdhsa_float_round_mode_32 0
		.amdhsa_float_round_mode_16_64 0
		.amdhsa_float_denorm_mode_32 3
		.amdhsa_float_denorm_mode_16_64 3
		.amdhsa_dx10_clamp 1
		.amdhsa_ieee_mode 1
		.amdhsa_fp16_overflow 0
		.amdhsa_workgroup_processor_mode 1
		.amdhsa_memory_ordered 1
		.amdhsa_forward_progress 1
		.amdhsa_shared_vgpr_count 0
		.amdhsa_exception_fp_ieee_invalid_op 0
		.amdhsa_exception_fp_denorm_src 0
		.amdhsa_exception_fp_ieee_div_zero 0
		.amdhsa_exception_fp_ieee_overflow 0
		.amdhsa_exception_fp_ieee_underflow 0
		.amdhsa_exception_fp_ieee_inexact 0
		.amdhsa_exception_int_div_zero 0
	.end_amdhsa_kernel
	.section	.text._ZL29rocblas_internal_gemmt_kernelIiLi16ELi32ELi8ELc78ELc78ELc76ELb0ELb0E19rocblas_complex_numIdEPKS1_PKS3_PKPS1_EviT_T9_T10_S9_lSB_S9_lSA_T11_S9_li,"axG",@progbits,_ZL29rocblas_internal_gemmt_kernelIiLi16ELi32ELi8ELc78ELc78ELc76ELb0ELb0E19rocblas_complex_numIdEPKS1_PKS3_PKPS1_EviT_T9_T10_S9_lSB_S9_lSA_T11_S9_li,comdat
.Lfunc_end405:
	.size	_ZL29rocblas_internal_gemmt_kernelIiLi16ELi32ELi8ELc78ELc78ELc76ELb0ELb0E19rocblas_complex_numIdEPKS1_PKS3_PKPS1_EviT_T9_T10_S9_lSB_S9_lSA_T11_S9_li, .Lfunc_end405-_ZL29rocblas_internal_gemmt_kernelIiLi16ELi32ELi8ELc78ELc78ELc76ELb0ELb0E19rocblas_complex_numIdEPKS1_PKS3_PKPS1_EviT_T9_T10_S9_lSB_S9_lSA_T11_S9_li
                                        ; -- End function
	.set _ZL29rocblas_internal_gemmt_kernelIiLi16ELi32ELi8ELc78ELc78ELc76ELb0ELb0E19rocblas_complex_numIdEPKS1_PKS3_PKPS1_EviT_T9_T10_S9_lSB_S9_lSA_T11_S9_li.num_vgpr, 128
	.set _ZL29rocblas_internal_gemmt_kernelIiLi16ELi32ELi8ELc78ELc78ELc76ELb0ELb0E19rocblas_complex_numIdEPKS1_PKS3_PKPS1_EviT_T9_T10_S9_lSB_S9_lSA_T11_S9_li.num_agpr, 0
	.set _ZL29rocblas_internal_gemmt_kernelIiLi16ELi32ELi8ELc78ELc78ELc76ELb0ELb0E19rocblas_complex_numIdEPKS1_PKS3_PKPS1_EviT_T9_T10_S9_lSB_S9_lSA_T11_S9_li.numbered_sgpr, 32
	.set _ZL29rocblas_internal_gemmt_kernelIiLi16ELi32ELi8ELc78ELc78ELc76ELb0ELb0E19rocblas_complex_numIdEPKS1_PKS3_PKPS1_EviT_T9_T10_S9_lSB_S9_lSA_T11_S9_li.num_named_barrier, 0
	.set _ZL29rocblas_internal_gemmt_kernelIiLi16ELi32ELi8ELc78ELc78ELc76ELb0ELb0E19rocblas_complex_numIdEPKS1_PKS3_PKPS1_EviT_T9_T10_S9_lSB_S9_lSA_T11_S9_li.private_seg_size, 0
	.set _ZL29rocblas_internal_gemmt_kernelIiLi16ELi32ELi8ELc78ELc78ELc76ELb0ELb0E19rocblas_complex_numIdEPKS1_PKS3_PKPS1_EviT_T9_T10_S9_lSB_S9_lSA_T11_S9_li.uses_vcc, 1
	.set _ZL29rocblas_internal_gemmt_kernelIiLi16ELi32ELi8ELc78ELc78ELc76ELb0ELb0E19rocblas_complex_numIdEPKS1_PKS3_PKPS1_EviT_T9_T10_S9_lSB_S9_lSA_T11_S9_li.uses_flat_scratch, 0
	.set _ZL29rocblas_internal_gemmt_kernelIiLi16ELi32ELi8ELc78ELc78ELc76ELb0ELb0E19rocblas_complex_numIdEPKS1_PKS3_PKPS1_EviT_T9_T10_S9_lSB_S9_lSA_T11_S9_li.has_dyn_sized_stack, 0
	.set _ZL29rocblas_internal_gemmt_kernelIiLi16ELi32ELi8ELc78ELc78ELc76ELb0ELb0E19rocblas_complex_numIdEPKS1_PKS3_PKPS1_EviT_T9_T10_S9_lSB_S9_lSA_T11_S9_li.has_recursion, 0
	.set _ZL29rocblas_internal_gemmt_kernelIiLi16ELi32ELi8ELc78ELc78ELc76ELb0ELb0E19rocblas_complex_numIdEPKS1_PKS3_PKPS1_EviT_T9_T10_S9_lSB_S9_lSA_T11_S9_li.has_indirect_call, 0
	.section	.AMDGPU.csdata,"",@progbits
; Kernel info:
; codeLenInByte = 3552
; TotalNumSgprs: 34
; NumVgprs: 128
; ScratchSize: 0
; MemoryBound: 0
; FloatMode: 240
; IeeeMode: 1
; LDSByteSize: 8192 bytes/workgroup (compile time only)
; SGPRBlocks: 0
; VGPRBlocks: 15
; NumSGPRsForWavesPerEU: 34
; NumVGPRsForWavesPerEU: 128
; Occupancy: 8
; WaveLimiterHint : 1
; COMPUTE_PGM_RSRC2:SCRATCH_EN: 0
; COMPUTE_PGM_RSRC2:USER_SGPR: 6
; COMPUTE_PGM_RSRC2:TRAP_HANDLER: 0
; COMPUTE_PGM_RSRC2:TGID_X_EN: 1
; COMPUTE_PGM_RSRC2:TGID_Y_EN: 1
; COMPUTE_PGM_RSRC2:TGID_Z_EN: 1
; COMPUTE_PGM_RSRC2:TIDIG_COMP_CNT: 1
	.section	.text._ZL29rocblas_internal_gemmt_kernelIiLi16ELi32ELi8ELc78ELc84ELc76ELb0ELb0E19rocblas_complex_numIdEPKS1_PKS3_PKPS1_EviT_T9_T10_S9_lSB_S9_lSA_T11_S9_li,"axG",@progbits,_ZL29rocblas_internal_gemmt_kernelIiLi16ELi32ELi8ELc78ELc84ELc76ELb0ELb0E19rocblas_complex_numIdEPKS1_PKS3_PKPS1_EviT_T9_T10_S9_lSB_S9_lSA_T11_S9_li,comdat
	.globl	_ZL29rocblas_internal_gemmt_kernelIiLi16ELi32ELi8ELc78ELc84ELc76ELb0ELb0E19rocblas_complex_numIdEPKS1_PKS3_PKPS1_EviT_T9_T10_S9_lSB_S9_lSA_T11_S9_li ; -- Begin function _ZL29rocblas_internal_gemmt_kernelIiLi16ELi32ELi8ELc78ELc84ELc76ELb0ELb0E19rocblas_complex_numIdEPKS1_PKS3_PKPS1_EviT_T9_T10_S9_lSB_S9_lSA_T11_S9_li
	.p2align	8
	.type	_ZL29rocblas_internal_gemmt_kernelIiLi16ELi32ELi8ELc78ELc84ELc76ELb0ELb0E19rocblas_complex_numIdEPKS1_PKS3_PKPS1_EviT_T9_T10_S9_lSB_S9_lSA_T11_S9_li,@function
_ZL29rocblas_internal_gemmt_kernelIiLi16ELi32ELi8ELc78ELc84ELc76ELb0ELb0E19rocblas_complex_numIdEPKS1_PKS3_PKPS1_EviT_T9_T10_S9_lSB_S9_lSA_T11_S9_li: ; @_ZL29rocblas_internal_gemmt_kernelIiLi16ELi32ELi8ELc78ELc84ELc76ELb0ELb0E19rocblas_complex_numIdEPKS1_PKS3_PKPS1_EviT_T9_T10_S9_lSB_S9_lSA_T11_S9_li
; %bb.0:
	s_load_dwordx4 s[20:23], s[4:5], 0x38
	s_waitcnt lgkmcnt(0)
	s_load_dwordx4 s[12:15], s[22:23], 0x0
	s_clause 0x1
	s_load_dwordx4 s[0:3], s[4:5], 0x8
	s_load_dwordx2 s[10:11], s[4:5], 0x0
	s_waitcnt lgkmcnt(0)
	s_load_dwordx4 s[16:19], s[0:1], 0x0
	v_cmp_eq_f64_e64 s9, s[12:13], 1.0
	v_cmp_eq_f64_e64 s33, s[14:15], 0
	s_and_b32 s0, s9, s33
	s_andn2_b32 vcc_lo, exec_lo, s0
	s_mov_b32 s0, -1
	s_cbranch_vccnz .LBB406_3
; %bb.1:
	s_cmp_lg_u32 s11, 0
	s_cbranch_scc0 .LBB406_31
; %bb.2:
	s_waitcnt lgkmcnt(0)
	v_cmp_neq_f64_e64 s0, s[16:17], 0
	v_cmp_neq_f64_e64 s1, s[18:19], 0
	s_or_b32 s0, s0, s1
.LBB406_3:
	s_and_b32 vcc_lo, exec_lo, s0
	s_cbranch_vccz .LBB406_32
; %bb.4:
	s_load_dwordx2 s[0:1], s[4:5], 0x48
	s_waitcnt lgkmcnt(0)
	v_cmp_eq_f64_e64 s24, s[16:17], 0
	v_cmp_eq_f64_e64 s25, s[18:19], 0
	s_mov_b32 s9, 0
	v_mov_b32_e32 v22, 0
	s_lshl_b64 s[30:31], s[8:9], 3
	v_mov_b32_e32 v24, 0
	v_mov_b32_e32 v18, 0
	;; [unrolled: 1-line block ×14, first 2 shown]
	s_add_u32 s0, s0, s30
	s_addc_u32 s1, s1, s31
	s_lshl_b32 s8, s6, 5
	s_load_dwordx2 s[22:23], s[0:1], 0x0
	s_lshl_b32 s34, s7, 5
	s_and_b32 s0, s24, s25
	s_cmp_lt_i32 s11, 1
	v_mov_b32_e32 v7, 0
	s_cselect_b32 s1, -1, 0
	s_or_b32 s0, s0, s1
	s_and_b32 vcc_lo, exec_lo, s0
	s_cbranch_vccnz .LBB406_15
; %bb.5:
	s_clause 0x2
	s_load_dword s28, s[4:5], 0x18
	s_load_dword s6, s[4:5], 0x30
	s_load_dwordx4 s[24:27], s[4:5], 0x20
	v_lshl_add_u32 v2, v1, 4, v0
	v_and_b32_e32 v26, 7, v0
	v_mov_b32_e32 v16, 0
	v_mov_b32_e32 v14, 0
	;; [unrolled: 1-line block ×3, first 2 shown]
	v_and_b32_e32 v3, 31, v2
	v_lshrrev_b32_e32 v4, 3, v2
	v_lshlrev_b32_e32 v5, 4, v26
	v_lshrrev_b32_e32 v27, 5, v2
	v_mov_b32_e32 v18, 0
	v_or_b32_e32 v6, s8, v3
	v_lshlrev_b32_e32 v7, 4, v3
	v_lshl_or_b32 v8, v4, 7, v5
	v_add_nc_u32_e32 v2, s34, v4
	v_add_nc_u32_e32 v4, s8, v3
	v_cmp_gt_i32_e32 vcc_lo, s10, v6
	v_lshl_or_b32 v28, v27, 9, v7
	s_waitcnt lgkmcnt(0)
	s_ashr_i32 s29, s28, 31
	s_ashr_i32 s7, s6, 31
	v_mad_i64_i32 v[5:6], null, v27, s28, 0
	s_add_u32 s26, s26, s30
	s_addc_u32 s27, s27, s31
	s_add_u32 s2, s2, s30
	s_addc_u32 s3, s3, s31
	s_load_dwordx2 s[26:27], s[26:27], 0x0
	s_load_dwordx2 s[2:3], s[2:3], 0x0
	v_add_nc_u32_e32 v29, 0x1000, v8
	v_lshlrev_b64 v[6:7], 4, v[5:6]
	v_mad_i64_i32 v[8:9], null, s6, v26, 0
	v_ashrrev_i32_e32 v5, 31, v4
	s_lshl_b64 s[24:25], s[24:25], 4
	v_ashrrev_i32_e32 v3, 31, v2
	v_add_co_u32 v10, s1, v6, s24
	v_lshlrev_b64 v[4:5], 4, v[4:5]
	v_add_co_ci_u32_e64 v11, null, s25, v7, s1
	v_lshlrev_b64 v[6:7], 4, v[8:9]
	s_lshl_b64 s[20:21], s[20:21], 4
	v_cmp_gt_i32_e64 s0, s10, v2
	v_add_co_u32 v4, s1, v10, v4
	v_lshlrev_b64 v[2:3], 4, v[2:3]
	v_add_co_ci_u32_e64 v5, null, v11, v5, s1
	v_add_co_u32 v6, s1, v6, s20
	v_add_co_ci_u32_e64 v7, null, s21, v7, s1
	s_waitcnt lgkmcnt(0)
	v_add_co_u32 v10, s1, s2, v4
	v_add_co_ci_u32_e64 v11, null, s3, v5, s1
	v_add_co_u32 v2, s1, v6, v2
	v_add_co_ci_u32_e64 v3, null, v7, v3, s1
	v_mov_b32_e32 v6, 0
	v_add_co_u32 v12, s1, s26, v2
	v_mov_b32_e32 v8, 0
	v_mov_b32_e32 v24, 0
	;; [unrolled: 1-line block ×3, first 2 shown]
	v_lshlrev_b32_e32 v30, 4, v0
	v_lshl_add_u32 v31, v1, 7, 0x1000
	v_add_co_ci_u32_e64 v13, null, s27, v3, s1
	v_mov_b32_e32 v7, 0
	v_mov_b32_e32 v9, 0
	;; [unrolled: 1-line block ×9, first 2 shown]
	s_lshl_b64 s[2:3], s[28:29], 7
	s_lshl_b64 s[6:7], s[6:7], 7
	s_xor_b32 s1, vcc_lo, -1
	s_xor_b32 s0, s0, -1
	s_branch .LBB406_7
.LBB406_6:                              ;   in Loop: Header=BB406_7 Depth=1
	s_or_b32 exec_lo, exec_lo, s20
	s_waitcnt lgkmcnt(0)
	s_barrier
	buffer_gl0_inv
	ds_read_b128 v[32:35], v31
	ds_read_b128 v[36:39], v30
	ds_read_b128 v[40:43], v30 offset:256
	ds_read_b128 v[44:47], v31 offset:2048
	ds_read_b128 v[48:51], v31 offset:16
	ds_read_b128 v[52:55], v30 offset:512
	ds_read_b128 v[56:59], v30 offset:768
	ds_read_b128 v[60:63], v31 offset:2064
	ds_read_b128 v[64:67], v31 offset:32
	ds_read_b128 v[68:71], v30 offset:1024
	ds_read_b128 v[72:75], v30 offset:1280
	ds_read_b128 v[76:79], v31 offset:2080
	ds_read_b128 v[80:83], v31 offset:48
	ds_read_b128 v[84:87], v31 offset:2096
	v_add_co_u32 v10, vcc_lo, v10, s2
	v_add_co_ci_u32_e64 v11, null, s3, v11, vcc_lo
	v_add_co_u32 v12, vcc_lo, v12, s6
	v_add_co_ci_u32_e64 v13, null, s7, v13, vcc_lo
	s_waitcnt lgkmcnt(12)
	v_mul_f64 v[3:4], v[34:35], v[38:39]
	v_mul_f64 v[88:89], v[32:33], v[38:39]
	s_waitcnt lgkmcnt(11)
	v_mul_f64 v[90:91], v[34:35], v[42:43]
	v_mul_f64 v[92:93], v[32:33], v[42:43]
	;; [unrolled: 3-line block ×3, first 2 shown]
	v_mul_f64 v[96:97], v[46:47], v[42:43]
	v_mul_f64 v[42:43], v[44:45], v[42:43]
	s_waitcnt lgkmcnt(8)
	v_mul_f64 v[98:99], v[50:51], v[54:55]
	v_mul_f64 v[100:101], v[48:49], v[54:55]
	s_waitcnt lgkmcnt(7)
	;; [unrolled: 3-line block ×3, first 2 shown]
	v_mul_f64 v[106:107], v[62:63], v[54:55]
	v_mul_f64 v[54:55], v[60:61], v[54:55]
	;; [unrolled: 1-line block ×4, first 2 shown]
	s_waitcnt lgkmcnt(4)
	v_mul_f64 v[110:111], v[66:67], v[70:71]
	v_mul_f64 v[112:113], v[64:65], v[70:71]
	s_waitcnt lgkmcnt(3)
	v_mul_f64 v[114:115], v[66:67], v[74:75]
	v_mul_f64 v[116:117], v[64:65], v[74:75]
	;; [unrolled: 3-line block ×3, first 2 shown]
	v_fma_f64 v[3:4], v[32:33], v[36:37], -v[3:4]
	v_fma_f64 v[88:89], v[34:35], v[36:37], v[88:89]
	v_fma_f64 v[90:91], v[32:33], v[40:41], -v[90:91]
	v_fma_f64 v[92:93], v[34:35], v[40:41], v[92:93]
	;; [unrolled: 2-line block ×4, first 2 shown]
	v_mul_f64 v[124:125], v[78:79], v[74:75]
	v_mul_f64 v[74:75], v[76:77], v[74:75]
	ds_read_b128 v[32:35], v30 offset:1536
	ds_read_b128 v[36:39], v30 offset:1792
	v_fma_f64 v[98:99], v[48:49], v[52:53], -v[98:99]
	v_fma_f64 v[100:101], v[50:51], v[52:53], v[100:101]
	v_fma_f64 v[102:103], v[48:49], v[56:57], -v[102:103]
	v_fma_f64 v[104:105], v[50:51], v[56:57], v[104:105]
	v_fma_f64 v[106:107], v[60:61], v[52:53], -v[106:107]
	v_fma_f64 v[126:127], v[62:63], v[52:53], v[54:55]
	v_fma_f64 v[60:61], v[60:61], v[56:57], -v[108:109]
	v_fma_f64 v[56:57], v[62:63], v[56:57], v[58:59]
	v_fma_f64 v[58:59], v[64:65], v[68:69], -v[110:111]
	v_fma_f64 v[62:63], v[66:67], v[68:69], v[112:113]
	v_fma_f64 v[64:65], v[64:65], v[72:73], -v[114:115]
	v_fma_f64 v[66:67], v[66:67], v[72:73], v[116:117]
	v_fma_f64 v[108:109], v[76:77], v[68:69], -v[118:119]
	v_fma_f64 v[68:69], v[78:79], v[68:69], v[70:71]
	v_add_f64 v[22:23], v[22:23], v[3:4]
	v_add_f64 v[24:25], v[88:89], v[24:25]
	;; [unrolled: 1-line block ×4, first 2 shown]
	s_waitcnt lgkmcnt(1)
	v_mul_f64 v[110:111], v[82:83], v[34:35]
	v_mul_f64 v[112:113], v[80:81], v[34:35]
	s_waitcnt lgkmcnt(0)
	v_mul_f64 v[70:71], v[82:83], v[38:39]
	v_fma_f64 v[76:77], v[76:77], v[72:73], -v[124:125]
	v_fma_f64 v[72:73], v[78:79], v[72:73], v[74:75]
	v_add_f64 v[74:75], v[14:15], v[94:95]
	v_add_f64 v[78:79], v[120:121], v[16:17]
	;; [unrolled: 1-line block ×4, first 2 shown]
	ds_read_b128 v[40:43], v31 offset:64
	ds_read_b128 v[44:47], v30 offset:2048
	;; [unrolled: 1-line block ×3, first 2 shown]
	v_mul_f64 v[114:115], v[80:81], v[38:39]
	v_mul_f64 v[116:117], v[86:87], v[34:35]
	;; [unrolled: 1-line block ×5, first 2 shown]
	ds_read_b128 v[52:55], v31 offset:2112
	ds_read_b128 v[14:17], v31 offset:2128
	v_add_f64 v[98:99], v[22:23], v[98:99]
	v_add_f64 v[100:101], v[100:101], v[24:25]
	;; [unrolled: 1-line block ×4, first 2 shown]
	v_fma_f64 v[92:93], v[80:81], v[32:33], -v[110:111]
	v_fma_f64 v[94:95], v[82:83], v[32:33], v[112:113]
	v_fma_f64 v[70:71], v[80:81], v[36:37], -v[70:71]
	ds_read_b128 v[18:21], v30 offset:2560
	ds_read_b128 v[3:6], v31 offset:80
	;; [unrolled: 1-line block ×3, first 2 shown]
	v_add_f64 v[74:75], v[74:75], v[106:107]
	s_waitcnt lgkmcnt(6)
	v_mul_f64 v[80:81], v[42:43], v[46:47]
	v_mul_f64 v[96:97], v[40:41], v[46:47]
	s_waitcnt lgkmcnt(5)
	v_mul_f64 v[110:111], v[42:43], v[50:51]
	v_mul_f64 v[112:113], v[40:41], v[50:51]
	v_add_f64 v[78:79], v[126:127], v[78:79]
	v_add_f64 v[7:8], v[8:9], v[60:61]
	;; [unrolled: 1-line block ×3, first 2 shown]
	v_fma_f64 v[82:83], v[82:83], v[36:37], v[114:115]
	s_waitcnt lgkmcnt(4)
	v_mul_f64 v[114:115], v[54:55], v[46:47]
	v_mul_f64 v[46:47], v[52:53], v[46:47]
	v_fma_f64 v[60:61], v[84:85], v[32:33], -v[116:117]
	v_fma_f64 v[88:89], v[86:87], v[32:33], v[34:35]
	v_fma_f64 v[84:85], v[84:85], v[36:37], -v[90:91]
	v_fma_f64 v[86:87], v[86:87], v[36:37], v[38:39]
	v_add_f64 v[58:59], v[98:99], v[58:59]
	v_add_f64 v[62:63], v[62:63], v[100:101]
	;; [unrolled: 1-line block ×4, first 2 shown]
	s_waitcnt lgkmcnt(0)
	v_mul_f64 v[98:99], v[3:4], v[24:25]
	v_mul_f64 v[100:101], v[16:17], v[20:21]
	;; [unrolled: 1-line block ×3, first 2 shown]
	v_add_f64 v[74:75], v[74:75], v[108:109]
	v_fma_f64 v[80:81], v[40:41], v[44:45], -v[80:81]
	v_fma_f64 v[90:91], v[42:43], v[44:45], v[96:97]
	v_fma_f64 v[96:97], v[40:41], v[48:49], -v[110:111]
	v_fma_f64 v[106:107], v[42:43], v[48:49], v[112:113]
	v_mul_f64 v[40:41], v[54:55], v[50:51]
	v_mul_f64 v[42:43], v[52:53], v[50:51]
	v_add_f64 v[68:69], v[68:69], v[78:79]
	v_add_f64 v[7:8], v[7:8], v[76:77]
	;; [unrolled: 1-line block ×3, first 2 shown]
	v_fma_f64 v[50:51], v[52:53], v[44:45], -v[114:115]
	v_fma_f64 v[110:111], v[54:55], v[44:45], v[46:47]
	v_mul_f64 v[72:73], v[5:6], v[20:21]
	v_mul_f64 v[76:77], v[3:4], v[20:21]
	;; [unrolled: 1-line block ×5, first 2 shown]
	ds_read_b128 v[32:35], v31 offset:96
	ds_read_b128 v[36:39], v30 offset:3072
	s_add_i32 s9, s9, 8
	s_cmp_lt_i32 s9, s11
	v_add_f64 v[60:61], v[74:75], v[60:61]
	v_fma_f64 v[74:75], v[5:6], v[22:23], v[98:99]
	v_fma_f64 v[52:53], v[52:53], v[48:49], -v[40:41]
	v_fma_f64 v[48:49], v[54:55], v[48:49], v[42:43]
	v_add_f64 v[54:55], v[58:59], v[92:93]
	v_add_f64 v[58:59], v[94:95], v[62:63]
	;; [unrolled: 1-line block ×7, first 2 shown]
	ds_read_b128 v[40:43], v30 offset:3328
	ds_read_b128 v[44:47], v31 offset:2144
	v_fma_f64 v[68:69], v[3:4], v[18:19], -v[72:73]
	v_fma_f64 v[70:71], v[5:6], v[18:19], v[76:77]
	v_fma_f64 v[72:73], v[3:4], v[22:23], -v[78:79]
	v_fma_f64 v[76:77], v[14:15], v[18:19], -v[100:101]
	v_fma_f64 v[78:79], v[16:17], v[18:19], v[20:21]
	v_fma_f64 v[82:83], v[14:15], v[22:23], -v[102:103]
	s_waitcnt lgkmcnt(2)
	v_mul_f64 v[84:85], v[34:35], v[38:39]
	v_fma_f64 v[86:87], v[16:17], v[22:23], v[24:25]
	v_mul_f64 v[88:89], v[32:33], v[38:39]
	v_add_f64 v[50:51], v[60:61], v[50:51]
	ds_read_b128 v[3:6], v31 offset:112
	ds_read_b128 v[14:17], v31 offset:2160
	;; [unrolled: 1-line block ×4, first 2 shown]
	s_waitcnt lgkmcnt(0)
	v_add_f64 v[54:55], v[54:55], v[80:81]
	v_add_f64 v[58:59], v[90:91], v[58:59]
	;; [unrolled: 1-line block ×4, first 2 shown]
	v_mul_f64 v[92:93], v[34:35], v[42:43]
	v_mul_f64 v[94:95], v[32:33], v[42:43]
	;; [unrolled: 1-line block ×4, first 2 shown]
	v_add_f64 v[60:61], v[110:111], v[66:67]
	v_add_f64 v[7:8], v[7:8], v[52:53]
	;; [unrolled: 1-line block ×3, first 2 shown]
	v_mul_f64 v[52:53], v[46:47], v[42:43]
	v_mul_f64 v[42:43], v[44:45], v[42:43]
	s_barrier
	v_fma_f64 v[56:57], v[32:33], v[36:37], -v[84:85]
	buffer_gl0_inv
	v_fma_f64 v[66:67], v[34:35], v[36:37], v[88:89]
	v_add_f64 v[50:51], v[50:51], v[76:77]
	v_fma_f64 v[32:33], v[32:33], v[40:41], -v[92:93]
	v_fma_f64 v[34:35], v[34:35], v[40:41], v[94:95]
	v_fma_f64 v[80:81], v[44:45], v[36:37], -v[98:99]
	v_fma_f64 v[36:37], v[46:47], v[36:37], v[38:39]
	v_add_f64 v[38:39], v[54:55], v[68:69]
	v_add_f64 v[54:55], v[70:71], v[58:59]
	;; [unrolled: 1-line block ×7, first 2 shown]
	v_fma_f64 v[44:45], v[44:45], v[40:41], -v[52:53]
	v_fma_f64 v[40:41], v[46:47], v[40:41], v[42:43]
	v_mul_f64 v[42:43], v[5:6], v[20:21]
	v_mul_f64 v[46:47], v[3:4], v[20:21]
	;; [unrolled: 1-line block ×8, first 2 shown]
	v_add_f64 v[50:51], v[50:51], v[80:81]
	v_add_f64 v[38:39], v[38:39], v[56:57]
	;; [unrolled: 1-line block ×8, first 2 shown]
	v_fma_f64 v[42:43], v[3:4], v[18:19], -v[42:43]
	v_fma_f64 v[44:45], v[5:6], v[18:19], v[46:47]
	v_fma_f64 v[3:4], v[3:4], v[22:23], -v[52:53]
	v_fma_f64 v[5:6], v[5:6], v[22:23], v[64:65]
	;; [unrolled: 2-line block ×4, first 2 shown]
	v_add_f64 v[22:23], v[38:39], v[42:43]
	v_add_f64 v[24:25], v[44:45], v[54:55]
	;; [unrolled: 1-line block ×8, first 2 shown]
	s_cbranch_scc0 .LBB406_15
.LBB406_7:                              ; =>This Inner Loop Header: Depth=1
	v_add_nc_u32_e32 v3, s9, v27
	v_cmp_le_i32_e32 vcc_lo, s11, v3
	s_or_b32 s20, s1, vcc_lo
	s_and_saveexec_b32 s21, s20
	s_xor_b32 s20, exec_lo, s21
	s_cbranch_execz .LBB406_9
; %bb.8:                                ;   in Loop: Header=BB406_7 Depth=1
	v_mov_b32_e32 v3, v2
	v_mov_b32_e32 v4, v2
	;; [unrolled: 1-line block ×3, first 2 shown]
	ds_write_b128 v28, v[2:5]
.LBB406_9:                              ;   in Loop: Header=BB406_7 Depth=1
	s_andn2_saveexec_b32 s20, s20
	s_cbranch_execz .LBB406_11
; %bb.10:                               ;   in Loop: Header=BB406_7 Depth=1
	flat_load_dwordx4 v[32:35], v[10:11]
	s_waitcnt vmcnt(0) lgkmcnt(0)
	ds_write2_b64 v28, v[32:33], v[34:35] offset1:1
.LBB406_11:                             ;   in Loop: Header=BB406_7 Depth=1
	s_or_b32 exec_lo, exec_lo, s20
	v_add_nc_u32_e32 v3, s9, v26
	v_cmp_le_i32_e32 vcc_lo, s11, v3
	s_or_b32 s20, vcc_lo, s0
	s_and_saveexec_b32 s21, s20
	s_xor_b32 s20, exec_lo, s21
	s_cbranch_execz .LBB406_13
; %bb.12:                               ;   in Loop: Header=BB406_7 Depth=1
	v_mov_b32_e32 v3, v2
	v_mov_b32_e32 v4, v2
	v_mov_b32_e32 v5, v2
	ds_write_b128 v29, v[2:5]
.LBB406_13:                             ;   in Loop: Header=BB406_7 Depth=1
	s_andn2_saveexec_b32 s20, s20
	s_cbranch_execz .LBB406_6
; %bb.14:                               ;   in Loop: Header=BB406_7 Depth=1
	flat_load_dwordx4 v[32:35], v[12:13]
	s_waitcnt vmcnt(0) lgkmcnt(0)
	ds_write2_b64 v29, v[32:33], v[34:35] offset1:1
	s_branch .LBB406_6
.LBB406_15:
	s_clause 0x1
	s_load_dword s3, s[4:5], 0x50
	s_load_dwordx2 s[4:5], s[4:5], 0x58
	v_cmp_neq_f64_e64 s2, s[12:13], 0
	v_add_nc_u32_e32 v27, s34, v1
	v_add_nc_u32_e32 v4, s8, v0
	v_cmp_le_i32_e32 vcc_lo, v27, v4
	v_cmp_gt_i32_e64 s0, s10, v4
	v_ashrrev_i32_e32 v5, 31, v4
	s_waitcnt lgkmcnt(0)
	v_mad_i64_i32 v[0:1], null, v27, s3, 0
	s_lshl_b64 s[4:5], s[4:5], 4
	s_add_u32 s4, s22, s4
	s_addc_u32 s5, s23, s5
	s_xor_b32 s6, s33, -1
	s_or_b32 s2, s2, s6
	v_lshlrev_b64 v[0:1], 4, v[0:1]
	v_cndmask_b32_e64 v26, 0, 1, s2
	s_and_b32 s6, vcc_lo, s0
	v_add_co_u32 v12, s1, s4, v0
	v_add_co_ci_u32_e64 v13, null, s5, v1, s1
	s_and_saveexec_b32 s1, s6
	s_cbranch_execz .LBB406_19
; %bb.16:
	v_mul_f64 v[0:1], s[18:19], v[24:25]
	v_mul_f64 v[2:3], s[16:17], v[24:25]
	v_lshlrev_b64 v[10:11], 4, v[4:5]
	v_add_co_u32 v10, vcc_lo, v12, v10
	v_add_co_ci_u32_e64 v11, null, v13, v11, vcc_lo
	s_andn2_b32 vcc_lo, exec_lo, s2
	v_fma_f64 v[0:1], s[16:17], v[22:23], -v[0:1]
	v_fma_f64 v[2:3], s[18:19], v[22:23], v[2:3]
	s_cbranch_vccnz .LBB406_18
; %bb.17:
	flat_load_dwordx4 v[22:25], v[10:11]
	s_waitcnt vmcnt(0) lgkmcnt(0)
	v_mul_f64 v[28:29], s[14:15], v[24:25]
	v_mul_f64 v[24:25], s[12:13], v[24:25]
	v_fma_f64 v[28:29], s[12:13], v[22:23], -v[28:29]
	v_fma_f64 v[22:23], s[14:15], v[22:23], v[24:25]
	v_add_f64 v[0:1], v[0:1], v[28:29]
	v_add_f64 v[2:3], v[2:3], v[22:23]
.LBB406_18:
	flat_store_dwordx4 v[10:11], v[0:3]
.LBB406_19:
	s_or_b32 exec_lo, exec_lo, s1
	v_add_nc_u32_e32 v10, 16, v4
	v_cmp_le_i32_e32 vcc_lo, v27, v10
	v_cmp_gt_i32_e64 s1, s10, v10
	v_ashrrev_i32_e32 v11, 31, v10
	s_and_b32 s2, vcc_lo, s1
	s_and_saveexec_b32 s6, s2
	s_cbranch_execz .LBB406_23
; %bb.20:
	v_mul_f64 v[0:1], s[18:19], v[20:21]
	v_mul_f64 v[2:3], s[16:17], v[20:21]
	v_cmp_ne_u32_e32 vcc_lo, 1, v26
	s_and_b32 vcc_lo, exec_lo, vcc_lo
	v_fma_f64 v[0:1], s[16:17], v[18:19], -v[0:1]
	v_fma_f64 v[2:3], s[18:19], v[18:19], v[2:3]
	v_lshlrev_b64 v[18:19], 4, v[10:11]
	v_add_co_u32 v12, s2, v12, v18
	v_add_co_ci_u32_e64 v13, null, v13, v19, s2
	s_cbranch_vccnz .LBB406_22
; %bb.21:
	flat_load_dwordx4 v[18:21], v[12:13]
	s_waitcnt vmcnt(0) lgkmcnt(0)
	v_mul_f64 v[22:23], s[14:15], v[20:21]
	v_mul_f64 v[20:21], s[12:13], v[20:21]
	v_fma_f64 v[22:23], s[12:13], v[18:19], -v[22:23]
	v_fma_f64 v[18:19], s[14:15], v[18:19], v[20:21]
	v_add_f64 v[0:1], v[0:1], v[22:23]
	v_add_f64 v[2:3], v[2:3], v[18:19]
.LBB406_22:
	flat_store_dwordx4 v[12:13], v[0:3]
.LBB406_23:
	s_or_b32 exec_lo, exec_lo, s6
	v_add_nc_u32_e32 v18, 16, v27
	v_mad_i64_i32 v[0:1], null, v18, s3, 0
	v_cmp_le_i32_e32 vcc_lo, v18, v4
	s_and_b32 s0, vcc_lo, s0
	v_lshlrev_b64 v[0:1], 4, v[0:1]
	v_add_co_u32 v12, s2, s4, v0
	v_add_co_ci_u32_e64 v13, null, s5, v1, s2
	s_and_saveexec_b32 s2, s0
	s_cbranch_execz .LBB406_27
; %bb.24:
	v_mul_f64 v[0:1], s[18:19], v[16:17]
	v_mul_f64 v[2:3], s[16:17], v[16:17]
	v_lshlrev_b64 v[4:5], 4, v[4:5]
	v_cmp_ne_u32_e32 vcc_lo, 1, v26
	s_and_b32 vcc_lo, exec_lo, vcc_lo
	v_add_co_u32 v4, s0, v12, v4
	v_add_co_ci_u32_e64 v5, null, v13, v5, s0
	v_fma_f64 v[0:1], s[16:17], v[14:15], -v[0:1]
	v_fma_f64 v[2:3], s[18:19], v[14:15], v[2:3]
	s_cbranch_vccnz .LBB406_26
; %bb.25:
	flat_load_dwordx4 v[14:17], v[4:5]
	s_waitcnt vmcnt(0) lgkmcnt(0)
	v_mul_f64 v[19:20], s[14:15], v[16:17]
	v_mul_f64 v[16:17], s[12:13], v[16:17]
	v_fma_f64 v[19:20], s[12:13], v[14:15], -v[19:20]
	v_fma_f64 v[14:15], s[14:15], v[14:15], v[16:17]
	v_add_f64 v[0:1], v[0:1], v[19:20]
	v_add_f64 v[2:3], v[2:3], v[14:15]
.LBB406_26:
	flat_store_dwordx4 v[4:5], v[0:3]
.LBB406_27:
	s_or_b32 exec_lo, exec_lo, s2
	v_cmp_le_i32_e32 vcc_lo, v18, v10
	s_and_b32 s0, vcc_lo, s1
	s_and_saveexec_b32 s1, s0
	s_cbranch_execz .LBB406_32
; %bb.28:
	v_mul_f64 v[0:1], s[18:19], v[6:7]
	v_mul_f64 v[2:3], s[16:17], v[6:7]
	v_lshlrev_b64 v[4:5], 4, v[10:11]
	v_cmp_ne_u32_e32 vcc_lo, 1, v26
	s_and_b32 vcc_lo, exec_lo, vcc_lo
	v_add_co_u32 v4, s0, v12, v4
	v_add_co_ci_u32_e64 v5, null, v13, v5, s0
	v_fma_f64 v[0:1], s[16:17], v[8:9], -v[0:1]
	v_fma_f64 v[2:3], s[18:19], v[8:9], v[2:3]
	s_cbranch_vccnz .LBB406_30
; %bb.29:
	flat_load_dwordx4 v[6:9], v[4:5]
	s_waitcnt vmcnt(0) lgkmcnt(0)
	v_mul_f64 v[10:11], s[14:15], v[8:9]
	v_mul_f64 v[8:9], s[12:13], v[8:9]
	v_fma_f64 v[10:11], s[12:13], v[6:7], -v[10:11]
	v_fma_f64 v[6:7], s[14:15], v[6:7], v[8:9]
	v_add_f64 v[0:1], v[0:1], v[10:11]
	v_add_f64 v[2:3], v[2:3], v[6:7]
.LBB406_30:
	flat_store_dwordx4 v[4:5], v[0:3]
	s_endpgm
.LBB406_31:
.LBB406_32:
	s_endpgm
	.section	.rodata,"a",@progbits
	.p2align	6, 0x0
	.amdhsa_kernel _ZL29rocblas_internal_gemmt_kernelIiLi16ELi32ELi8ELc78ELc84ELc76ELb0ELb0E19rocblas_complex_numIdEPKS1_PKS3_PKPS1_EviT_T9_T10_S9_lSB_S9_lSA_T11_S9_li
		.amdhsa_group_segment_fixed_size 8192
		.amdhsa_private_segment_fixed_size 0
		.amdhsa_kernarg_size 100
		.amdhsa_user_sgpr_count 6
		.amdhsa_user_sgpr_private_segment_buffer 1
		.amdhsa_user_sgpr_dispatch_ptr 0
		.amdhsa_user_sgpr_queue_ptr 0
		.amdhsa_user_sgpr_kernarg_segment_ptr 1
		.amdhsa_user_sgpr_dispatch_id 0
		.amdhsa_user_sgpr_flat_scratch_init 0
		.amdhsa_user_sgpr_private_segment_size 0
		.amdhsa_wavefront_size32 1
		.amdhsa_uses_dynamic_stack 0
		.amdhsa_system_sgpr_private_segment_wavefront_offset 0
		.amdhsa_system_sgpr_workgroup_id_x 1
		.amdhsa_system_sgpr_workgroup_id_y 1
		.amdhsa_system_sgpr_workgroup_id_z 1
		.amdhsa_system_sgpr_workgroup_info 0
		.amdhsa_system_vgpr_workitem_id 1
		.amdhsa_next_free_vgpr 128
		.amdhsa_next_free_sgpr 35
		.amdhsa_reserve_vcc 1
		.amdhsa_reserve_flat_scratch 0
		.amdhsa_float_round_mode_32 0
		.amdhsa_float_round_mode_16_64 0
		.amdhsa_float_denorm_mode_32 3
		.amdhsa_float_denorm_mode_16_64 3
		.amdhsa_dx10_clamp 1
		.amdhsa_ieee_mode 1
		.amdhsa_fp16_overflow 0
		.amdhsa_workgroup_processor_mode 1
		.amdhsa_memory_ordered 1
		.amdhsa_forward_progress 1
		.amdhsa_shared_vgpr_count 0
		.amdhsa_exception_fp_ieee_invalid_op 0
		.amdhsa_exception_fp_denorm_src 0
		.amdhsa_exception_fp_ieee_div_zero 0
		.amdhsa_exception_fp_ieee_overflow 0
		.amdhsa_exception_fp_ieee_underflow 0
		.amdhsa_exception_fp_ieee_inexact 0
		.amdhsa_exception_int_div_zero 0
	.end_amdhsa_kernel
	.section	.text._ZL29rocblas_internal_gemmt_kernelIiLi16ELi32ELi8ELc78ELc84ELc76ELb0ELb0E19rocblas_complex_numIdEPKS1_PKS3_PKPS1_EviT_T9_T10_S9_lSB_S9_lSA_T11_S9_li,"axG",@progbits,_ZL29rocblas_internal_gemmt_kernelIiLi16ELi32ELi8ELc78ELc84ELc76ELb0ELb0E19rocblas_complex_numIdEPKS1_PKS3_PKPS1_EviT_T9_T10_S9_lSB_S9_lSA_T11_S9_li,comdat
.Lfunc_end406:
	.size	_ZL29rocblas_internal_gemmt_kernelIiLi16ELi32ELi8ELc78ELc84ELc76ELb0ELb0E19rocblas_complex_numIdEPKS1_PKS3_PKPS1_EviT_T9_T10_S9_lSB_S9_lSA_T11_S9_li, .Lfunc_end406-_ZL29rocblas_internal_gemmt_kernelIiLi16ELi32ELi8ELc78ELc84ELc76ELb0ELb0E19rocblas_complex_numIdEPKS1_PKS3_PKPS1_EviT_T9_T10_S9_lSB_S9_lSA_T11_S9_li
                                        ; -- End function
	.set _ZL29rocblas_internal_gemmt_kernelIiLi16ELi32ELi8ELc78ELc84ELc76ELb0ELb0E19rocblas_complex_numIdEPKS1_PKS3_PKPS1_EviT_T9_T10_S9_lSB_S9_lSA_T11_S9_li.num_vgpr, 128
	.set _ZL29rocblas_internal_gemmt_kernelIiLi16ELi32ELi8ELc78ELc84ELc76ELb0ELb0E19rocblas_complex_numIdEPKS1_PKS3_PKPS1_EviT_T9_T10_S9_lSB_S9_lSA_T11_S9_li.num_agpr, 0
	.set _ZL29rocblas_internal_gemmt_kernelIiLi16ELi32ELi8ELc78ELc84ELc76ELb0ELb0E19rocblas_complex_numIdEPKS1_PKS3_PKPS1_EviT_T9_T10_S9_lSB_S9_lSA_T11_S9_li.numbered_sgpr, 35
	.set _ZL29rocblas_internal_gemmt_kernelIiLi16ELi32ELi8ELc78ELc84ELc76ELb0ELb0E19rocblas_complex_numIdEPKS1_PKS3_PKPS1_EviT_T9_T10_S9_lSB_S9_lSA_T11_S9_li.num_named_barrier, 0
	.set _ZL29rocblas_internal_gemmt_kernelIiLi16ELi32ELi8ELc78ELc84ELc76ELb0ELb0E19rocblas_complex_numIdEPKS1_PKS3_PKPS1_EviT_T9_T10_S9_lSB_S9_lSA_T11_S9_li.private_seg_size, 0
	.set _ZL29rocblas_internal_gemmt_kernelIiLi16ELi32ELi8ELc78ELc84ELc76ELb0ELb0E19rocblas_complex_numIdEPKS1_PKS3_PKPS1_EviT_T9_T10_S9_lSB_S9_lSA_T11_S9_li.uses_vcc, 1
	.set _ZL29rocblas_internal_gemmt_kernelIiLi16ELi32ELi8ELc78ELc84ELc76ELb0ELb0E19rocblas_complex_numIdEPKS1_PKS3_PKPS1_EviT_T9_T10_S9_lSB_S9_lSA_T11_S9_li.uses_flat_scratch, 0
	.set _ZL29rocblas_internal_gemmt_kernelIiLi16ELi32ELi8ELc78ELc84ELc76ELb0ELb0E19rocblas_complex_numIdEPKS1_PKS3_PKPS1_EviT_T9_T10_S9_lSB_S9_lSA_T11_S9_li.has_dyn_sized_stack, 0
	.set _ZL29rocblas_internal_gemmt_kernelIiLi16ELi32ELi8ELc78ELc84ELc76ELb0ELb0E19rocblas_complex_numIdEPKS1_PKS3_PKPS1_EviT_T9_T10_S9_lSB_S9_lSA_T11_S9_li.has_recursion, 0
	.set _ZL29rocblas_internal_gemmt_kernelIiLi16ELi32ELi8ELc78ELc84ELc76ELb0ELb0E19rocblas_complex_numIdEPKS1_PKS3_PKPS1_EviT_T9_T10_S9_lSB_S9_lSA_T11_S9_li.has_indirect_call, 0
	.section	.AMDGPU.csdata,"",@progbits
; Kernel info:
; codeLenInByte = 3568
; TotalNumSgprs: 37
; NumVgprs: 128
; ScratchSize: 0
; MemoryBound: 0
; FloatMode: 240
; IeeeMode: 1
; LDSByteSize: 8192 bytes/workgroup (compile time only)
; SGPRBlocks: 0
; VGPRBlocks: 15
; NumSGPRsForWavesPerEU: 37
; NumVGPRsForWavesPerEU: 128
; Occupancy: 8
; WaveLimiterHint : 1
; COMPUTE_PGM_RSRC2:SCRATCH_EN: 0
; COMPUTE_PGM_RSRC2:USER_SGPR: 6
; COMPUTE_PGM_RSRC2:TRAP_HANDLER: 0
; COMPUTE_PGM_RSRC2:TGID_X_EN: 1
; COMPUTE_PGM_RSRC2:TGID_Y_EN: 1
; COMPUTE_PGM_RSRC2:TGID_Z_EN: 1
; COMPUTE_PGM_RSRC2:TIDIG_COMP_CNT: 1
	.section	.text._ZL29rocblas_internal_gemmt_kernelIiLi16ELi32ELi8ELc78ELc67ELc76ELb0ELb1E19rocblas_complex_numIdEPKS1_PKS3_PKPS1_EviT_T9_T10_S9_lSB_S9_lSA_T11_S9_li,"axG",@progbits,_ZL29rocblas_internal_gemmt_kernelIiLi16ELi32ELi8ELc78ELc67ELc76ELb0ELb1E19rocblas_complex_numIdEPKS1_PKS3_PKPS1_EviT_T9_T10_S9_lSB_S9_lSA_T11_S9_li,comdat
	.globl	_ZL29rocblas_internal_gemmt_kernelIiLi16ELi32ELi8ELc78ELc67ELc76ELb0ELb1E19rocblas_complex_numIdEPKS1_PKS3_PKPS1_EviT_T9_T10_S9_lSB_S9_lSA_T11_S9_li ; -- Begin function _ZL29rocblas_internal_gemmt_kernelIiLi16ELi32ELi8ELc78ELc67ELc76ELb0ELb1E19rocblas_complex_numIdEPKS1_PKS3_PKPS1_EviT_T9_T10_S9_lSB_S9_lSA_T11_S9_li
	.p2align	8
	.type	_ZL29rocblas_internal_gemmt_kernelIiLi16ELi32ELi8ELc78ELc67ELc76ELb0ELb1E19rocblas_complex_numIdEPKS1_PKS3_PKPS1_EviT_T9_T10_S9_lSB_S9_lSA_T11_S9_li,@function
_ZL29rocblas_internal_gemmt_kernelIiLi16ELi32ELi8ELc78ELc67ELc76ELb0ELb1E19rocblas_complex_numIdEPKS1_PKS3_PKPS1_EviT_T9_T10_S9_lSB_S9_lSA_T11_S9_li: ; @_ZL29rocblas_internal_gemmt_kernelIiLi16ELi32ELi8ELc78ELc67ELc76ELb0ELb1E19rocblas_complex_numIdEPKS1_PKS3_PKPS1_EviT_T9_T10_S9_lSB_S9_lSA_T11_S9_li
; %bb.0:
	s_load_dwordx4 s[20:23], s[4:5], 0x38
	s_waitcnt lgkmcnt(0)
	s_load_dwordx4 s[12:15], s[22:23], 0x0
	s_clause 0x1
	s_load_dwordx4 s[0:3], s[4:5], 0x8
	s_load_dwordx2 s[10:11], s[4:5], 0x0
	s_waitcnt lgkmcnt(0)
	s_load_dwordx4 s[16:19], s[0:1], 0x0
	v_cmp_eq_f64_e64 s9, s[12:13], 1.0
	v_cmp_eq_f64_e64 s33, s[14:15], 0
	s_and_b32 s0, s9, s33
	s_andn2_b32 vcc_lo, exec_lo, s0
	s_mov_b32 s0, -1
	s_cbranch_vccnz .LBB407_3
; %bb.1:
	s_cmp_lg_u32 s11, 0
	s_cbranch_scc0 .LBB407_29
; %bb.2:
	s_waitcnt lgkmcnt(0)
	v_cmp_neq_f64_e64 s0, s[16:17], 0
	v_cmp_neq_f64_e64 s1, s[18:19], 0
	s_or_b32 s0, s0, s1
.LBB407_3:
	s_and_b32 vcc_lo, exec_lo, s0
	s_cbranch_vccz .LBB407_30
; %bb.4:
	s_load_dwordx2 s[0:1], s[4:5], 0x48
	s_waitcnt lgkmcnt(0)
	v_cmp_eq_f64_e64 s24, s[16:17], 0
	v_cmp_eq_f64_e64 s25, s[18:19], 0
	s_mov_b32 s9, 0
	v_mov_b32_e32 v23, 0
	s_lshl_b64 s[30:31], s[8:9], 3
	v_mov_b32_e32 v25, 0
	v_mov_b32_e32 v19, 0
	;; [unrolled: 1-line block ×14, first 2 shown]
	s_add_u32 s0, s0, s30
	s_addc_u32 s1, s1, s31
	s_lshl_b32 s8, s6, 5
	s_load_dwordx2 s[22:23], s[0:1], 0x0
	s_lshl_b32 s34, s7, 5
	s_and_b32 s0, s24, s25
	s_cmp_lt_i32 s11, 1
	v_mov_b32_e32 v8, 0
	s_cselect_b32 s1, -1, 0
	s_or_b32 s0, s0, s1
	s_and_b32 vcc_lo, exec_lo, s0
	s_cbranch_vccnz .LBB407_13
; %bb.5:
	s_clause 0x2
	s_load_dword s6, s[4:5], 0x18
	s_load_dword s28, s[4:5], 0x30
	s_load_dwordx4 s[24:27], s[4:5], 0x20
	v_lshl_add_u32 v2, v1, 4, v0
	v_and_b32_e32 v27, 7, v0
	v_mov_b32_e32 v17, 0
	v_mov_b32_e32 v15, 0
	;; [unrolled: 1-line block ×3, first 2 shown]
	v_and_b32_e32 v8, 31, v2
	v_lshrrev_b32_e32 v3, 3, v2
	v_lshlrev_b32_e32 v4, 4, v27
	v_lshrrev_b32_e32 v28, 5, v2
	v_mov_b32_e32 v19, 0
	v_or_b32_e32 v5, s8, v8
	v_lshlrev_b32_e32 v6, 4, v8
	v_add_nc_u32_e32 v2, s34, v3
	v_lshl_or_b32 v3, v3, 7, v4
	v_add_nc_u32_e32 v8, s8, v8
	v_cmp_gt_i32_e64 s0, s10, v5
	v_lshl_or_b32 v29, v28, 9, v6
	s_waitcnt lgkmcnt(0)
	v_mad_i64_i32 v[4:5], null, v28, s6, 0
	s_ashr_i32 s7, s6, 31
	s_ashr_i32 s29, s28, 31
	s_add_u32 s26, s26, s30
	s_addc_u32 s27, s27, s31
	s_add_u32 s2, s2, s30
	v_mad_i64_i32 v[6:7], null, s28, v27, 0
	s_addc_u32 s3, s3, s31
	s_load_dwordx2 s[26:27], s[26:27], 0x0
	s_load_dwordx2 s[2:3], s[2:3], 0x0
	v_lshlrev_b64 v[4:5], 4, v[4:5]
	v_ashrrev_i32_e32 v9, 31, v8
	s_lshl_b64 s[24:25], s[24:25], 4
	v_add_nc_u32_e32 v30, 0x1000, v3
	v_ashrrev_i32_e32 v3, 31, v2
	v_lshlrev_b64 v[6:7], 4, v[6:7]
	v_add_co_u32 v10, s1, v4, s24
	v_add_co_ci_u32_e64 v11, null, s25, v5, s1
	v_lshlrev_b64 v[4:5], 4, v[8:9]
	s_lshl_b64 s[20:21], s[20:21], 4
	v_cmp_gt_i32_e32 vcc_lo, s10, v2
	v_lshlrev_b64 v[2:3], 4, v[2:3]
	v_add_co_u32 v6, s1, v6, s20
	v_add_co_ci_u32_e64 v7, null, s21, v7, s1
	v_add_co_u32 v4, s1, v10, v4
	v_add_co_ci_u32_e64 v5, null, v11, v5, s1
	;; [unrolled: 2-line block ×3, first 2 shown]
	s_waitcnt lgkmcnt(0)
	v_add_co_u32 v11, s1, s2, v4
	v_add_co_ci_u32_e64 v12, null, s3, v5, s1
	v_add_co_u32 v13, s1, s26, v2
	v_mov_b32_e32 v7, 0
	v_mov_b32_e32 v9, 0
	;; [unrolled: 1-line block ×4, first 2 shown]
	v_lshlrev_b32_e32 v31, 4, v0
	v_lshl_add_u32 v32, v1, 7, 0x1000
	v_add_co_ci_u32_e64 v14, null, s27, v3, s1
	v_mov_b32_e32 v8, 0
	v_mov_b32_e32 v10, 0
	;; [unrolled: 1-line block ×9, first 2 shown]
	s_lshl_b64 s[2:3], s[6:7], 7
	s_lshl_b64 s[6:7], s[28:29], 7
	s_xor_b32 s1, s0, -1
	s_branch .LBB407_7
.LBB407_6:                              ;   in Loop: Header=BB407_7 Depth=1
	s_or_b32 exec_lo, exec_lo, s0
	ds_write_b128 v30, v[3:6]
	s_waitcnt lgkmcnt(0)
	s_barrier
	buffer_gl0_inv
	ds_read_b128 v[3:6], v32
	ds_read_b128 v[33:36], v31
	ds_read_b128 v[37:40], v31 offset:256
	ds_read_b128 v[41:44], v32 offset:2048
	;; [unrolled: 1-line block ×12, first 2 shown]
	v_add_co_u32 v11, s0, v11, s2
	v_add_co_ci_u32_e64 v12, null, s3, v12, s0
	v_add_co_u32 v13, s0, v13, s6
	v_add_co_ci_u32_e64 v14, null, s7, v14, s0
	s_waitcnt lgkmcnt(12)
	v_mul_f64 v[85:86], v[5:6], v[35:36]
	v_mul_f64 v[87:88], v[3:4], v[35:36]
	s_waitcnt lgkmcnt(11)
	v_mul_f64 v[89:90], v[5:6], v[39:40]
	v_mul_f64 v[91:92], v[3:4], v[39:40]
	;; [unrolled: 3-line block ×3, first 2 shown]
	v_mul_f64 v[95:96], v[43:44], v[39:40]
	v_mul_f64 v[39:40], v[41:42], v[39:40]
	s_waitcnt lgkmcnt(8)
	v_mul_f64 v[97:98], v[47:48], v[51:52]
	v_mul_f64 v[99:100], v[45:46], v[51:52]
	s_waitcnt lgkmcnt(7)
	;; [unrolled: 3-line block ×3, first 2 shown]
	v_mul_f64 v[105:106], v[59:60], v[51:52]
	v_mul_f64 v[51:52], v[57:58], v[51:52]
	;; [unrolled: 1-line block ×4, first 2 shown]
	s_waitcnt lgkmcnt(4)
	v_mul_f64 v[109:110], v[63:64], v[67:68]
	v_mul_f64 v[111:112], v[61:62], v[67:68]
	s_waitcnt lgkmcnt(3)
	v_mul_f64 v[113:114], v[63:64], v[71:72]
	v_mul_f64 v[115:116], v[61:62], v[71:72]
	s_waitcnt lgkmcnt(2)
	v_mul_f64 v[117:118], v[75:76], v[67:68]
	v_mul_f64 v[67:68], v[73:74], v[67:68]
	v_fma_f64 v[85:86], v[3:4], v[33:34], -v[85:86]
	v_fma_f64 v[87:88], v[5:6], v[33:34], v[87:88]
	v_fma_f64 v[89:90], v[3:4], v[37:38], -v[89:90]
	v_fma_f64 v[91:92], v[5:6], v[37:38], v[91:92]
	;; [unrolled: 2-line block ×4, first 2 shown]
	v_mul_f64 v[123:124], v[75:76], v[71:72]
	v_mul_f64 v[71:72], v[73:74], v[71:72]
	v_fma_f64 v[97:98], v[45:46], v[49:50], -v[97:98]
	v_fma_f64 v[99:100], v[47:48], v[49:50], v[99:100]
	v_fma_f64 v[101:102], v[45:46], v[53:54], -v[101:102]
	v_fma_f64 v[103:104], v[47:48], v[53:54], v[103:104]
	;; [unrolled: 2-line block ×7, first 2 shown]
	v_add_f64 v[23:24], v[23:24], v[85:86]
	v_add_f64 v[25:26], v[87:88], v[25:26]
	;; [unrolled: 1-line block ×6, first 2 shown]
	v_fma_f64 v[73:74], v[73:74], v[69:70], -v[123:124]
	v_fma_f64 v[69:70], v[75:76], v[69:70], v[71:72]
	v_add_f64 v[71:72], v[15:16], v[93:94]
	v_add_f64 v[75:76], v[119:120], v[17:18]
	ds_read_b128 v[3:6], v31 offset:1536
	ds_read_b128 v[33:36], v31 offset:1792
	;; [unrolled: 1-line block ×7, first 2 shown]
	s_add_i32 s9, s9, 8
	s_cmp_lt_i32 s9, s11
	v_add_f64 v[97:98], v[23:24], v[97:98]
	v_add_f64 v[99:100], v[99:100], v[25:26]
	;; [unrolled: 1-line block ×6, first 2 shown]
	ds_read_b128 v[19:22], v31 offset:2560
	ds_read_b128 v[23:26], v31 offset:2816
	s_waitcnt lgkmcnt(8)
	v_mul_f64 v[109:110], v[79:80], v[5:6]
	v_mul_f64 v[111:112], v[77:78], v[5:6]
	s_waitcnt lgkmcnt(7)
	v_mul_f64 v[67:68], v[79:80], v[35:36]
	v_mul_f64 v[113:114], v[77:78], v[35:36]
	;; [unrolled: 1-line block ×6, first 2 shown]
	s_waitcnt lgkmcnt(4)
	v_mul_f64 v[95:96], v[39:40], v[47:48]
	v_add_f64 v[71:72], v[71:72], v[105:106]
	v_add_f64 v[75:76], v[125:126], v[75:76]
	v_mul_f64 v[93:94], v[37:38], v[43:44]
	ds_read_b128 v[5:8], v32 offset:80
	v_add_f64 v[55:56], v[97:98], v[55:56]
	v_add_f64 v[59:60], v[59:60], v[99:100]
	;; [unrolled: 1-line block ×6, first 2 shown]
	s_waitcnt lgkmcnt(2)
	v_mul_f64 v[99:100], v[17:18], v[21:22]
	s_waitcnt lgkmcnt(1)
	v_mul_f64 v[101:102], v[17:18], v[25:26]
	v_fma_f64 v[89:90], v[77:78], v[3:4], -v[109:110]
	v_fma_f64 v[91:92], v[79:80], v[3:4], v[111:112]
	v_fma_f64 v[67:68], v[77:78], v[33:34], -v[67:68]
	v_mul_f64 v[77:78], v[39:40], v[43:44]
	v_mul_f64 v[109:110], v[37:38], v[47:48]
	v_fma_f64 v[79:80], v[79:80], v[33:34], v[113:114]
	v_mul_f64 v[111:112], v[51:52], v[43:44]
	v_mul_f64 v[43:44], v[49:50], v[43:44]
	v_fma_f64 v[57:58], v[81:82], v[3:4], -v[115:116]
	v_fma_f64 v[3:4], v[83:84], v[3:4], v[117:118]
	v_fma_f64 v[81:82], v[81:82], v[33:34], -v[87:88]
	v_fma_f64 v[83:84], v[83:84], v[33:34], v[35:36]
	v_fma_f64 v[87:88], v[37:38], v[45:46], -v[95:96]
	v_mul_f64 v[95:96], v[51:52], v[47:48]
	v_mul_f64 v[47:48], v[49:50], v[47:48]
	v_add_f64 v[71:72], v[71:72], v[107:108]
	v_add_f64 v[65:66], v[65:66], v[75:76]
	v_fma_f64 v[85:86], v[39:40], v[41:42], v[93:94]
	s_waitcnt lgkmcnt(0)
	v_mul_f64 v[69:70], v[7:8], v[21:22]
	v_mul_f64 v[73:74], v[5:6], v[21:22]
	;; [unrolled: 1-line block ×6, first 2 shown]
	v_add_f64 v[55:56], v[55:56], v[89:90]
	v_fma_f64 v[77:78], v[37:38], v[41:42], -v[77:78]
	v_fma_f64 v[93:94], v[39:40], v[45:46], v[109:110]
	v_add_f64 v[59:60], v[91:92], v[59:60]
	v_fma_f64 v[105:106], v[49:50], v[41:42], -v[111:112]
	v_fma_f64 v[109:110], v[51:52], v[41:42], v[43:44]
	v_add_f64 v[61:62], v[61:62], v[67:68]
	v_add_f64 v[63:64], v[79:80], v[63:64]
	;; [unrolled: 1-line block ×4, first 2 shown]
	ds_read_b128 v[33:36], v32 offset:96
	ds_read_b128 v[37:40], v31 offset:3072
	v_fma_f64 v[49:50], v[49:50], v[45:46], -v[95:96]
	v_fma_f64 v[51:52], v[51:52], v[45:46], v[47:48]
	v_add_f64 v[57:58], v[71:72], v[57:58]
	v_add_f64 v[65:66], v[3:4], v[65:66]
	ds_read_b128 v[41:44], v31 offset:3328
	ds_read_b128 v[45:48], v32 offset:2144
	v_fma_f64 v[69:70], v[5:6], v[19:20], -v[69:70]
	v_fma_f64 v[71:72], v[7:8], v[19:20], v[73:74]
	v_fma_f64 v[73:74], v[5:6], v[23:24], -v[75:76]
	v_fma_f64 v[75:76], v[7:8], v[23:24], v[97:98]
	;; [unrolled: 2-line block ×4, first 2 shown]
	v_add_f64 v[55:56], v[55:56], v[77:78]
	v_add_f64 v[59:60], v[85:86], v[59:60]
	ds_read_b128 v[3:6], v32 offset:112
	ds_read_b128 v[7:10], v32 offset:2160
	v_add_f64 v[61:62], v[61:62], v[87:88]
	v_add_f64 v[63:64], v[93:94], v[63:64]
	s_waitcnt lgkmcnt(4)
	v_mul_f64 v[89:90], v[35:36], v[39:40]
	v_mul_f64 v[25:26], v[33:34], v[39:40]
	ds_read_b128 v[15:18], v31 offset:3584
	ds_read_b128 v[19:22], v31 offset:3840
	v_add_f64 v[49:50], v[67:68], v[49:50]
	s_waitcnt lgkmcnt(5)
	v_mul_f64 v[91:92], v[35:36], v[43:44]
	v_mul_f64 v[95:96], v[33:34], v[43:44]
	s_waitcnt lgkmcnt(4)
	v_mul_f64 v[97:98], v[47:48], v[39:40]
	v_mul_f64 v[39:40], v[45:46], v[39:40]
	v_add_f64 v[57:58], v[57:58], v[105:106]
	v_add_f64 v[65:66], v[109:110], v[65:66]
	;; [unrolled: 1-line block ×3, first 2 shown]
	v_mul_f64 v[53:54], v[47:48], v[43:44]
	v_mul_f64 v[43:44], v[45:46], v[43:44]
	s_waitcnt lgkmcnt(0)
	s_barrier
	buffer_gl0_inv
	v_fma_f64 v[67:68], v[33:34], v[37:38], -v[89:90]
	v_fma_f64 v[25:26], v[35:36], v[37:38], v[25:26]
	v_add_f64 v[49:50], v[49:50], v[83:84]
	v_fma_f64 v[33:34], v[33:34], v[41:42], -v[91:92]
	v_fma_f64 v[35:36], v[35:36], v[41:42], v[95:96]
	v_fma_f64 v[77:78], v[45:46], v[37:38], -v[97:98]
	v_fma_f64 v[37:38], v[47:48], v[37:38], v[39:40]
	v_add_f64 v[39:40], v[55:56], v[69:70]
	v_add_f64 v[55:56], v[71:72], v[59:60]
	;; [unrolled: 1-line block ×7, first 2 shown]
	v_fma_f64 v[45:46], v[45:46], v[41:42], -v[53:54]
	v_fma_f64 v[41:42], v[47:48], v[41:42], v[43:44]
	v_mul_f64 v[43:44], v[5:6], v[17:18]
	v_mul_f64 v[47:48], v[3:4], v[17:18]
	v_mul_f64 v[51:52], v[5:6], v[21:22]
	v_mul_f64 v[53:54], v[3:4], v[21:22]
	v_mul_f64 v[65:66], v[9:10], v[17:18]
	v_mul_f64 v[17:18], v[7:8], v[17:18]
	v_mul_f64 v[69:70], v[9:10], v[21:22]
	v_mul_f64 v[21:22], v[7:8], v[21:22]
	v_add_f64 v[39:40], v[39:40], v[67:68]
	v_add_f64 v[25:26], v[25:26], v[55:56]
	;; [unrolled: 1-line block ×8, first 2 shown]
	v_fma_f64 v[23:24], v[3:4], v[15:16], -v[43:44]
	v_fma_f64 v[43:44], v[5:6], v[15:16], v[47:48]
	v_fma_f64 v[3:4], v[3:4], v[19:20], -v[51:52]
	v_fma_f64 v[5:6], v[5:6], v[19:20], v[53:54]
	;; [unrolled: 2-line block ×4, first 2 shown]
	v_add_f64 v[23:24], v[39:40], v[23:24]
	v_add_f64 v[25:26], v[43:44], v[25:26]
	;; [unrolled: 1-line block ×8, first 2 shown]
	s_cbranch_scc0 .LBB407_13
.LBB407_7:                              ; =>This Inner Loop Header: Depth=1
	v_add_nc_u32_e32 v3, s9, v28
	v_cmp_le_i32_e64 s0, s11, v3
	s_or_b32 s0, s1, s0
	s_and_saveexec_b32 s20, s0
	s_xor_b32 s0, exec_lo, s20
	s_cbranch_execz .LBB407_9
; %bb.8:                                ;   in Loop: Header=BB407_7 Depth=1
	v_mov_b32_e32 v3, v2
	v_mov_b32_e32 v4, v2
	;; [unrolled: 1-line block ×3, first 2 shown]
	ds_write_b128 v29, v[2:5]
.LBB407_9:                              ;   in Loop: Header=BB407_7 Depth=1
	s_andn2_saveexec_b32 s0, s0
	s_cbranch_execz .LBB407_11
; %bb.10:                               ;   in Loop: Header=BB407_7 Depth=1
	flat_load_dwordx4 v[3:6], v[11:12]
	s_waitcnt vmcnt(0) lgkmcnt(0)
	ds_write2_b64 v29, v[3:4], v[5:6] offset1:1
.LBB407_11:                             ;   in Loop: Header=BB407_7 Depth=1
	s_or_b32 exec_lo, exec_lo, s0
	v_add_nc_u32_e32 v3, s9, v27
	v_mov_b32_e32 v5, 0
	v_mov_b32_e32 v6, 0
	v_cmp_gt_i32_e64 s0, s11, v3
	v_mov_b32_e32 v3, 0
	v_mov_b32_e32 v4, 0
	s_and_b32 s20, s0, vcc_lo
	s_and_saveexec_b32 s0, s20
	s_cbranch_execz .LBB407_6
; %bb.12:                               ;   in Loop: Header=BB407_7 Depth=1
	flat_load_dwordx4 v[3:6], v[13:14]
	s_waitcnt vmcnt(0) lgkmcnt(0)
	v_xor_b32_e32 v6, 0x80000000, v6
	s_branch .LBB407_6
.LBB407_13:
	s_clause 0x1
	s_load_dword s3, s[4:5], 0x50
	s_load_dwordx2 s[4:5], s[4:5], 0x58
	v_cmp_neq_f64_e64 s2, s[12:13], 0
	v_add_nc_u32_e32 v27, s34, v1
	v_add_nc_u32_e32 v4, s8, v0
	v_cmp_le_i32_e32 vcc_lo, v27, v4
	v_cmp_gt_i32_e64 s0, s10, v4
	v_ashrrev_i32_e32 v5, 31, v4
	s_waitcnt lgkmcnt(0)
	v_mad_i64_i32 v[0:1], null, v27, s3, 0
	s_lshl_b64 s[4:5], s[4:5], 4
	s_add_u32 s4, s22, s4
	s_addc_u32 s5, s23, s5
	s_xor_b32 s6, s33, -1
	s_or_b32 s2, s2, s6
	v_lshlrev_b64 v[0:1], 4, v[0:1]
	v_cndmask_b32_e64 v6, 0, 1, s2
	s_and_b32 s6, vcc_lo, s0
	v_add_co_u32 v13, s1, s4, v0
	v_add_co_ci_u32_e64 v14, null, s5, v1, s1
	s_and_saveexec_b32 s1, s6
	s_cbranch_execz .LBB407_17
; %bb.14:
	v_mul_f64 v[0:1], s[18:19], v[25:26]
	v_mul_f64 v[2:3], s[16:17], v[25:26]
	v_lshlrev_b64 v[11:12], 4, v[4:5]
	v_add_co_u32 v11, vcc_lo, v13, v11
	v_add_co_ci_u32_e64 v12, null, v14, v12, vcc_lo
	s_andn2_b32 vcc_lo, exec_lo, s2
	v_fma_f64 v[0:1], s[16:17], v[23:24], -v[0:1]
	v_fma_f64 v[2:3], s[18:19], v[23:24], v[2:3]
	s_cbranch_vccnz .LBB407_16
; %bb.15:
	flat_load_dwordx4 v[23:26], v[11:12]
	s_waitcnt vmcnt(0) lgkmcnt(0)
	v_mul_f64 v[28:29], s[14:15], v[25:26]
	v_mul_f64 v[25:26], s[12:13], v[25:26]
	v_fma_f64 v[28:29], s[12:13], v[23:24], -v[28:29]
	v_fma_f64 v[23:24], s[14:15], v[23:24], v[25:26]
	v_add_f64 v[0:1], v[0:1], v[28:29]
	v_add_f64 v[2:3], v[2:3], v[23:24]
.LBB407_16:
	flat_store_dwordx4 v[11:12], v[0:3]
.LBB407_17:
	s_or_b32 exec_lo, exec_lo, s1
	v_add_nc_u32_e32 v11, 16, v4
	v_cmp_le_i32_e32 vcc_lo, v27, v11
	v_cmp_gt_i32_e64 s1, s10, v11
	v_ashrrev_i32_e32 v12, 31, v11
	s_and_b32 s2, vcc_lo, s1
	s_and_saveexec_b32 s6, s2
	s_cbranch_execz .LBB407_21
; %bb.18:
	v_mul_f64 v[0:1], s[18:19], v[21:22]
	v_mul_f64 v[2:3], s[16:17], v[21:22]
	v_cmp_ne_u32_e32 vcc_lo, 1, v6
	s_and_b32 vcc_lo, exec_lo, vcc_lo
	v_fma_f64 v[0:1], s[16:17], v[19:20], -v[0:1]
	v_fma_f64 v[2:3], s[18:19], v[19:20], v[2:3]
	v_lshlrev_b64 v[19:20], 4, v[11:12]
	v_add_co_u32 v13, s2, v13, v19
	v_add_co_ci_u32_e64 v14, null, v14, v20, s2
	s_cbranch_vccnz .LBB407_20
; %bb.19:
	flat_load_dwordx4 v[19:22], v[13:14]
	s_waitcnt vmcnt(0) lgkmcnt(0)
	v_mul_f64 v[23:24], s[14:15], v[21:22]
	v_mul_f64 v[21:22], s[12:13], v[21:22]
	v_fma_f64 v[23:24], s[12:13], v[19:20], -v[23:24]
	v_fma_f64 v[19:20], s[14:15], v[19:20], v[21:22]
	v_add_f64 v[0:1], v[0:1], v[23:24]
	v_add_f64 v[2:3], v[2:3], v[19:20]
.LBB407_20:
	flat_store_dwordx4 v[13:14], v[0:3]
.LBB407_21:
	s_or_b32 exec_lo, exec_lo, s6
	v_add_nc_u32_e32 v19, 16, v27
	v_mad_i64_i32 v[0:1], null, v19, s3, 0
	v_cmp_le_i32_e32 vcc_lo, v19, v4
	s_and_b32 s0, vcc_lo, s0
	v_lshlrev_b64 v[0:1], 4, v[0:1]
	v_add_co_u32 v13, s2, s4, v0
	v_add_co_ci_u32_e64 v14, null, s5, v1, s2
	s_and_saveexec_b32 s2, s0
	s_cbranch_execz .LBB407_25
; %bb.22:
	v_mul_f64 v[0:1], s[18:19], v[17:18]
	v_mul_f64 v[2:3], s[16:17], v[17:18]
	v_lshlrev_b64 v[4:5], 4, v[4:5]
	v_cmp_ne_u32_e32 vcc_lo, 1, v6
	s_and_b32 vcc_lo, exec_lo, vcc_lo
	v_add_co_u32 v4, s0, v13, v4
	v_add_co_ci_u32_e64 v5, null, v14, v5, s0
	v_fma_f64 v[0:1], s[16:17], v[15:16], -v[0:1]
	v_fma_f64 v[2:3], s[18:19], v[15:16], v[2:3]
	s_cbranch_vccnz .LBB407_24
; %bb.23:
	flat_load_dwordx4 v[15:18], v[4:5]
	s_waitcnt vmcnt(0) lgkmcnt(0)
	v_mul_f64 v[20:21], s[14:15], v[17:18]
	v_mul_f64 v[17:18], s[12:13], v[17:18]
	v_fma_f64 v[20:21], s[12:13], v[15:16], -v[20:21]
	v_fma_f64 v[15:16], s[14:15], v[15:16], v[17:18]
	v_add_f64 v[0:1], v[0:1], v[20:21]
	v_add_f64 v[2:3], v[2:3], v[15:16]
.LBB407_24:
	flat_store_dwordx4 v[4:5], v[0:3]
.LBB407_25:
	s_or_b32 exec_lo, exec_lo, s2
	v_cmp_le_i32_e32 vcc_lo, v19, v11
	s_and_b32 s0, vcc_lo, s1
	s_and_saveexec_b32 s1, s0
	s_cbranch_execz .LBB407_30
; %bb.26:
	v_mul_f64 v[0:1], s[18:19], v[7:8]
	v_mul_f64 v[2:3], s[16:17], v[7:8]
	v_lshlrev_b64 v[4:5], 4, v[11:12]
	v_cmp_ne_u32_e32 vcc_lo, 1, v6
	s_and_b32 vcc_lo, exec_lo, vcc_lo
	v_add_co_u32 v4, s0, v13, v4
	v_add_co_ci_u32_e64 v5, null, v14, v5, s0
	v_fma_f64 v[0:1], s[16:17], v[9:10], -v[0:1]
	v_fma_f64 v[2:3], s[18:19], v[9:10], v[2:3]
	s_cbranch_vccnz .LBB407_28
; %bb.27:
	flat_load_dwordx4 v[6:9], v[4:5]
	s_waitcnt vmcnt(0) lgkmcnt(0)
	v_mul_f64 v[10:11], s[14:15], v[8:9]
	v_mul_f64 v[8:9], s[12:13], v[8:9]
	v_fma_f64 v[10:11], s[12:13], v[6:7], -v[10:11]
	v_fma_f64 v[6:7], s[14:15], v[6:7], v[8:9]
	v_add_f64 v[0:1], v[0:1], v[10:11]
	v_add_f64 v[2:3], v[2:3], v[6:7]
.LBB407_28:
	flat_store_dwordx4 v[4:5], v[0:3]
	s_endpgm
.LBB407_29:
.LBB407_30:
	s_endpgm
	.section	.rodata,"a",@progbits
	.p2align	6, 0x0
	.amdhsa_kernel _ZL29rocblas_internal_gemmt_kernelIiLi16ELi32ELi8ELc78ELc67ELc76ELb0ELb1E19rocblas_complex_numIdEPKS1_PKS3_PKPS1_EviT_T9_T10_S9_lSB_S9_lSA_T11_S9_li
		.amdhsa_group_segment_fixed_size 8192
		.amdhsa_private_segment_fixed_size 0
		.amdhsa_kernarg_size 100
		.amdhsa_user_sgpr_count 6
		.amdhsa_user_sgpr_private_segment_buffer 1
		.amdhsa_user_sgpr_dispatch_ptr 0
		.amdhsa_user_sgpr_queue_ptr 0
		.amdhsa_user_sgpr_kernarg_segment_ptr 1
		.amdhsa_user_sgpr_dispatch_id 0
		.amdhsa_user_sgpr_flat_scratch_init 0
		.amdhsa_user_sgpr_private_segment_size 0
		.amdhsa_wavefront_size32 1
		.amdhsa_uses_dynamic_stack 0
		.amdhsa_system_sgpr_private_segment_wavefront_offset 0
		.amdhsa_system_sgpr_workgroup_id_x 1
		.amdhsa_system_sgpr_workgroup_id_y 1
		.amdhsa_system_sgpr_workgroup_id_z 1
		.amdhsa_system_sgpr_workgroup_info 0
		.amdhsa_system_vgpr_workitem_id 1
		.amdhsa_next_free_vgpr 127
		.amdhsa_next_free_sgpr 35
		.amdhsa_reserve_vcc 1
		.amdhsa_reserve_flat_scratch 0
		.amdhsa_float_round_mode_32 0
		.amdhsa_float_round_mode_16_64 0
		.amdhsa_float_denorm_mode_32 3
		.amdhsa_float_denorm_mode_16_64 3
		.amdhsa_dx10_clamp 1
		.amdhsa_ieee_mode 1
		.amdhsa_fp16_overflow 0
		.amdhsa_workgroup_processor_mode 1
		.amdhsa_memory_ordered 1
		.amdhsa_forward_progress 1
		.amdhsa_shared_vgpr_count 0
		.amdhsa_exception_fp_ieee_invalid_op 0
		.amdhsa_exception_fp_denorm_src 0
		.amdhsa_exception_fp_ieee_div_zero 0
		.amdhsa_exception_fp_ieee_overflow 0
		.amdhsa_exception_fp_ieee_underflow 0
		.amdhsa_exception_fp_ieee_inexact 0
		.amdhsa_exception_int_div_zero 0
	.end_amdhsa_kernel
	.section	.text._ZL29rocblas_internal_gemmt_kernelIiLi16ELi32ELi8ELc78ELc67ELc76ELb0ELb1E19rocblas_complex_numIdEPKS1_PKS3_PKPS1_EviT_T9_T10_S9_lSB_S9_lSA_T11_S9_li,"axG",@progbits,_ZL29rocblas_internal_gemmt_kernelIiLi16ELi32ELi8ELc78ELc67ELc76ELb0ELb1E19rocblas_complex_numIdEPKS1_PKS3_PKPS1_EviT_T9_T10_S9_lSB_S9_lSA_T11_S9_li,comdat
.Lfunc_end407:
	.size	_ZL29rocblas_internal_gemmt_kernelIiLi16ELi32ELi8ELc78ELc67ELc76ELb0ELb1E19rocblas_complex_numIdEPKS1_PKS3_PKPS1_EviT_T9_T10_S9_lSB_S9_lSA_T11_S9_li, .Lfunc_end407-_ZL29rocblas_internal_gemmt_kernelIiLi16ELi32ELi8ELc78ELc67ELc76ELb0ELb1E19rocblas_complex_numIdEPKS1_PKS3_PKPS1_EviT_T9_T10_S9_lSB_S9_lSA_T11_S9_li
                                        ; -- End function
	.set _ZL29rocblas_internal_gemmt_kernelIiLi16ELi32ELi8ELc78ELc67ELc76ELb0ELb1E19rocblas_complex_numIdEPKS1_PKS3_PKPS1_EviT_T9_T10_S9_lSB_S9_lSA_T11_S9_li.num_vgpr, 127
	.set _ZL29rocblas_internal_gemmt_kernelIiLi16ELi32ELi8ELc78ELc67ELc76ELb0ELb1E19rocblas_complex_numIdEPKS1_PKS3_PKPS1_EviT_T9_T10_S9_lSB_S9_lSA_T11_S9_li.num_agpr, 0
	.set _ZL29rocblas_internal_gemmt_kernelIiLi16ELi32ELi8ELc78ELc67ELc76ELb0ELb1E19rocblas_complex_numIdEPKS1_PKS3_PKPS1_EviT_T9_T10_S9_lSB_S9_lSA_T11_S9_li.numbered_sgpr, 35
	.set _ZL29rocblas_internal_gemmt_kernelIiLi16ELi32ELi8ELc78ELc67ELc76ELb0ELb1E19rocblas_complex_numIdEPKS1_PKS3_PKPS1_EviT_T9_T10_S9_lSB_S9_lSA_T11_S9_li.num_named_barrier, 0
	.set _ZL29rocblas_internal_gemmt_kernelIiLi16ELi32ELi8ELc78ELc67ELc76ELb0ELb1E19rocblas_complex_numIdEPKS1_PKS3_PKPS1_EviT_T9_T10_S9_lSB_S9_lSA_T11_S9_li.private_seg_size, 0
	.set _ZL29rocblas_internal_gemmt_kernelIiLi16ELi32ELi8ELc78ELc67ELc76ELb0ELb1E19rocblas_complex_numIdEPKS1_PKS3_PKPS1_EviT_T9_T10_S9_lSB_S9_lSA_T11_S9_li.uses_vcc, 1
	.set _ZL29rocblas_internal_gemmt_kernelIiLi16ELi32ELi8ELc78ELc67ELc76ELb0ELb1E19rocblas_complex_numIdEPKS1_PKS3_PKPS1_EviT_T9_T10_S9_lSB_S9_lSA_T11_S9_li.uses_flat_scratch, 0
	.set _ZL29rocblas_internal_gemmt_kernelIiLi16ELi32ELi8ELc78ELc67ELc76ELb0ELb1E19rocblas_complex_numIdEPKS1_PKS3_PKPS1_EviT_T9_T10_S9_lSB_S9_lSA_T11_S9_li.has_dyn_sized_stack, 0
	.set _ZL29rocblas_internal_gemmt_kernelIiLi16ELi32ELi8ELc78ELc67ELc76ELb0ELb1E19rocblas_complex_numIdEPKS1_PKS3_PKPS1_EviT_T9_T10_S9_lSB_S9_lSA_T11_S9_li.has_recursion, 0
	.set _ZL29rocblas_internal_gemmt_kernelIiLi16ELi32ELi8ELc78ELc67ELc76ELb0ELb1E19rocblas_complex_numIdEPKS1_PKS3_PKPS1_EviT_T9_T10_S9_lSB_S9_lSA_T11_S9_li.has_indirect_call, 0
	.section	.AMDGPU.csdata,"",@progbits
; Kernel info:
; codeLenInByte = 3572
; TotalNumSgprs: 37
; NumVgprs: 127
; ScratchSize: 0
; MemoryBound: 1
; FloatMode: 240
; IeeeMode: 1
; LDSByteSize: 8192 bytes/workgroup (compile time only)
; SGPRBlocks: 0
; VGPRBlocks: 15
; NumSGPRsForWavesPerEU: 37
; NumVGPRsForWavesPerEU: 127
; Occupancy: 8
; WaveLimiterHint : 1
; COMPUTE_PGM_RSRC2:SCRATCH_EN: 0
; COMPUTE_PGM_RSRC2:USER_SGPR: 6
; COMPUTE_PGM_RSRC2:TRAP_HANDLER: 0
; COMPUTE_PGM_RSRC2:TGID_X_EN: 1
; COMPUTE_PGM_RSRC2:TGID_Y_EN: 1
; COMPUTE_PGM_RSRC2:TGID_Z_EN: 1
; COMPUTE_PGM_RSRC2:TIDIG_COMP_CNT: 1
	.section	.text._ZL29rocblas_internal_gemmt_kernelIiLi16ELi32ELi8ELc84ELc78ELc76ELb0ELb0E19rocblas_complex_numIdEPKS1_PKS3_PKPS1_EviT_T9_T10_S9_lSB_S9_lSA_T11_S9_li,"axG",@progbits,_ZL29rocblas_internal_gemmt_kernelIiLi16ELi32ELi8ELc84ELc78ELc76ELb0ELb0E19rocblas_complex_numIdEPKS1_PKS3_PKPS1_EviT_T9_T10_S9_lSB_S9_lSA_T11_S9_li,comdat
	.globl	_ZL29rocblas_internal_gemmt_kernelIiLi16ELi32ELi8ELc84ELc78ELc76ELb0ELb0E19rocblas_complex_numIdEPKS1_PKS3_PKPS1_EviT_T9_T10_S9_lSB_S9_lSA_T11_S9_li ; -- Begin function _ZL29rocblas_internal_gemmt_kernelIiLi16ELi32ELi8ELc84ELc78ELc76ELb0ELb0E19rocblas_complex_numIdEPKS1_PKS3_PKPS1_EviT_T9_T10_S9_lSB_S9_lSA_T11_S9_li
	.p2align	8
	.type	_ZL29rocblas_internal_gemmt_kernelIiLi16ELi32ELi8ELc84ELc78ELc76ELb0ELb0E19rocblas_complex_numIdEPKS1_PKS3_PKPS1_EviT_T9_T10_S9_lSB_S9_lSA_T11_S9_li,@function
_ZL29rocblas_internal_gemmt_kernelIiLi16ELi32ELi8ELc84ELc78ELc76ELb0ELb0E19rocblas_complex_numIdEPKS1_PKS3_PKPS1_EviT_T9_T10_S9_lSB_S9_lSA_T11_S9_li: ; @_ZL29rocblas_internal_gemmt_kernelIiLi16ELi32ELi8ELc84ELc78ELc76ELb0ELb0E19rocblas_complex_numIdEPKS1_PKS3_PKPS1_EviT_T9_T10_S9_lSB_S9_lSA_T11_S9_li
; %bb.0:
	s_load_dwordx4 s[20:23], s[4:5], 0x38
	s_waitcnt lgkmcnt(0)
	s_load_dwordx4 s[12:15], s[22:23], 0x0
	s_clause 0x1
	s_load_dwordx4 s[0:3], s[4:5], 0x8
	s_load_dwordx2 s[10:11], s[4:5], 0x0
	s_waitcnt lgkmcnt(0)
	s_load_dwordx4 s[16:19], s[0:1], 0x0
	v_cmp_eq_f64_e64 s9, s[12:13], 1.0
	v_cmp_eq_f64_e64 s30, s[14:15], 0
	s_and_b32 s0, s9, s30
	s_andn2_b32 vcc_lo, exec_lo, s0
	s_mov_b32 s0, -1
	s_cbranch_vccnz .LBB408_3
; %bb.1:
	s_cmp_lg_u32 s11, 0
	s_cbranch_scc0 .LBB408_31
; %bb.2:
	s_waitcnt lgkmcnt(0)
	v_cmp_neq_f64_e64 s0, s[16:17], 0
	v_cmp_neq_f64_e64 s1, s[18:19], 0
	s_or_b32 s0, s0, s1
.LBB408_3:
	s_and_b32 vcc_lo, exec_lo, s0
	s_cbranch_vccz .LBB408_32
; %bb.4:
	s_load_dwordx2 s[0:1], s[4:5], 0x48
	s_waitcnt lgkmcnt(0)
	v_cmp_eq_f64_e64 s24, s[16:17], 0
	v_cmp_eq_f64_e64 s25, s[18:19], 0
	s_mov_b32 s9, 0
	v_mov_b32_e32 v22, 0
	s_lshl_b64 s[28:29], s[8:9], 3
	v_mov_b32_e32 v24, 0
	v_mov_b32_e32 v18, 0
	;; [unrolled: 1-line block ×14, first 2 shown]
	s_add_u32 s0, s0, s28
	s_addc_u32 s1, s1, s29
	s_lshl_b32 s6, s6, 5
	s_load_dwordx2 s[22:23], s[0:1], 0x0
	s_lshl_b32 s7, s7, 5
	s_and_b32 s0, s24, s25
	s_cmp_lt_i32 s11, 1
	v_mov_b32_e32 v7, 0
	s_cselect_b32 s1, -1, 0
	s_or_b32 s0, s0, s1
	s_and_b32 vcc_lo, exec_lo, s0
	s_cbranch_vccnz .LBB408_15
; %bb.5:
	s_clause 0x2
	s_load_dword s1, s[4:5], 0x18
	s_load_dwordx4 s[24:27], s[4:5], 0x20
	s_load_dword s8, s[4:5], 0x30
	v_lshl_add_u32 v2, v1, 4, v0
	v_and_b32_e32 v26, 7, v0
	v_mov_b32_e32 v8, 0
	v_mov_b32_e32 v16, 0
	;; [unrolled: 1-line block ×3, first 2 shown]
	v_and_b32_e32 v3, 31, v2
	v_lshrrev_b32_e32 v4, 3, v2
	v_lshlrev_b32_e32 v6, 4, v26
	v_lshrrev_b32_e32 v29, 5, v2
	v_mov_b32_e32 v20, 0
	v_or_b32_e32 v2, s6, v3
	v_lshlrev_b32_e32 v5, 4, v3
	v_add_nc_u32_e32 v3, s6, v3
	v_add_nc_u32_e32 v7, s7, v4
	v_lshl_or_b32 v4, v4, 7, v6
	v_cmp_gt_i32_e32 vcc_lo, s10, v2
	v_lshl_or_b32 v30, v29, 9, v5
	s_waitcnt lgkmcnt(0)
	v_mad_i64_i32 v[2:3], null, s1, v3, 0
	s_add_u32 s26, s26, s28
	s_addc_u32 s27, s27, s29
	s_add_u32 s2, s2, s28
	v_add_nc_u32_e32 v31, 0x1000, v4
	v_mad_i64_i32 v[4:5], null, s8, v7, 0
	s_addc_u32 s3, s3, s29
	s_load_dwordx2 s[26:27], s[26:27], 0x0
	s_load_dwordx2 s[2:3], s[2:3], 0x0
	v_lshlrev_b64 v[2:3], 4, v[2:3]
	s_lshl_b64 s[24:25], s[24:25], 4
	v_cmp_gt_i32_e64 s0, s10, v7
	v_lshlrev_b64 v[4:5], 4, v[4:5]
	v_lshlrev_b32_e32 v7, 4, v29
	s_lshl_b64 s[20:21], s[20:21], 4
	v_add_co_u32 v2, s1, v2, s24
	v_add_co_ci_u32_e64 v3, null, s25, v3, s1
	v_add_co_u32 v4, s1, v4, s20
	v_add_co_ci_u32_e64 v5, null, s21, v5, s1
	;; [unrolled: 2-line block ×4, first 2 shown]
	s_waitcnt lgkmcnt(0)
	v_add_co_u32 v10, s1, s2, v2
	v_add_co_ci_u32_e64 v11, null, s3, v3, s1
	v_add_co_u32 v12, s1, s26, v4
	v_mov_b32_e32 v6, 0
	v_mov_b32_e32 v18, 0
	v_mov_b32_e32 v24, 0
	v_mov_b32_e32 v22, 0
	v_lshlrev_b32_e32 v27, 4, v0
	v_lshl_add_u32 v28, v1, 7, 0x1000
	v_add_co_ci_u32_e64 v13, null, s27, v5, s1
	v_mov_b32_e32 v7, 0
	v_mov_b32_e32 v9, 0
	;; [unrolled: 1-line block ×9, first 2 shown]
	s_xor_b32 s1, vcc_lo, -1
	s_xor_b32 s0, s0, -1
	s_branch .LBB408_7
.LBB408_6:                              ;   in Loop: Header=BB408_7 Depth=1
	s_or_b32 exec_lo, exec_lo, s2
	s_waitcnt lgkmcnt(0)
	s_barrier
	buffer_gl0_inv
	ds_read_b128 v[32:35], v28
	ds_read_b128 v[36:39], v27
	ds_read_b128 v[40:43], v27 offset:256
	ds_read_b128 v[44:47], v28 offset:2048
	;; [unrolled: 1-line block ×12, first 2 shown]
	v_add_co_u32 v10, vcc_lo, 0x80, v10
	v_add_co_ci_u32_e64 v11, null, 0, v11, vcc_lo
	v_add_co_u32 v12, vcc_lo, 0x80, v12
	v_add_co_ci_u32_e64 v13, null, 0, v13, vcc_lo
	s_waitcnt lgkmcnt(12)
	v_mul_f64 v[3:4], v[34:35], v[38:39]
	v_mul_f64 v[88:89], v[32:33], v[38:39]
	s_waitcnt lgkmcnt(11)
	v_mul_f64 v[90:91], v[34:35], v[42:43]
	v_mul_f64 v[92:93], v[32:33], v[42:43]
	;; [unrolled: 3-line block ×3, first 2 shown]
	v_mul_f64 v[96:97], v[46:47], v[42:43]
	v_mul_f64 v[42:43], v[44:45], v[42:43]
	s_waitcnt lgkmcnt(8)
	v_mul_f64 v[98:99], v[50:51], v[54:55]
	v_mul_f64 v[100:101], v[48:49], v[54:55]
	s_waitcnt lgkmcnt(7)
	;; [unrolled: 3-line block ×3, first 2 shown]
	v_mul_f64 v[106:107], v[62:63], v[54:55]
	v_mul_f64 v[54:55], v[60:61], v[54:55]
	;; [unrolled: 1-line block ×4, first 2 shown]
	s_waitcnt lgkmcnt(4)
	v_mul_f64 v[110:111], v[66:67], v[70:71]
	v_mul_f64 v[112:113], v[64:65], v[70:71]
	s_waitcnt lgkmcnt(3)
	v_mul_f64 v[114:115], v[66:67], v[74:75]
	v_mul_f64 v[116:117], v[64:65], v[74:75]
	;; [unrolled: 3-line block ×3, first 2 shown]
	v_fma_f64 v[3:4], v[32:33], v[36:37], -v[3:4]
	v_fma_f64 v[88:89], v[34:35], v[36:37], v[88:89]
	v_fma_f64 v[90:91], v[32:33], v[40:41], -v[90:91]
	v_fma_f64 v[92:93], v[34:35], v[40:41], v[92:93]
	;; [unrolled: 2-line block ×4, first 2 shown]
	v_mul_f64 v[124:125], v[78:79], v[74:75]
	v_mul_f64 v[74:75], v[76:77], v[74:75]
	ds_read_b128 v[32:35], v27 offset:1536
	ds_read_b128 v[36:39], v27 offset:1792
	v_fma_f64 v[98:99], v[48:49], v[52:53], -v[98:99]
	v_fma_f64 v[100:101], v[50:51], v[52:53], v[100:101]
	v_fma_f64 v[102:103], v[48:49], v[56:57], -v[102:103]
	v_fma_f64 v[104:105], v[50:51], v[56:57], v[104:105]
	;; [unrolled: 2-line block ×7, first 2 shown]
	v_add_f64 v[22:23], v[22:23], v[3:4]
	v_add_f64 v[24:25], v[88:89], v[24:25]
	;; [unrolled: 1-line block ×4, first 2 shown]
	s_waitcnt lgkmcnt(1)
	v_mul_f64 v[110:111], v[82:83], v[34:35]
	v_mul_f64 v[112:113], v[80:81], v[34:35]
	s_waitcnt lgkmcnt(0)
	v_mul_f64 v[70:71], v[82:83], v[38:39]
	v_fma_f64 v[76:77], v[76:77], v[72:73], -v[124:125]
	v_fma_f64 v[72:73], v[78:79], v[72:73], v[74:75]
	v_add_f64 v[74:75], v[14:15], v[94:95]
	v_add_f64 v[78:79], v[120:121], v[16:17]
	;; [unrolled: 1-line block ×4, first 2 shown]
	ds_read_b128 v[40:43], v28 offset:64
	ds_read_b128 v[44:47], v27 offset:2048
	;; [unrolled: 1-line block ×3, first 2 shown]
	v_mul_f64 v[114:115], v[80:81], v[38:39]
	v_mul_f64 v[116:117], v[86:87], v[34:35]
	v_mul_f64 v[34:35], v[84:85], v[34:35]
	v_mul_f64 v[90:91], v[86:87], v[38:39]
	v_mul_f64 v[38:39], v[84:85], v[38:39]
	ds_read_b128 v[52:55], v28 offset:2112
	ds_read_b128 v[14:17], v28 offset:2128
	v_add_f64 v[98:99], v[22:23], v[98:99]
	v_add_f64 v[100:101], v[100:101], v[24:25]
	;; [unrolled: 1-line block ×4, first 2 shown]
	v_fma_f64 v[92:93], v[80:81], v[32:33], -v[110:111]
	v_fma_f64 v[94:95], v[82:83], v[32:33], v[112:113]
	v_fma_f64 v[70:71], v[80:81], v[36:37], -v[70:71]
	ds_read_b128 v[18:21], v27 offset:2560
	ds_read_b128 v[3:6], v28 offset:80
	;; [unrolled: 1-line block ×3, first 2 shown]
	v_add_f64 v[74:75], v[74:75], v[106:107]
	s_waitcnt lgkmcnt(6)
	v_mul_f64 v[80:81], v[42:43], v[46:47]
	v_mul_f64 v[96:97], v[40:41], v[46:47]
	s_waitcnt lgkmcnt(5)
	v_mul_f64 v[110:111], v[42:43], v[50:51]
	v_mul_f64 v[112:113], v[40:41], v[50:51]
	v_add_f64 v[78:79], v[126:127], v[78:79]
	v_add_f64 v[7:8], v[8:9], v[60:61]
	;; [unrolled: 1-line block ×3, first 2 shown]
	v_fma_f64 v[82:83], v[82:83], v[36:37], v[114:115]
	s_waitcnt lgkmcnt(4)
	v_mul_f64 v[114:115], v[54:55], v[46:47]
	v_mul_f64 v[46:47], v[52:53], v[46:47]
	v_fma_f64 v[60:61], v[84:85], v[32:33], -v[116:117]
	v_fma_f64 v[88:89], v[86:87], v[32:33], v[34:35]
	v_fma_f64 v[84:85], v[84:85], v[36:37], -v[90:91]
	v_fma_f64 v[86:87], v[86:87], v[36:37], v[38:39]
	v_add_f64 v[58:59], v[98:99], v[58:59]
	v_add_f64 v[62:63], v[62:63], v[100:101]
	;; [unrolled: 1-line block ×4, first 2 shown]
	s_waitcnt lgkmcnt(0)
	v_mul_f64 v[98:99], v[3:4], v[24:25]
	v_mul_f64 v[100:101], v[16:17], v[20:21]
	;; [unrolled: 1-line block ×3, first 2 shown]
	v_add_f64 v[74:75], v[74:75], v[108:109]
	v_fma_f64 v[80:81], v[40:41], v[44:45], -v[80:81]
	v_fma_f64 v[90:91], v[42:43], v[44:45], v[96:97]
	v_fma_f64 v[96:97], v[40:41], v[48:49], -v[110:111]
	v_fma_f64 v[106:107], v[42:43], v[48:49], v[112:113]
	v_mul_f64 v[40:41], v[54:55], v[50:51]
	v_mul_f64 v[42:43], v[52:53], v[50:51]
	v_add_f64 v[68:69], v[68:69], v[78:79]
	v_add_f64 v[7:8], v[7:8], v[76:77]
	;; [unrolled: 1-line block ×3, first 2 shown]
	v_fma_f64 v[50:51], v[52:53], v[44:45], -v[114:115]
	v_fma_f64 v[110:111], v[54:55], v[44:45], v[46:47]
	v_mul_f64 v[72:73], v[5:6], v[20:21]
	v_mul_f64 v[76:77], v[3:4], v[20:21]
	;; [unrolled: 1-line block ×5, first 2 shown]
	ds_read_b128 v[32:35], v28 offset:96
	ds_read_b128 v[36:39], v27 offset:3072
	s_add_i32 s9, s9, 8
	s_cmp_lt_i32 s9, s11
	v_add_f64 v[60:61], v[74:75], v[60:61]
	v_fma_f64 v[74:75], v[5:6], v[22:23], v[98:99]
	v_fma_f64 v[52:53], v[52:53], v[48:49], -v[40:41]
	v_fma_f64 v[48:49], v[54:55], v[48:49], v[42:43]
	v_add_f64 v[54:55], v[58:59], v[92:93]
	v_add_f64 v[58:59], v[94:95], v[62:63]
	;; [unrolled: 1-line block ×7, first 2 shown]
	ds_read_b128 v[40:43], v27 offset:3328
	ds_read_b128 v[44:47], v28 offset:2144
	v_fma_f64 v[68:69], v[3:4], v[18:19], -v[72:73]
	v_fma_f64 v[70:71], v[5:6], v[18:19], v[76:77]
	v_fma_f64 v[72:73], v[3:4], v[22:23], -v[78:79]
	v_fma_f64 v[76:77], v[14:15], v[18:19], -v[100:101]
	v_fma_f64 v[78:79], v[16:17], v[18:19], v[20:21]
	v_fma_f64 v[82:83], v[14:15], v[22:23], -v[102:103]
	s_waitcnt lgkmcnt(2)
	v_mul_f64 v[84:85], v[34:35], v[38:39]
	v_fma_f64 v[86:87], v[16:17], v[22:23], v[24:25]
	v_mul_f64 v[88:89], v[32:33], v[38:39]
	v_add_f64 v[50:51], v[60:61], v[50:51]
	ds_read_b128 v[3:6], v28 offset:112
	ds_read_b128 v[14:17], v28 offset:2160
	;; [unrolled: 1-line block ×4, first 2 shown]
	s_waitcnt lgkmcnt(0)
	v_add_f64 v[54:55], v[54:55], v[80:81]
	v_add_f64 v[58:59], v[90:91], v[58:59]
	;; [unrolled: 1-line block ×4, first 2 shown]
	v_mul_f64 v[92:93], v[34:35], v[42:43]
	v_mul_f64 v[94:95], v[32:33], v[42:43]
	;; [unrolled: 1-line block ×4, first 2 shown]
	v_add_f64 v[60:61], v[110:111], v[66:67]
	v_add_f64 v[7:8], v[7:8], v[52:53]
	;; [unrolled: 1-line block ×3, first 2 shown]
	v_mul_f64 v[52:53], v[46:47], v[42:43]
	v_mul_f64 v[42:43], v[44:45], v[42:43]
	s_barrier
	v_fma_f64 v[56:57], v[32:33], v[36:37], -v[84:85]
	buffer_gl0_inv
	v_fma_f64 v[66:67], v[34:35], v[36:37], v[88:89]
	v_add_f64 v[50:51], v[50:51], v[76:77]
	v_fma_f64 v[32:33], v[32:33], v[40:41], -v[92:93]
	v_fma_f64 v[34:35], v[34:35], v[40:41], v[94:95]
	v_fma_f64 v[80:81], v[44:45], v[36:37], -v[98:99]
	v_fma_f64 v[36:37], v[46:47], v[36:37], v[38:39]
	v_add_f64 v[38:39], v[54:55], v[68:69]
	v_add_f64 v[54:55], v[70:71], v[58:59]
	;; [unrolled: 1-line block ×7, first 2 shown]
	v_fma_f64 v[44:45], v[44:45], v[40:41], -v[52:53]
	v_fma_f64 v[40:41], v[46:47], v[40:41], v[42:43]
	v_mul_f64 v[42:43], v[5:6], v[20:21]
	v_mul_f64 v[46:47], v[3:4], v[20:21]
	;; [unrolled: 1-line block ×8, first 2 shown]
	v_add_f64 v[50:51], v[50:51], v[80:81]
	v_add_f64 v[38:39], v[38:39], v[56:57]
	v_add_f64 v[54:55], v[66:67], v[54:55]
	v_add_f64 v[32:33], v[58:59], v[32:33]
	v_add_f64 v[34:35], v[34:35], v[62:63]
	v_add_f64 v[36:37], v[36:37], v[60:61]
	v_add_f64 v[7:8], v[7:8], v[44:45]
	v_add_f64 v[40:41], v[40:41], v[48:49]
	v_fma_f64 v[42:43], v[3:4], v[18:19], -v[42:43]
	v_fma_f64 v[44:45], v[5:6], v[18:19], v[46:47]
	v_fma_f64 v[3:4], v[3:4], v[22:23], -v[52:53]
	v_fma_f64 v[5:6], v[5:6], v[22:23], v[64:65]
	;; [unrolled: 2-line block ×4, first 2 shown]
	v_add_f64 v[22:23], v[38:39], v[42:43]
	v_add_f64 v[24:25], v[44:45], v[54:55]
	;; [unrolled: 1-line block ×8, first 2 shown]
	s_cbranch_scc0 .LBB408_15
.LBB408_7:                              ; =>This Inner Loop Header: Depth=1
	v_add_nc_u32_e32 v3, s9, v29
	v_cmp_le_i32_e32 vcc_lo, s11, v3
	s_or_b32 s2, s1, vcc_lo
	s_and_saveexec_b32 s3, s2
	s_xor_b32 s2, exec_lo, s3
	s_cbranch_execz .LBB408_9
; %bb.8:                                ;   in Loop: Header=BB408_7 Depth=1
	v_mov_b32_e32 v3, v2
	v_mov_b32_e32 v4, v2
	;; [unrolled: 1-line block ×3, first 2 shown]
	ds_write_b128 v30, v[2:5]
.LBB408_9:                              ;   in Loop: Header=BB408_7 Depth=1
	s_andn2_saveexec_b32 s2, s2
	s_cbranch_execz .LBB408_11
; %bb.10:                               ;   in Loop: Header=BB408_7 Depth=1
	flat_load_dwordx4 v[32:35], v[10:11]
	s_waitcnt vmcnt(0) lgkmcnt(0)
	ds_write2_b64 v30, v[32:33], v[34:35] offset1:1
.LBB408_11:                             ;   in Loop: Header=BB408_7 Depth=1
	s_or_b32 exec_lo, exec_lo, s2
	v_add_nc_u32_e32 v3, s9, v26
	v_cmp_le_i32_e32 vcc_lo, s11, v3
	s_or_b32 s2, vcc_lo, s0
	s_and_saveexec_b32 s3, s2
	s_xor_b32 s2, exec_lo, s3
	s_cbranch_execz .LBB408_13
; %bb.12:                               ;   in Loop: Header=BB408_7 Depth=1
	v_mov_b32_e32 v3, v2
	v_mov_b32_e32 v4, v2
	;; [unrolled: 1-line block ×3, first 2 shown]
	ds_write_b128 v31, v[2:5]
.LBB408_13:                             ;   in Loop: Header=BB408_7 Depth=1
	s_andn2_saveexec_b32 s2, s2
	s_cbranch_execz .LBB408_6
; %bb.14:                               ;   in Loop: Header=BB408_7 Depth=1
	flat_load_dwordx4 v[32:35], v[12:13]
	s_waitcnt vmcnt(0) lgkmcnt(0)
	ds_write2_b64 v31, v[32:33], v[34:35] offset1:1
	s_branch .LBB408_6
.LBB408_15:
	s_clause 0x1
	s_load_dword s3, s[4:5], 0x50
	s_load_dwordx2 s[4:5], s[4:5], 0x58
	v_cmp_neq_f64_e64 s2, s[12:13], 0
	v_add_nc_u32_e32 v27, s7, v1
	v_add_nc_u32_e32 v4, s6, v0
	v_cmp_le_i32_e32 vcc_lo, v27, v4
	v_cmp_gt_i32_e64 s0, s10, v4
	v_ashrrev_i32_e32 v5, 31, v4
	s_waitcnt lgkmcnt(0)
	v_mad_i64_i32 v[0:1], null, v27, s3, 0
	s_lshl_b64 s[4:5], s[4:5], 4
	s_add_u32 s4, s22, s4
	s_addc_u32 s5, s23, s5
	s_xor_b32 s6, s30, -1
	s_or_b32 s2, s2, s6
	v_lshlrev_b64 v[0:1], 4, v[0:1]
	v_cndmask_b32_e64 v26, 0, 1, s2
	s_and_b32 s6, vcc_lo, s0
	v_add_co_u32 v12, s1, s4, v0
	v_add_co_ci_u32_e64 v13, null, s5, v1, s1
	s_and_saveexec_b32 s1, s6
	s_cbranch_execz .LBB408_19
; %bb.16:
	v_mul_f64 v[0:1], s[18:19], v[24:25]
	v_mul_f64 v[2:3], s[16:17], v[24:25]
	v_lshlrev_b64 v[10:11], 4, v[4:5]
	v_add_co_u32 v10, vcc_lo, v12, v10
	v_add_co_ci_u32_e64 v11, null, v13, v11, vcc_lo
	s_andn2_b32 vcc_lo, exec_lo, s2
	v_fma_f64 v[0:1], s[16:17], v[22:23], -v[0:1]
	v_fma_f64 v[2:3], s[18:19], v[22:23], v[2:3]
	s_cbranch_vccnz .LBB408_18
; %bb.17:
	flat_load_dwordx4 v[22:25], v[10:11]
	s_waitcnt vmcnt(0) lgkmcnt(0)
	v_mul_f64 v[28:29], s[14:15], v[24:25]
	v_mul_f64 v[24:25], s[12:13], v[24:25]
	v_fma_f64 v[28:29], s[12:13], v[22:23], -v[28:29]
	v_fma_f64 v[22:23], s[14:15], v[22:23], v[24:25]
	v_add_f64 v[0:1], v[0:1], v[28:29]
	v_add_f64 v[2:3], v[2:3], v[22:23]
.LBB408_18:
	flat_store_dwordx4 v[10:11], v[0:3]
.LBB408_19:
	s_or_b32 exec_lo, exec_lo, s1
	v_add_nc_u32_e32 v10, 16, v4
	v_cmp_le_i32_e32 vcc_lo, v27, v10
	v_cmp_gt_i32_e64 s1, s10, v10
	v_ashrrev_i32_e32 v11, 31, v10
	s_and_b32 s2, vcc_lo, s1
	s_and_saveexec_b32 s6, s2
	s_cbranch_execz .LBB408_23
; %bb.20:
	v_mul_f64 v[0:1], s[18:19], v[20:21]
	v_mul_f64 v[2:3], s[16:17], v[20:21]
	v_cmp_ne_u32_e32 vcc_lo, 1, v26
	s_and_b32 vcc_lo, exec_lo, vcc_lo
	v_fma_f64 v[0:1], s[16:17], v[18:19], -v[0:1]
	v_fma_f64 v[2:3], s[18:19], v[18:19], v[2:3]
	v_lshlrev_b64 v[18:19], 4, v[10:11]
	v_add_co_u32 v12, s2, v12, v18
	v_add_co_ci_u32_e64 v13, null, v13, v19, s2
	s_cbranch_vccnz .LBB408_22
; %bb.21:
	flat_load_dwordx4 v[18:21], v[12:13]
	s_waitcnt vmcnt(0) lgkmcnt(0)
	v_mul_f64 v[22:23], s[14:15], v[20:21]
	v_mul_f64 v[20:21], s[12:13], v[20:21]
	v_fma_f64 v[22:23], s[12:13], v[18:19], -v[22:23]
	v_fma_f64 v[18:19], s[14:15], v[18:19], v[20:21]
	v_add_f64 v[0:1], v[0:1], v[22:23]
	v_add_f64 v[2:3], v[2:3], v[18:19]
.LBB408_22:
	flat_store_dwordx4 v[12:13], v[0:3]
.LBB408_23:
	s_or_b32 exec_lo, exec_lo, s6
	v_add_nc_u32_e32 v18, 16, v27
	v_mad_i64_i32 v[0:1], null, v18, s3, 0
	v_cmp_le_i32_e32 vcc_lo, v18, v4
	s_and_b32 s0, vcc_lo, s0
	v_lshlrev_b64 v[0:1], 4, v[0:1]
	v_add_co_u32 v12, s2, s4, v0
	v_add_co_ci_u32_e64 v13, null, s5, v1, s2
	s_and_saveexec_b32 s2, s0
	s_cbranch_execz .LBB408_27
; %bb.24:
	v_mul_f64 v[0:1], s[18:19], v[16:17]
	v_mul_f64 v[2:3], s[16:17], v[16:17]
	v_lshlrev_b64 v[4:5], 4, v[4:5]
	v_cmp_ne_u32_e32 vcc_lo, 1, v26
	s_and_b32 vcc_lo, exec_lo, vcc_lo
	v_add_co_u32 v4, s0, v12, v4
	v_add_co_ci_u32_e64 v5, null, v13, v5, s0
	v_fma_f64 v[0:1], s[16:17], v[14:15], -v[0:1]
	v_fma_f64 v[2:3], s[18:19], v[14:15], v[2:3]
	s_cbranch_vccnz .LBB408_26
; %bb.25:
	flat_load_dwordx4 v[14:17], v[4:5]
	s_waitcnt vmcnt(0) lgkmcnt(0)
	v_mul_f64 v[19:20], s[14:15], v[16:17]
	v_mul_f64 v[16:17], s[12:13], v[16:17]
	v_fma_f64 v[19:20], s[12:13], v[14:15], -v[19:20]
	v_fma_f64 v[14:15], s[14:15], v[14:15], v[16:17]
	v_add_f64 v[0:1], v[0:1], v[19:20]
	v_add_f64 v[2:3], v[2:3], v[14:15]
.LBB408_26:
	flat_store_dwordx4 v[4:5], v[0:3]
.LBB408_27:
	s_or_b32 exec_lo, exec_lo, s2
	v_cmp_le_i32_e32 vcc_lo, v18, v10
	s_and_b32 s0, vcc_lo, s1
	s_and_saveexec_b32 s1, s0
	s_cbranch_execz .LBB408_32
; %bb.28:
	v_mul_f64 v[0:1], s[18:19], v[6:7]
	v_mul_f64 v[2:3], s[16:17], v[6:7]
	v_lshlrev_b64 v[4:5], 4, v[10:11]
	v_cmp_ne_u32_e32 vcc_lo, 1, v26
	s_and_b32 vcc_lo, exec_lo, vcc_lo
	v_add_co_u32 v4, s0, v12, v4
	v_add_co_ci_u32_e64 v5, null, v13, v5, s0
	v_fma_f64 v[0:1], s[16:17], v[8:9], -v[0:1]
	v_fma_f64 v[2:3], s[18:19], v[8:9], v[2:3]
	s_cbranch_vccnz .LBB408_30
; %bb.29:
	flat_load_dwordx4 v[6:9], v[4:5]
	s_waitcnt vmcnt(0) lgkmcnt(0)
	v_mul_f64 v[10:11], s[14:15], v[8:9]
	v_mul_f64 v[8:9], s[12:13], v[8:9]
	v_fma_f64 v[10:11], s[12:13], v[6:7], -v[10:11]
	v_fma_f64 v[6:7], s[14:15], v[6:7], v[8:9]
	v_add_f64 v[0:1], v[0:1], v[10:11]
	v_add_f64 v[2:3], v[2:3], v[6:7]
.LBB408_30:
	flat_store_dwordx4 v[4:5], v[0:3]
	s_endpgm
.LBB408_31:
.LBB408_32:
	s_endpgm
	.section	.rodata,"a",@progbits
	.p2align	6, 0x0
	.amdhsa_kernel _ZL29rocblas_internal_gemmt_kernelIiLi16ELi32ELi8ELc84ELc78ELc76ELb0ELb0E19rocblas_complex_numIdEPKS1_PKS3_PKPS1_EviT_T9_T10_S9_lSB_S9_lSA_T11_S9_li
		.amdhsa_group_segment_fixed_size 8192
		.amdhsa_private_segment_fixed_size 0
		.amdhsa_kernarg_size 100
		.amdhsa_user_sgpr_count 6
		.amdhsa_user_sgpr_private_segment_buffer 1
		.amdhsa_user_sgpr_dispatch_ptr 0
		.amdhsa_user_sgpr_queue_ptr 0
		.amdhsa_user_sgpr_kernarg_segment_ptr 1
		.amdhsa_user_sgpr_dispatch_id 0
		.amdhsa_user_sgpr_flat_scratch_init 0
		.amdhsa_user_sgpr_private_segment_size 0
		.amdhsa_wavefront_size32 1
		.amdhsa_uses_dynamic_stack 0
		.amdhsa_system_sgpr_private_segment_wavefront_offset 0
		.amdhsa_system_sgpr_workgroup_id_x 1
		.amdhsa_system_sgpr_workgroup_id_y 1
		.amdhsa_system_sgpr_workgroup_id_z 1
		.amdhsa_system_sgpr_workgroup_info 0
		.amdhsa_system_vgpr_workitem_id 1
		.amdhsa_next_free_vgpr 128
		.amdhsa_next_free_sgpr 31
		.amdhsa_reserve_vcc 1
		.amdhsa_reserve_flat_scratch 0
		.amdhsa_float_round_mode_32 0
		.amdhsa_float_round_mode_16_64 0
		.amdhsa_float_denorm_mode_32 3
		.amdhsa_float_denorm_mode_16_64 3
		.amdhsa_dx10_clamp 1
		.amdhsa_ieee_mode 1
		.amdhsa_fp16_overflow 0
		.amdhsa_workgroup_processor_mode 1
		.amdhsa_memory_ordered 1
		.amdhsa_forward_progress 1
		.amdhsa_shared_vgpr_count 0
		.amdhsa_exception_fp_ieee_invalid_op 0
		.amdhsa_exception_fp_denorm_src 0
		.amdhsa_exception_fp_ieee_div_zero 0
		.amdhsa_exception_fp_ieee_overflow 0
		.amdhsa_exception_fp_ieee_underflow 0
		.amdhsa_exception_fp_ieee_inexact 0
		.amdhsa_exception_int_div_zero 0
	.end_amdhsa_kernel
	.section	.text._ZL29rocblas_internal_gemmt_kernelIiLi16ELi32ELi8ELc84ELc78ELc76ELb0ELb0E19rocblas_complex_numIdEPKS1_PKS3_PKPS1_EviT_T9_T10_S9_lSB_S9_lSA_T11_S9_li,"axG",@progbits,_ZL29rocblas_internal_gemmt_kernelIiLi16ELi32ELi8ELc84ELc78ELc76ELb0ELb0E19rocblas_complex_numIdEPKS1_PKS3_PKPS1_EviT_T9_T10_S9_lSB_S9_lSA_T11_S9_li,comdat
.Lfunc_end408:
	.size	_ZL29rocblas_internal_gemmt_kernelIiLi16ELi32ELi8ELc84ELc78ELc76ELb0ELb0E19rocblas_complex_numIdEPKS1_PKS3_PKPS1_EviT_T9_T10_S9_lSB_S9_lSA_T11_S9_li, .Lfunc_end408-_ZL29rocblas_internal_gemmt_kernelIiLi16ELi32ELi8ELc84ELc78ELc76ELb0ELb0E19rocblas_complex_numIdEPKS1_PKS3_PKPS1_EviT_T9_T10_S9_lSB_S9_lSA_T11_S9_li
                                        ; -- End function
	.set _ZL29rocblas_internal_gemmt_kernelIiLi16ELi32ELi8ELc84ELc78ELc76ELb0ELb0E19rocblas_complex_numIdEPKS1_PKS3_PKPS1_EviT_T9_T10_S9_lSB_S9_lSA_T11_S9_li.num_vgpr, 128
	.set _ZL29rocblas_internal_gemmt_kernelIiLi16ELi32ELi8ELc84ELc78ELc76ELb0ELb0E19rocblas_complex_numIdEPKS1_PKS3_PKPS1_EviT_T9_T10_S9_lSB_S9_lSA_T11_S9_li.num_agpr, 0
	.set _ZL29rocblas_internal_gemmt_kernelIiLi16ELi32ELi8ELc84ELc78ELc76ELb0ELb0E19rocblas_complex_numIdEPKS1_PKS3_PKPS1_EviT_T9_T10_S9_lSB_S9_lSA_T11_S9_li.numbered_sgpr, 31
	.set _ZL29rocblas_internal_gemmt_kernelIiLi16ELi32ELi8ELc84ELc78ELc76ELb0ELb0E19rocblas_complex_numIdEPKS1_PKS3_PKPS1_EviT_T9_T10_S9_lSB_S9_lSA_T11_S9_li.num_named_barrier, 0
	.set _ZL29rocblas_internal_gemmt_kernelIiLi16ELi32ELi8ELc84ELc78ELc76ELb0ELb0E19rocblas_complex_numIdEPKS1_PKS3_PKPS1_EviT_T9_T10_S9_lSB_S9_lSA_T11_S9_li.private_seg_size, 0
	.set _ZL29rocblas_internal_gemmt_kernelIiLi16ELi32ELi8ELc84ELc78ELc76ELb0ELb0E19rocblas_complex_numIdEPKS1_PKS3_PKPS1_EviT_T9_T10_S9_lSB_S9_lSA_T11_S9_li.uses_vcc, 1
	.set _ZL29rocblas_internal_gemmt_kernelIiLi16ELi32ELi8ELc84ELc78ELc76ELb0ELb0E19rocblas_complex_numIdEPKS1_PKS3_PKPS1_EviT_T9_T10_S9_lSB_S9_lSA_T11_S9_li.uses_flat_scratch, 0
	.set _ZL29rocblas_internal_gemmt_kernelIiLi16ELi32ELi8ELc84ELc78ELc76ELb0ELb0E19rocblas_complex_numIdEPKS1_PKS3_PKPS1_EviT_T9_T10_S9_lSB_S9_lSA_T11_S9_li.has_dyn_sized_stack, 0
	.set _ZL29rocblas_internal_gemmt_kernelIiLi16ELi32ELi8ELc84ELc78ELc76ELb0ELb0E19rocblas_complex_numIdEPKS1_PKS3_PKPS1_EviT_T9_T10_S9_lSB_S9_lSA_T11_S9_li.has_recursion, 0
	.set _ZL29rocblas_internal_gemmt_kernelIiLi16ELi32ELi8ELc84ELc78ELc76ELb0ELb0E19rocblas_complex_numIdEPKS1_PKS3_PKPS1_EviT_T9_T10_S9_lSB_S9_lSA_T11_S9_li.has_indirect_call, 0
	.section	.AMDGPU.csdata,"",@progbits
; Kernel info:
; codeLenInByte = 3540
; TotalNumSgprs: 33
; NumVgprs: 128
; ScratchSize: 0
; MemoryBound: 0
; FloatMode: 240
; IeeeMode: 1
; LDSByteSize: 8192 bytes/workgroup (compile time only)
; SGPRBlocks: 0
; VGPRBlocks: 15
; NumSGPRsForWavesPerEU: 33
; NumVGPRsForWavesPerEU: 128
; Occupancy: 8
; WaveLimiterHint : 1
; COMPUTE_PGM_RSRC2:SCRATCH_EN: 0
; COMPUTE_PGM_RSRC2:USER_SGPR: 6
; COMPUTE_PGM_RSRC2:TRAP_HANDLER: 0
; COMPUTE_PGM_RSRC2:TGID_X_EN: 1
; COMPUTE_PGM_RSRC2:TGID_Y_EN: 1
; COMPUTE_PGM_RSRC2:TGID_Z_EN: 1
; COMPUTE_PGM_RSRC2:TIDIG_COMP_CNT: 1
	.section	.text._ZL29rocblas_internal_gemmt_kernelIiLi16ELi32ELi8ELc84ELc84ELc76ELb0ELb0E19rocblas_complex_numIdEPKS1_PKS3_PKPS1_EviT_T9_T10_S9_lSB_S9_lSA_T11_S9_li,"axG",@progbits,_ZL29rocblas_internal_gemmt_kernelIiLi16ELi32ELi8ELc84ELc84ELc76ELb0ELb0E19rocblas_complex_numIdEPKS1_PKS3_PKPS1_EviT_T9_T10_S9_lSB_S9_lSA_T11_S9_li,comdat
	.globl	_ZL29rocblas_internal_gemmt_kernelIiLi16ELi32ELi8ELc84ELc84ELc76ELb0ELb0E19rocblas_complex_numIdEPKS1_PKS3_PKPS1_EviT_T9_T10_S9_lSB_S9_lSA_T11_S9_li ; -- Begin function _ZL29rocblas_internal_gemmt_kernelIiLi16ELi32ELi8ELc84ELc84ELc76ELb0ELb0E19rocblas_complex_numIdEPKS1_PKS3_PKPS1_EviT_T9_T10_S9_lSB_S9_lSA_T11_S9_li
	.p2align	8
	.type	_ZL29rocblas_internal_gemmt_kernelIiLi16ELi32ELi8ELc84ELc84ELc76ELb0ELb0E19rocblas_complex_numIdEPKS1_PKS3_PKPS1_EviT_T9_T10_S9_lSB_S9_lSA_T11_S9_li,@function
_ZL29rocblas_internal_gemmt_kernelIiLi16ELi32ELi8ELc84ELc84ELc76ELb0ELb0E19rocblas_complex_numIdEPKS1_PKS3_PKPS1_EviT_T9_T10_S9_lSB_S9_lSA_T11_S9_li: ; @_ZL29rocblas_internal_gemmt_kernelIiLi16ELi32ELi8ELc84ELc84ELc76ELb0ELb0E19rocblas_complex_numIdEPKS1_PKS3_PKPS1_EviT_T9_T10_S9_lSB_S9_lSA_T11_S9_li
; %bb.0:
	s_load_dwordx4 s[20:23], s[4:5], 0x38
	s_waitcnt lgkmcnt(0)
	s_load_dwordx4 s[12:15], s[22:23], 0x0
	s_clause 0x1
	s_load_dwordx4 s[0:3], s[4:5], 0x8
	s_load_dwordx2 s[10:11], s[4:5], 0x0
	s_waitcnt lgkmcnt(0)
	s_load_dwordx4 s[16:19], s[0:1], 0x0
	v_cmp_eq_f64_e64 s9, s[12:13], 1.0
	v_cmp_eq_f64_e64 s28, s[14:15], 0
	s_and_b32 s0, s9, s28
	s_andn2_b32 vcc_lo, exec_lo, s0
	s_mov_b32 s0, -1
	s_cbranch_vccnz .LBB409_3
; %bb.1:
	s_cmp_lg_u32 s11, 0
	s_cbranch_scc0 .LBB409_31
; %bb.2:
	s_waitcnt lgkmcnt(0)
	v_cmp_neq_f64_e64 s0, s[16:17], 0
	v_cmp_neq_f64_e64 s1, s[18:19], 0
	s_or_b32 s0, s0, s1
.LBB409_3:
	s_and_b32 vcc_lo, exec_lo, s0
	s_cbranch_vccz .LBB409_32
; %bb.4:
	s_load_dwordx2 s[22:23], s[4:5], 0x48
	s_waitcnt lgkmcnt(0)
	v_cmp_eq_f64_e64 s24, s[16:17], 0
	v_cmp_eq_f64_e64 s25, s[18:19], 0
	s_mov_b32 s9, 0
	v_mov_b32_e32 v22, 0
	s_lshl_b64 s[0:1], s[8:9], 3
	v_mov_b32_e32 v24, 0
	v_mov_b32_e32 v18, 0
	;; [unrolled: 1-line block ×14, first 2 shown]
	s_add_u32 s22, s22, s0
	s_addc_u32 s23, s23, s1
	s_lshl_b32 s8, s6, 5
	s_load_dwordx2 s[22:23], s[22:23], 0x0
	s_lshl_b32 s29, s7, 5
	s_and_b32 s6, s24, s25
	s_cmp_lt_i32 s11, 1
	v_mov_b32_e32 v7, 0
	s_cselect_b32 s7, -1, 0
	s_or_b32 s6, s6, s7
	s_and_b32 vcc_lo, exec_lo, s6
	s_cbranch_vccnz .LBB409_15
; %bb.5:
	s_clause 0x2
	s_load_dword s6, s[4:5], 0x30
	s_load_dword s30, s[4:5], 0x18
	s_load_dwordx4 s[24:27], s[4:5], 0x20
	v_lshl_add_u32 v2, v1, 4, v0
	v_and_b32_e32 v26, 7, v0
	v_mov_b32_e32 v16, 0
	v_mov_b32_e32 v14, 0
	;; [unrolled: 1-line block ×3, first 2 shown]
	v_and_b32_e32 v3, 31, v2
	v_lshrrev_b32_e32 v4, 3, v2
	v_lshlrev_b32_e32 v5, 4, v26
	v_lshrrev_b32_e32 v27, 5, v2
	v_mov_b32_e32 v18, 0
	v_or_b32_e32 v6, s8, v3
	v_lshlrev_b32_e32 v7, 4, v3
	v_add_nc_u32_e32 v3, s8, v3
	v_add_nc_u32_e32 v2, s29, v4
	v_lshl_or_b32 v8, v4, 7, v5
	v_cmp_gt_i32_e32 vcc_lo, s10, v6
	v_lshl_or_b32 v28, v27, 9, v7
	s_waitcnt lgkmcnt(0)
	s_ashr_i32 s7, s6, 31
	v_mad_i64_i32 v[4:5], null, s30, v3, 0
	s_add_u32 s26, s26, s0
	s_addc_u32 s27, s27, s1
	v_mad_i64_i32 v[6:7], null, s6, v26, 0
	s_add_u32 s0, s2, s0
	s_addc_u32 s1, s3, s1
	s_load_dwordx2 s[2:3], s[26:27], 0x0
	s_load_dwordx2 s[26:27], s[0:1], 0x0
	v_lshlrev_b64 v[4:5], 4, v[4:5]
	v_ashrrev_i32_e32 v3, 31, v2
	s_lshl_b64 s[24:25], s[24:25], 4
	v_lshlrev_b64 v[6:7], 4, v[6:7]
	v_add_nc_u32_e32 v29, 0x1000, v8
	v_lshlrev_b32_e32 v8, 4, v27
	v_add_co_u32 v4, s1, v4, s24
	s_lshl_b64 s[20:21], s[20:21], 4
	v_cmp_gt_i32_e64 s0, s10, v2
	v_lshlrev_b64 v[2:3], 4, v[2:3]
	v_add_co_ci_u32_e64 v5, null, s25, v5, s1
	v_add_co_u32 v6, s1, v6, s20
	v_add_co_ci_u32_e64 v7, null, s21, v7, s1
	v_add_co_u32 v4, s1, v4, v8
	;; [unrolled: 2-line block ×3, first 2 shown]
	v_add_co_ci_u32_e64 v3, null, v7, v3, s1
	s_waitcnt lgkmcnt(0)
	v_add_co_u32 v10, s1, s26, v4
	v_add_co_ci_u32_e64 v11, null, s27, v5, s1
	v_add_co_u32 v12, s1, s2, v2
	v_mov_b32_e32 v6, 0
	v_mov_b32_e32 v8, 0
	v_mov_b32_e32 v24, 0
	v_mov_b32_e32 v22, 0
	v_lshlrev_b32_e32 v30, 4, v0
	v_lshl_add_u32 v31, v1, 7, 0x1000
	v_add_co_ci_u32_e64 v13, null, s3, v3, s1
	v_mov_b32_e32 v7, 0
	v_mov_b32_e32 v9, 0
	;; [unrolled: 1-line block ×9, first 2 shown]
	s_lshl_b64 s[2:3], s[6:7], 7
	s_xor_b32 s1, vcc_lo, -1
	s_xor_b32 s0, s0, -1
	s_branch .LBB409_7
.LBB409_6:                              ;   in Loop: Header=BB409_7 Depth=1
	s_or_b32 exec_lo, exec_lo, s6
	s_waitcnt lgkmcnt(0)
	s_barrier
	buffer_gl0_inv
	ds_read_b128 v[32:35], v31
	ds_read_b128 v[36:39], v30
	ds_read_b128 v[40:43], v30 offset:256
	ds_read_b128 v[44:47], v31 offset:2048
	;; [unrolled: 1-line block ×12, first 2 shown]
	v_add_co_u32 v10, vcc_lo, 0x80, v10
	v_add_co_ci_u32_e64 v11, null, 0, v11, vcc_lo
	v_add_co_u32 v12, vcc_lo, v12, s2
	v_add_co_ci_u32_e64 v13, null, s3, v13, vcc_lo
	s_waitcnt lgkmcnt(12)
	v_mul_f64 v[3:4], v[34:35], v[38:39]
	v_mul_f64 v[88:89], v[32:33], v[38:39]
	s_waitcnt lgkmcnt(11)
	v_mul_f64 v[90:91], v[34:35], v[42:43]
	v_mul_f64 v[92:93], v[32:33], v[42:43]
	;; [unrolled: 3-line block ×3, first 2 shown]
	v_mul_f64 v[96:97], v[46:47], v[42:43]
	v_mul_f64 v[42:43], v[44:45], v[42:43]
	s_waitcnt lgkmcnt(8)
	v_mul_f64 v[98:99], v[50:51], v[54:55]
	v_mul_f64 v[100:101], v[48:49], v[54:55]
	s_waitcnt lgkmcnt(7)
	v_mul_f64 v[102:103], v[50:51], v[58:59]
	v_mul_f64 v[104:105], v[48:49], v[58:59]
	s_waitcnt lgkmcnt(6)
	v_mul_f64 v[106:107], v[62:63], v[54:55]
	v_mul_f64 v[54:55], v[60:61], v[54:55]
	;; [unrolled: 1-line block ×4, first 2 shown]
	s_waitcnt lgkmcnt(4)
	v_mul_f64 v[110:111], v[66:67], v[70:71]
	v_mul_f64 v[112:113], v[64:65], v[70:71]
	s_waitcnt lgkmcnt(3)
	v_mul_f64 v[114:115], v[66:67], v[74:75]
	v_mul_f64 v[116:117], v[64:65], v[74:75]
	;; [unrolled: 3-line block ×3, first 2 shown]
	v_fma_f64 v[3:4], v[32:33], v[36:37], -v[3:4]
	v_fma_f64 v[88:89], v[34:35], v[36:37], v[88:89]
	v_fma_f64 v[90:91], v[32:33], v[40:41], -v[90:91]
	v_fma_f64 v[92:93], v[34:35], v[40:41], v[92:93]
	v_fma_f64 v[94:95], v[44:45], v[36:37], -v[94:95]
	v_fma_f64 v[120:121], v[46:47], v[36:37], v[38:39]
	v_fma_f64 v[96:97], v[44:45], v[40:41], -v[96:97]
	v_fma_f64 v[122:123], v[46:47], v[40:41], v[42:43]
	v_mul_f64 v[124:125], v[78:79], v[74:75]
	v_mul_f64 v[74:75], v[76:77], v[74:75]
	ds_read_b128 v[32:35], v30 offset:1536
	ds_read_b128 v[36:39], v30 offset:1792
	v_fma_f64 v[98:99], v[48:49], v[52:53], -v[98:99]
	v_fma_f64 v[100:101], v[50:51], v[52:53], v[100:101]
	v_fma_f64 v[102:103], v[48:49], v[56:57], -v[102:103]
	v_fma_f64 v[104:105], v[50:51], v[56:57], v[104:105]
	;; [unrolled: 2-line block ×7, first 2 shown]
	v_add_f64 v[22:23], v[22:23], v[3:4]
	v_add_f64 v[24:25], v[88:89], v[24:25]
	;; [unrolled: 1-line block ×4, first 2 shown]
	s_waitcnt lgkmcnt(1)
	v_mul_f64 v[110:111], v[82:83], v[34:35]
	v_mul_f64 v[112:113], v[80:81], v[34:35]
	s_waitcnt lgkmcnt(0)
	v_mul_f64 v[70:71], v[82:83], v[38:39]
	v_fma_f64 v[76:77], v[76:77], v[72:73], -v[124:125]
	v_fma_f64 v[72:73], v[78:79], v[72:73], v[74:75]
	v_add_f64 v[74:75], v[14:15], v[94:95]
	v_add_f64 v[78:79], v[120:121], v[16:17]
	;; [unrolled: 1-line block ×4, first 2 shown]
	ds_read_b128 v[40:43], v31 offset:64
	ds_read_b128 v[44:47], v30 offset:2048
	;; [unrolled: 1-line block ×3, first 2 shown]
	v_mul_f64 v[114:115], v[80:81], v[38:39]
	v_mul_f64 v[116:117], v[86:87], v[34:35]
	;; [unrolled: 1-line block ×5, first 2 shown]
	ds_read_b128 v[52:55], v31 offset:2112
	ds_read_b128 v[14:17], v31 offset:2128
	v_add_f64 v[98:99], v[22:23], v[98:99]
	v_add_f64 v[100:101], v[100:101], v[24:25]
	;; [unrolled: 1-line block ×4, first 2 shown]
	v_fma_f64 v[92:93], v[80:81], v[32:33], -v[110:111]
	v_fma_f64 v[94:95], v[82:83], v[32:33], v[112:113]
	v_fma_f64 v[70:71], v[80:81], v[36:37], -v[70:71]
	ds_read_b128 v[18:21], v30 offset:2560
	ds_read_b128 v[3:6], v31 offset:80
	;; [unrolled: 1-line block ×3, first 2 shown]
	v_add_f64 v[74:75], v[74:75], v[106:107]
	s_waitcnt lgkmcnt(6)
	v_mul_f64 v[80:81], v[42:43], v[46:47]
	v_mul_f64 v[96:97], v[40:41], v[46:47]
	s_waitcnt lgkmcnt(5)
	v_mul_f64 v[110:111], v[42:43], v[50:51]
	v_mul_f64 v[112:113], v[40:41], v[50:51]
	v_add_f64 v[78:79], v[126:127], v[78:79]
	v_add_f64 v[7:8], v[8:9], v[60:61]
	;; [unrolled: 1-line block ×3, first 2 shown]
	v_fma_f64 v[82:83], v[82:83], v[36:37], v[114:115]
	s_waitcnt lgkmcnt(4)
	v_mul_f64 v[114:115], v[54:55], v[46:47]
	v_mul_f64 v[46:47], v[52:53], v[46:47]
	v_fma_f64 v[60:61], v[84:85], v[32:33], -v[116:117]
	v_fma_f64 v[88:89], v[86:87], v[32:33], v[34:35]
	v_fma_f64 v[84:85], v[84:85], v[36:37], -v[90:91]
	v_fma_f64 v[86:87], v[86:87], v[36:37], v[38:39]
	v_add_f64 v[58:59], v[98:99], v[58:59]
	v_add_f64 v[62:63], v[62:63], v[100:101]
	v_add_f64 v[64:65], v[102:103], v[64:65]
	v_add_f64 v[66:67], v[66:67], v[104:105]
	s_waitcnt lgkmcnt(0)
	v_mul_f64 v[98:99], v[3:4], v[24:25]
	v_mul_f64 v[100:101], v[16:17], v[20:21]
	;; [unrolled: 1-line block ×3, first 2 shown]
	v_add_f64 v[74:75], v[74:75], v[108:109]
	v_fma_f64 v[80:81], v[40:41], v[44:45], -v[80:81]
	v_fma_f64 v[90:91], v[42:43], v[44:45], v[96:97]
	v_fma_f64 v[96:97], v[40:41], v[48:49], -v[110:111]
	v_fma_f64 v[106:107], v[42:43], v[48:49], v[112:113]
	v_mul_f64 v[40:41], v[54:55], v[50:51]
	v_mul_f64 v[42:43], v[52:53], v[50:51]
	v_add_f64 v[68:69], v[68:69], v[78:79]
	v_add_f64 v[7:8], v[7:8], v[76:77]
	;; [unrolled: 1-line block ×3, first 2 shown]
	v_fma_f64 v[50:51], v[52:53], v[44:45], -v[114:115]
	v_fma_f64 v[110:111], v[54:55], v[44:45], v[46:47]
	v_mul_f64 v[72:73], v[5:6], v[20:21]
	v_mul_f64 v[76:77], v[3:4], v[20:21]
	;; [unrolled: 1-line block ×5, first 2 shown]
	ds_read_b128 v[32:35], v31 offset:96
	ds_read_b128 v[36:39], v30 offset:3072
	s_add_i32 s9, s9, 8
	s_cmp_lt_i32 s9, s11
	v_add_f64 v[60:61], v[74:75], v[60:61]
	v_fma_f64 v[74:75], v[5:6], v[22:23], v[98:99]
	v_fma_f64 v[52:53], v[52:53], v[48:49], -v[40:41]
	v_fma_f64 v[48:49], v[54:55], v[48:49], v[42:43]
	v_add_f64 v[54:55], v[58:59], v[92:93]
	v_add_f64 v[58:59], v[94:95], v[62:63]
	;; [unrolled: 1-line block ×7, first 2 shown]
	ds_read_b128 v[40:43], v30 offset:3328
	ds_read_b128 v[44:47], v31 offset:2144
	v_fma_f64 v[68:69], v[3:4], v[18:19], -v[72:73]
	v_fma_f64 v[70:71], v[5:6], v[18:19], v[76:77]
	v_fma_f64 v[72:73], v[3:4], v[22:23], -v[78:79]
	v_fma_f64 v[76:77], v[14:15], v[18:19], -v[100:101]
	v_fma_f64 v[78:79], v[16:17], v[18:19], v[20:21]
	v_fma_f64 v[82:83], v[14:15], v[22:23], -v[102:103]
	s_waitcnt lgkmcnt(2)
	v_mul_f64 v[84:85], v[34:35], v[38:39]
	v_fma_f64 v[86:87], v[16:17], v[22:23], v[24:25]
	v_mul_f64 v[88:89], v[32:33], v[38:39]
	v_add_f64 v[50:51], v[60:61], v[50:51]
	ds_read_b128 v[3:6], v31 offset:112
	ds_read_b128 v[14:17], v31 offset:2160
	;; [unrolled: 1-line block ×4, first 2 shown]
	s_waitcnt lgkmcnt(0)
	v_add_f64 v[54:55], v[54:55], v[80:81]
	v_add_f64 v[58:59], v[90:91], v[58:59]
	;; [unrolled: 1-line block ×4, first 2 shown]
	v_mul_f64 v[92:93], v[34:35], v[42:43]
	v_mul_f64 v[94:95], v[32:33], v[42:43]
	;; [unrolled: 1-line block ×4, first 2 shown]
	v_add_f64 v[60:61], v[110:111], v[66:67]
	v_add_f64 v[7:8], v[7:8], v[52:53]
	;; [unrolled: 1-line block ×3, first 2 shown]
	v_mul_f64 v[52:53], v[46:47], v[42:43]
	v_mul_f64 v[42:43], v[44:45], v[42:43]
	s_barrier
	v_fma_f64 v[56:57], v[32:33], v[36:37], -v[84:85]
	buffer_gl0_inv
	v_fma_f64 v[66:67], v[34:35], v[36:37], v[88:89]
	v_add_f64 v[50:51], v[50:51], v[76:77]
	v_fma_f64 v[32:33], v[32:33], v[40:41], -v[92:93]
	v_fma_f64 v[34:35], v[34:35], v[40:41], v[94:95]
	v_fma_f64 v[80:81], v[44:45], v[36:37], -v[98:99]
	v_fma_f64 v[36:37], v[46:47], v[36:37], v[38:39]
	v_add_f64 v[38:39], v[54:55], v[68:69]
	v_add_f64 v[54:55], v[70:71], v[58:59]
	;; [unrolled: 1-line block ×7, first 2 shown]
	v_fma_f64 v[44:45], v[44:45], v[40:41], -v[52:53]
	v_fma_f64 v[40:41], v[46:47], v[40:41], v[42:43]
	v_mul_f64 v[42:43], v[5:6], v[20:21]
	v_mul_f64 v[46:47], v[3:4], v[20:21]
	;; [unrolled: 1-line block ×8, first 2 shown]
	v_add_f64 v[50:51], v[50:51], v[80:81]
	v_add_f64 v[38:39], v[38:39], v[56:57]
	;; [unrolled: 1-line block ×8, first 2 shown]
	v_fma_f64 v[42:43], v[3:4], v[18:19], -v[42:43]
	v_fma_f64 v[44:45], v[5:6], v[18:19], v[46:47]
	v_fma_f64 v[3:4], v[3:4], v[22:23], -v[52:53]
	v_fma_f64 v[5:6], v[5:6], v[22:23], v[64:65]
	;; [unrolled: 2-line block ×4, first 2 shown]
	v_add_f64 v[22:23], v[38:39], v[42:43]
	v_add_f64 v[24:25], v[44:45], v[54:55]
	;; [unrolled: 1-line block ×8, first 2 shown]
	s_cbranch_scc0 .LBB409_15
.LBB409_7:                              ; =>This Inner Loop Header: Depth=1
	v_add_nc_u32_e32 v3, s9, v27
	v_cmp_le_i32_e32 vcc_lo, s11, v3
	s_or_b32 s6, s1, vcc_lo
	s_and_saveexec_b32 s7, s6
	s_xor_b32 s6, exec_lo, s7
	s_cbranch_execz .LBB409_9
; %bb.8:                                ;   in Loop: Header=BB409_7 Depth=1
	v_mov_b32_e32 v3, v2
	v_mov_b32_e32 v4, v2
	;; [unrolled: 1-line block ×3, first 2 shown]
	ds_write_b128 v28, v[2:5]
.LBB409_9:                              ;   in Loop: Header=BB409_7 Depth=1
	s_andn2_saveexec_b32 s6, s6
	s_cbranch_execz .LBB409_11
; %bb.10:                               ;   in Loop: Header=BB409_7 Depth=1
	flat_load_dwordx4 v[32:35], v[10:11]
	s_waitcnt vmcnt(0) lgkmcnt(0)
	ds_write2_b64 v28, v[32:33], v[34:35] offset1:1
.LBB409_11:                             ;   in Loop: Header=BB409_7 Depth=1
	s_or_b32 exec_lo, exec_lo, s6
	v_add_nc_u32_e32 v3, s9, v26
	v_cmp_le_i32_e32 vcc_lo, s11, v3
	s_or_b32 s6, vcc_lo, s0
	s_and_saveexec_b32 s7, s6
	s_xor_b32 s6, exec_lo, s7
	s_cbranch_execz .LBB409_13
; %bb.12:                               ;   in Loop: Header=BB409_7 Depth=1
	v_mov_b32_e32 v3, v2
	v_mov_b32_e32 v4, v2
	;; [unrolled: 1-line block ×3, first 2 shown]
	ds_write_b128 v29, v[2:5]
.LBB409_13:                             ;   in Loop: Header=BB409_7 Depth=1
	s_andn2_saveexec_b32 s6, s6
	s_cbranch_execz .LBB409_6
; %bb.14:                               ;   in Loop: Header=BB409_7 Depth=1
	flat_load_dwordx4 v[32:35], v[12:13]
	s_waitcnt vmcnt(0) lgkmcnt(0)
	ds_write2_b64 v29, v[32:33], v[34:35] offset1:1
	s_branch .LBB409_6
.LBB409_15:
	s_clause 0x1
	s_load_dword s3, s[4:5], 0x50
	s_load_dwordx2 s[4:5], s[4:5], 0x58
	v_cmp_neq_f64_e64 s2, s[12:13], 0
	v_add_nc_u32_e32 v27, s29, v1
	v_add_nc_u32_e32 v4, s8, v0
	v_cmp_le_i32_e32 vcc_lo, v27, v4
	v_cmp_gt_i32_e64 s0, s10, v4
	v_ashrrev_i32_e32 v5, 31, v4
	s_waitcnt lgkmcnt(0)
	v_mad_i64_i32 v[0:1], null, v27, s3, 0
	s_lshl_b64 s[4:5], s[4:5], 4
	s_add_u32 s4, s22, s4
	s_addc_u32 s5, s23, s5
	s_xor_b32 s6, s28, -1
	s_or_b32 s2, s2, s6
	v_lshlrev_b64 v[0:1], 4, v[0:1]
	v_cndmask_b32_e64 v26, 0, 1, s2
	s_and_b32 s6, vcc_lo, s0
	v_add_co_u32 v12, s1, s4, v0
	v_add_co_ci_u32_e64 v13, null, s5, v1, s1
	s_and_saveexec_b32 s1, s6
	s_cbranch_execz .LBB409_19
; %bb.16:
	v_mul_f64 v[0:1], s[18:19], v[24:25]
	v_mul_f64 v[2:3], s[16:17], v[24:25]
	v_lshlrev_b64 v[10:11], 4, v[4:5]
	v_add_co_u32 v10, vcc_lo, v12, v10
	v_add_co_ci_u32_e64 v11, null, v13, v11, vcc_lo
	s_andn2_b32 vcc_lo, exec_lo, s2
	v_fma_f64 v[0:1], s[16:17], v[22:23], -v[0:1]
	v_fma_f64 v[2:3], s[18:19], v[22:23], v[2:3]
	s_cbranch_vccnz .LBB409_18
; %bb.17:
	flat_load_dwordx4 v[22:25], v[10:11]
	s_waitcnt vmcnt(0) lgkmcnt(0)
	v_mul_f64 v[28:29], s[14:15], v[24:25]
	v_mul_f64 v[24:25], s[12:13], v[24:25]
	v_fma_f64 v[28:29], s[12:13], v[22:23], -v[28:29]
	v_fma_f64 v[22:23], s[14:15], v[22:23], v[24:25]
	v_add_f64 v[0:1], v[0:1], v[28:29]
	v_add_f64 v[2:3], v[2:3], v[22:23]
.LBB409_18:
	flat_store_dwordx4 v[10:11], v[0:3]
.LBB409_19:
	s_or_b32 exec_lo, exec_lo, s1
	v_add_nc_u32_e32 v10, 16, v4
	v_cmp_le_i32_e32 vcc_lo, v27, v10
	v_cmp_gt_i32_e64 s1, s10, v10
	v_ashrrev_i32_e32 v11, 31, v10
	s_and_b32 s2, vcc_lo, s1
	s_and_saveexec_b32 s6, s2
	s_cbranch_execz .LBB409_23
; %bb.20:
	v_mul_f64 v[0:1], s[18:19], v[20:21]
	v_mul_f64 v[2:3], s[16:17], v[20:21]
	v_cmp_ne_u32_e32 vcc_lo, 1, v26
	s_and_b32 vcc_lo, exec_lo, vcc_lo
	v_fma_f64 v[0:1], s[16:17], v[18:19], -v[0:1]
	v_fma_f64 v[2:3], s[18:19], v[18:19], v[2:3]
	v_lshlrev_b64 v[18:19], 4, v[10:11]
	v_add_co_u32 v12, s2, v12, v18
	v_add_co_ci_u32_e64 v13, null, v13, v19, s2
	s_cbranch_vccnz .LBB409_22
; %bb.21:
	flat_load_dwordx4 v[18:21], v[12:13]
	s_waitcnt vmcnt(0) lgkmcnt(0)
	v_mul_f64 v[22:23], s[14:15], v[20:21]
	v_mul_f64 v[20:21], s[12:13], v[20:21]
	v_fma_f64 v[22:23], s[12:13], v[18:19], -v[22:23]
	v_fma_f64 v[18:19], s[14:15], v[18:19], v[20:21]
	v_add_f64 v[0:1], v[0:1], v[22:23]
	v_add_f64 v[2:3], v[2:3], v[18:19]
.LBB409_22:
	flat_store_dwordx4 v[12:13], v[0:3]
.LBB409_23:
	s_or_b32 exec_lo, exec_lo, s6
	v_add_nc_u32_e32 v18, 16, v27
	v_mad_i64_i32 v[0:1], null, v18, s3, 0
	v_cmp_le_i32_e32 vcc_lo, v18, v4
	s_and_b32 s0, vcc_lo, s0
	v_lshlrev_b64 v[0:1], 4, v[0:1]
	v_add_co_u32 v12, s2, s4, v0
	v_add_co_ci_u32_e64 v13, null, s5, v1, s2
	s_and_saveexec_b32 s2, s0
	s_cbranch_execz .LBB409_27
; %bb.24:
	v_mul_f64 v[0:1], s[18:19], v[16:17]
	v_mul_f64 v[2:3], s[16:17], v[16:17]
	v_lshlrev_b64 v[4:5], 4, v[4:5]
	v_cmp_ne_u32_e32 vcc_lo, 1, v26
	s_and_b32 vcc_lo, exec_lo, vcc_lo
	v_add_co_u32 v4, s0, v12, v4
	v_add_co_ci_u32_e64 v5, null, v13, v5, s0
	v_fma_f64 v[0:1], s[16:17], v[14:15], -v[0:1]
	v_fma_f64 v[2:3], s[18:19], v[14:15], v[2:3]
	s_cbranch_vccnz .LBB409_26
; %bb.25:
	flat_load_dwordx4 v[14:17], v[4:5]
	s_waitcnt vmcnt(0) lgkmcnt(0)
	v_mul_f64 v[19:20], s[14:15], v[16:17]
	v_mul_f64 v[16:17], s[12:13], v[16:17]
	v_fma_f64 v[19:20], s[12:13], v[14:15], -v[19:20]
	v_fma_f64 v[14:15], s[14:15], v[14:15], v[16:17]
	v_add_f64 v[0:1], v[0:1], v[19:20]
	v_add_f64 v[2:3], v[2:3], v[14:15]
.LBB409_26:
	flat_store_dwordx4 v[4:5], v[0:3]
.LBB409_27:
	s_or_b32 exec_lo, exec_lo, s2
	v_cmp_le_i32_e32 vcc_lo, v18, v10
	s_and_b32 s0, vcc_lo, s1
	s_and_saveexec_b32 s1, s0
	s_cbranch_execz .LBB409_32
; %bb.28:
	v_mul_f64 v[0:1], s[18:19], v[6:7]
	v_mul_f64 v[2:3], s[16:17], v[6:7]
	v_lshlrev_b64 v[4:5], 4, v[10:11]
	v_cmp_ne_u32_e32 vcc_lo, 1, v26
	s_and_b32 vcc_lo, exec_lo, vcc_lo
	v_add_co_u32 v4, s0, v12, v4
	v_add_co_ci_u32_e64 v5, null, v13, v5, s0
	v_fma_f64 v[0:1], s[16:17], v[8:9], -v[0:1]
	v_fma_f64 v[2:3], s[18:19], v[8:9], v[2:3]
	s_cbranch_vccnz .LBB409_30
; %bb.29:
	flat_load_dwordx4 v[6:9], v[4:5]
	s_waitcnt vmcnt(0) lgkmcnt(0)
	v_mul_f64 v[10:11], s[14:15], v[8:9]
	v_mul_f64 v[8:9], s[12:13], v[8:9]
	v_fma_f64 v[10:11], s[12:13], v[6:7], -v[10:11]
	v_fma_f64 v[6:7], s[14:15], v[6:7], v[8:9]
	v_add_f64 v[0:1], v[0:1], v[10:11]
	v_add_f64 v[2:3], v[2:3], v[6:7]
.LBB409_30:
	flat_store_dwordx4 v[4:5], v[0:3]
	s_endpgm
.LBB409_31:
.LBB409_32:
	s_endpgm
	.section	.rodata,"a",@progbits
	.p2align	6, 0x0
	.amdhsa_kernel _ZL29rocblas_internal_gemmt_kernelIiLi16ELi32ELi8ELc84ELc84ELc76ELb0ELb0E19rocblas_complex_numIdEPKS1_PKS3_PKPS1_EviT_T9_T10_S9_lSB_S9_lSA_T11_S9_li
		.amdhsa_group_segment_fixed_size 8192
		.amdhsa_private_segment_fixed_size 0
		.amdhsa_kernarg_size 100
		.amdhsa_user_sgpr_count 6
		.amdhsa_user_sgpr_private_segment_buffer 1
		.amdhsa_user_sgpr_dispatch_ptr 0
		.amdhsa_user_sgpr_queue_ptr 0
		.amdhsa_user_sgpr_kernarg_segment_ptr 1
		.amdhsa_user_sgpr_dispatch_id 0
		.amdhsa_user_sgpr_flat_scratch_init 0
		.amdhsa_user_sgpr_private_segment_size 0
		.amdhsa_wavefront_size32 1
		.amdhsa_uses_dynamic_stack 0
		.amdhsa_system_sgpr_private_segment_wavefront_offset 0
		.amdhsa_system_sgpr_workgroup_id_x 1
		.amdhsa_system_sgpr_workgroup_id_y 1
		.amdhsa_system_sgpr_workgroup_id_z 1
		.amdhsa_system_sgpr_workgroup_info 0
		.amdhsa_system_vgpr_workitem_id 1
		.amdhsa_next_free_vgpr 128
		.amdhsa_next_free_sgpr 31
		.amdhsa_reserve_vcc 1
		.amdhsa_reserve_flat_scratch 0
		.amdhsa_float_round_mode_32 0
		.amdhsa_float_round_mode_16_64 0
		.amdhsa_float_denorm_mode_32 3
		.amdhsa_float_denorm_mode_16_64 3
		.amdhsa_dx10_clamp 1
		.amdhsa_ieee_mode 1
		.amdhsa_fp16_overflow 0
		.amdhsa_workgroup_processor_mode 1
		.amdhsa_memory_ordered 1
		.amdhsa_forward_progress 1
		.amdhsa_shared_vgpr_count 0
		.amdhsa_exception_fp_ieee_invalid_op 0
		.amdhsa_exception_fp_denorm_src 0
		.amdhsa_exception_fp_ieee_div_zero 0
		.amdhsa_exception_fp_ieee_overflow 0
		.amdhsa_exception_fp_ieee_underflow 0
		.amdhsa_exception_fp_ieee_inexact 0
		.amdhsa_exception_int_div_zero 0
	.end_amdhsa_kernel
	.section	.text._ZL29rocblas_internal_gemmt_kernelIiLi16ELi32ELi8ELc84ELc84ELc76ELb0ELb0E19rocblas_complex_numIdEPKS1_PKS3_PKPS1_EviT_T9_T10_S9_lSB_S9_lSA_T11_S9_li,"axG",@progbits,_ZL29rocblas_internal_gemmt_kernelIiLi16ELi32ELi8ELc84ELc84ELc76ELb0ELb0E19rocblas_complex_numIdEPKS1_PKS3_PKPS1_EviT_T9_T10_S9_lSB_S9_lSA_T11_S9_li,comdat
.Lfunc_end409:
	.size	_ZL29rocblas_internal_gemmt_kernelIiLi16ELi32ELi8ELc84ELc84ELc76ELb0ELb0E19rocblas_complex_numIdEPKS1_PKS3_PKPS1_EviT_T9_T10_S9_lSB_S9_lSA_T11_S9_li, .Lfunc_end409-_ZL29rocblas_internal_gemmt_kernelIiLi16ELi32ELi8ELc84ELc84ELc76ELb0ELb0E19rocblas_complex_numIdEPKS1_PKS3_PKPS1_EviT_T9_T10_S9_lSB_S9_lSA_T11_S9_li
                                        ; -- End function
	.set _ZL29rocblas_internal_gemmt_kernelIiLi16ELi32ELi8ELc84ELc84ELc76ELb0ELb0E19rocblas_complex_numIdEPKS1_PKS3_PKPS1_EviT_T9_T10_S9_lSB_S9_lSA_T11_S9_li.num_vgpr, 128
	.set _ZL29rocblas_internal_gemmt_kernelIiLi16ELi32ELi8ELc84ELc84ELc76ELb0ELb0E19rocblas_complex_numIdEPKS1_PKS3_PKPS1_EviT_T9_T10_S9_lSB_S9_lSA_T11_S9_li.num_agpr, 0
	.set _ZL29rocblas_internal_gemmt_kernelIiLi16ELi32ELi8ELc84ELc84ELc76ELb0ELb0E19rocblas_complex_numIdEPKS1_PKS3_PKPS1_EviT_T9_T10_S9_lSB_S9_lSA_T11_S9_li.numbered_sgpr, 31
	.set _ZL29rocblas_internal_gemmt_kernelIiLi16ELi32ELi8ELc84ELc84ELc76ELb0ELb0E19rocblas_complex_numIdEPKS1_PKS3_PKPS1_EviT_T9_T10_S9_lSB_S9_lSA_T11_S9_li.num_named_barrier, 0
	.set _ZL29rocblas_internal_gemmt_kernelIiLi16ELi32ELi8ELc84ELc84ELc76ELb0ELb0E19rocblas_complex_numIdEPKS1_PKS3_PKPS1_EviT_T9_T10_S9_lSB_S9_lSA_T11_S9_li.private_seg_size, 0
	.set _ZL29rocblas_internal_gemmt_kernelIiLi16ELi32ELi8ELc84ELc84ELc76ELb0ELb0E19rocblas_complex_numIdEPKS1_PKS3_PKPS1_EviT_T9_T10_S9_lSB_S9_lSA_T11_S9_li.uses_vcc, 1
	.set _ZL29rocblas_internal_gemmt_kernelIiLi16ELi32ELi8ELc84ELc84ELc76ELb0ELb0E19rocblas_complex_numIdEPKS1_PKS3_PKPS1_EviT_T9_T10_S9_lSB_S9_lSA_T11_S9_li.uses_flat_scratch, 0
	.set _ZL29rocblas_internal_gemmt_kernelIiLi16ELi32ELi8ELc84ELc84ELc76ELb0ELb0E19rocblas_complex_numIdEPKS1_PKS3_PKPS1_EviT_T9_T10_S9_lSB_S9_lSA_T11_S9_li.has_dyn_sized_stack, 0
	.set _ZL29rocblas_internal_gemmt_kernelIiLi16ELi32ELi8ELc84ELc84ELc76ELb0ELb0E19rocblas_complex_numIdEPKS1_PKS3_PKPS1_EviT_T9_T10_S9_lSB_S9_lSA_T11_S9_li.has_recursion, 0
	.set _ZL29rocblas_internal_gemmt_kernelIiLi16ELi32ELi8ELc84ELc84ELc76ELb0ELb0E19rocblas_complex_numIdEPKS1_PKS3_PKPS1_EviT_T9_T10_S9_lSB_S9_lSA_T11_S9_li.has_indirect_call, 0
	.section	.AMDGPU.csdata,"",@progbits
; Kernel info:
; codeLenInByte = 3556
; TotalNumSgprs: 33
; NumVgprs: 128
; ScratchSize: 0
; MemoryBound: 0
; FloatMode: 240
; IeeeMode: 1
; LDSByteSize: 8192 bytes/workgroup (compile time only)
; SGPRBlocks: 0
; VGPRBlocks: 15
; NumSGPRsForWavesPerEU: 33
; NumVGPRsForWavesPerEU: 128
; Occupancy: 8
; WaveLimiterHint : 1
; COMPUTE_PGM_RSRC2:SCRATCH_EN: 0
; COMPUTE_PGM_RSRC2:USER_SGPR: 6
; COMPUTE_PGM_RSRC2:TRAP_HANDLER: 0
; COMPUTE_PGM_RSRC2:TGID_X_EN: 1
; COMPUTE_PGM_RSRC2:TGID_Y_EN: 1
; COMPUTE_PGM_RSRC2:TGID_Z_EN: 1
; COMPUTE_PGM_RSRC2:TIDIG_COMP_CNT: 1
	.section	.text._ZL29rocblas_internal_gemmt_kernelIiLi16ELi32ELi8ELc84ELc67ELc76ELb0ELb1E19rocblas_complex_numIdEPKS1_PKS3_PKPS1_EviT_T9_T10_S9_lSB_S9_lSA_T11_S9_li,"axG",@progbits,_ZL29rocblas_internal_gemmt_kernelIiLi16ELi32ELi8ELc84ELc67ELc76ELb0ELb1E19rocblas_complex_numIdEPKS1_PKS3_PKPS1_EviT_T9_T10_S9_lSB_S9_lSA_T11_S9_li,comdat
	.globl	_ZL29rocblas_internal_gemmt_kernelIiLi16ELi32ELi8ELc84ELc67ELc76ELb0ELb1E19rocblas_complex_numIdEPKS1_PKS3_PKPS1_EviT_T9_T10_S9_lSB_S9_lSA_T11_S9_li ; -- Begin function _ZL29rocblas_internal_gemmt_kernelIiLi16ELi32ELi8ELc84ELc67ELc76ELb0ELb1E19rocblas_complex_numIdEPKS1_PKS3_PKPS1_EviT_T9_T10_S9_lSB_S9_lSA_T11_S9_li
	.p2align	8
	.type	_ZL29rocblas_internal_gemmt_kernelIiLi16ELi32ELi8ELc84ELc67ELc76ELb0ELb1E19rocblas_complex_numIdEPKS1_PKS3_PKPS1_EviT_T9_T10_S9_lSB_S9_lSA_T11_S9_li,@function
_ZL29rocblas_internal_gemmt_kernelIiLi16ELi32ELi8ELc84ELc67ELc76ELb0ELb1E19rocblas_complex_numIdEPKS1_PKS3_PKPS1_EviT_T9_T10_S9_lSB_S9_lSA_T11_S9_li: ; @_ZL29rocblas_internal_gemmt_kernelIiLi16ELi32ELi8ELc84ELc67ELc76ELb0ELb1E19rocblas_complex_numIdEPKS1_PKS3_PKPS1_EviT_T9_T10_S9_lSB_S9_lSA_T11_S9_li
; %bb.0:
	s_load_dwordx4 s[20:23], s[4:5], 0x38
	s_waitcnt lgkmcnt(0)
	s_load_dwordx4 s[12:15], s[22:23], 0x0
	s_clause 0x1
	s_load_dwordx4 s[0:3], s[4:5], 0x8
	s_load_dwordx2 s[10:11], s[4:5], 0x0
	s_waitcnt lgkmcnt(0)
	s_load_dwordx4 s[16:19], s[0:1], 0x0
	v_cmp_eq_f64_e64 s9, s[12:13], 1.0
	v_cmp_eq_f64_e64 s30, s[14:15], 0
	s_and_b32 s0, s9, s30
	s_andn2_b32 vcc_lo, exec_lo, s0
	s_mov_b32 s0, -1
	s_cbranch_vccnz .LBB410_3
; %bb.1:
	s_cmp_lg_u32 s11, 0
	s_cbranch_scc0 .LBB410_29
; %bb.2:
	s_waitcnt lgkmcnt(0)
	v_cmp_neq_f64_e64 s0, s[16:17], 0
	v_cmp_neq_f64_e64 s1, s[18:19], 0
	s_or_b32 s0, s0, s1
.LBB410_3:
	s_and_b32 vcc_lo, exec_lo, s0
	s_cbranch_vccz .LBB410_30
; %bb.4:
	s_load_dwordx2 s[0:1], s[4:5], 0x48
	s_waitcnt lgkmcnt(0)
	v_cmp_eq_f64_e64 s24, s[16:17], 0
	v_cmp_eq_f64_e64 s25, s[18:19], 0
	s_mov_b32 s9, 0
	v_mov_b32_e32 v23, 0
	s_lshl_b64 s[28:29], s[8:9], 3
	v_mov_b32_e32 v25, 0
	v_mov_b32_e32 v19, 0
	;; [unrolled: 1-line block ×14, first 2 shown]
	s_add_u32 s0, s0, s28
	s_addc_u32 s1, s1, s29
	s_lshl_b32 s8, s6, 5
	s_load_dwordx2 s[22:23], s[0:1], 0x0
	s_lshl_b32 s31, s7, 5
	s_and_b32 s0, s24, s25
	s_cmp_lt_i32 s11, 1
	v_mov_b32_e32 v8, 0
	s_cselect_b32 s1, -1, 0
	s_or_b32 s0, s0, s1
	s_and_b32 vcc_lo, exec_lo, s0
	s_cbranch_vccnz .LBB410_13
; %bb.5:
	s_clause 0x2
	s_load_dword s6, s[4:5], 0x30
	s_load_dword s1, s[4:5], 0x18
	s_load_dwordx4 s[24:27], s[4:5], 0x20
	v_lshl_add_u32 v2, v1, 4, v0
	v_and_b32_e32 v27, 7, v0
	v_mov_b32_e32 v9, 0
	v_mov_b32_e32 v17, 0
	v_mov_b32_e32 v15, 0
	v_and_b32_e32 v3, 31, v2
	v_lshrrev_b32_e32 v4, 3, v2
	v_lshlrev_b32_e32 v5, 4, v27
	v_lshrrev_b32_e32 v28, 5, v2
	v_mov_b32_e32 v21, 0
	v_or_b32_e32 v6, s8, v3
	v_lshlrev_b32_e32 v7, 4, v3
	v_add_nc_u32_e32 v3, s8, v3
	v_add_nc_u32_e32 v2, s31, v4
	v_lshl_or_b32 v8, v4, 7, v5
	v_cmp_gt_i32_e64 s0, s10, v6
	v_lshl_or_b32 v29, v28, 9, v7
	s_waitcnt lgkmcnt(0)
	s_ashr_i32 s7, s6, 31
	v_mad_i64_i32 v[4:5], null, s1, v3, 0
	s_add_u32 s26, s26, s28
	s_addc_u32 s27, s27, s29
	v_mad_i64_i32 v[6:7], null, s6, v27, 0
	s_add_u32 s2, s2, s28
	s_addc_u32 s3, s3, s29
	s_load_dwordx2 s[26:27], s[26:27], 0x0
	s_load_dwordx2 s[2:3], s[2:3], 0x0
	v_lshlrev_b64 v[4:5], 4, v[4:5]
	v_ashrrev_i32_e32 v3, 31, v2
	s_lshl_b64 s[24:25], s[24:25], 4
	v_lshlrev_b64 v[6:7], 4, v[6:7]
	v_add_nc_u32_e32 v30, 0x1000, v8
	v_lshlrev_b32_e32 v8, 4, v28
	v_add_co_u32 v4, s1, v4, s24
	s_lshl_b64 s[20:21], s[20:21], 4
	v_cmp_gt_i32_e32 vcc_lo, s10, v2
	v_lshlrev_b64 v[2:3], 4, v[2:3]
	v_add_co_ci_u32_e64 v5, null, s25, v5, s1
	v_add_co_u32 v6, s1, v6, s20
	v_add_co_ci_u32_e64 v7, null, s21, v7, s1
	v_add_co_u32 v4, s1, v4, v8
	;; [unrolled: 2-line block ×3, first 2 shown]
	v_add_co_ci_u32_e64 v3, null, v7, v3, s1
	s_waitcnt lgkmcnt(0)
	v_add_co_u32 v11, s1, s2, v4
	v_add_co_ci_u32_e64 v12, null, s3, v5, s1
	v_add_co_u32 v13, s1, s26, v2
	v_mov_b32_e32 v7, 0
	v_mov_b32_e32 v19, 0
	v_mov_b32_e32 v25, 0
	v_mov_b32_e32 v23, 0
	v_lshlrev_b32_e32 v31, 4, v0
	v_lshl_add_u32 v32, v1, 7, 0x1000
	v_add_co_ci_u32_e64 v14, null, s27, v3, s1
	v_mov_b32_e32 v8, 0
	v_mov_b32_e32 v10, 0
	;; [unrolled: 1-line block ×9, first 2 shown]
	s_lshl_b64 s[2:3], s[6:7], 7
	s_xor_b32 s1, s0, -1
	s_branch .LBB410_7
.LBB410_6:                              ;   in Loop: Header=BB410_7 Depth=1
	s_or_b32 exec_lo, exec_lo, s0
	ds_write_b128 v30, v[3:6]
	s_waitcnt lgkmcnt(0)
	s_barrier
	buffer_gl0_inv
	ds_read_b128 v[3:6], v32
	ds_read_b128 v[33:36], v31
	ds_read_b128 v[37:40], v31 offset:256
	ds_read_b128 v[41:44], v32 offset:2048
	;; [unrolled: 1-line block ×12, first 2 shown]
	v_add_co_u32 v11, s0, 0x80, v11
	v_add_co_ci_u32_e64 v12, null, 0, v12, s0
	v_add_co_u32 v13, s0, v13, s2
	v_add_co_ci_u32_e64 v14, null, s3, v14, s0
	s_waitcnt lgkmcnt(12)
	v_mul_f64 v[85:86], v[5:6], v[35:36]
	v_mul_f64 v[87:88], v[3:4], v[35:36]
	s_waitcnt lgkmcnt(11)
	v_mul_f64 v[89:90], v[5:6], v[39:40]
	v_mul_f64 v[91:92], v[3:4], v[39:40]
	;; [unrolled: 3-line block ×3, first 2 shown]
	v_mul_f64 v[95:96], v[43:44], v[39:40]
	v_mul_f64 v[39:40], v[41:42], v[39:40]
	s_waitcnt lgkmcnt(8)
	v_mul_f64 v[97:98], v[47:48], v[51:52]
	v_mul_f64 v[99:100], v[45:46], v[51:52]
	s_waitcnt lgkmcnt(7)
	v_mul_f64 v[101:102], v[47:48], v[55:56]
	v_mul_f64 v[103:104], v[45:46], v[55:56]
	s_waitcnt lgkmcnt(6)
	v_mul_f64 v[105:106], v[59:60], v[51:52]
	v_mul_f64 v[51:52], v[57:58], v[51:52]
	;; [unrolled: 1-line block ×4, first 2 shown]
	s_waitcnt lgkmcnt(4)
	v_mul_f64 v[109:110], v[63:64], v[67:68]
	v_mul_f64 v[111:112], v[61:62], v[67:68]
	s_waitcnt lgkmcnt(3)
	v_mul_f64 v[113:114], v[63:64], v[71:72]
	v_mul_f64 v[115:116], v[61:62], v[71:72]
	;; [unrolled: 3-line block ×3, first 2 shown]
	v_fma_f64 v[85:86], v[3:4], v[33:34], -v[85:86]
	v_fma_f64 v[87:88], v[5:6], v[33:34], v[87:88]
	v_fma_f64 v[89:90], v[3:4], v[37:38], -v[89:90]
	v_fma_f64 v[91:92], v[5:6], v[37:38], v[91:92]
	;; [unrolled: 2-line block ×4, first 2 shown]
	v_mul_f64 v[123:124], v[75:76], v[71:72]
	v_mul_f64 v[71:72], v[73:74], v[71:72]
	v_fma_f64 v[97:98], v[45:46], v[49:50], -v[97:98]
	v_fma_f64 v[99:100], v[47:48], v[49:50], v[99:100]
	v_fma_f64 v[101:102], v[45:46], v[53:54], -v[101:102]
	v_fma_f64 v[103:104], v[47:48], v[53:54], v[103:104]
	;; [unrolled: 2-line block ×7, first 2 shown]
	v_add_f64 v[23:24], v[23:24], v[85:86]
	v_add_f64 v[25:26], v[87:88], v[25:26]
	v_add_f64 v[19:20], v[19:20], v[89:90]
	v_add_f64 v[21:22], v[91:92], v[21:22]
	v_add_f64 v[9:10], v[9:10], v[95:96]
	v_add_f64 v[85:86], v[121:122], v[7:8]
	v_fma_f64 v[73:74], v[73:74], v[69:70], -v[123:124]
	v_fma_f64 v[69:70], v[75:76], v[69:70], v[71:72]
	v_add_f64 v[71:72], v[15:16], v[93:94]
	v_add_f64 v[75:76], v[119:120], v[17:18]
	ds_read_b128 v[3:6], v31 offset:1536
	ds_read_b128 v[33:36], v31 offset:1792
	;; [unrolled: 1-line block ×7, first 2 shown]
	s_add_i32 s9, s9, 8
	s_cmp_lt_i32 s9, s11
	v_add_f64 v[97:98], v[23:24], v[97:98]
	v_add_f64 v[99:100], v[99:100], v[25:26]
	;; [unrolled: 1-line block ×6, first 2 shown]
	ds_read_b128 v[19:22], v31 offset:2560
	ds_read_b128 v[23:26], v31 offset:2816
	s_waitcnt lgkmcnt(8)
	v_mul_f64 v[109:110], v[79:80], v[5:6]
	v_mul_f64 v[111:112], v[77:78], v[5:6]
	s_waitcnt lgkmcnt(7)
	v_mul_f64 v[67:68], v[79:80], v[35:36]
	v_mul_f64 v[113:114], v[77:78], v[35:36]
	;; [unrolled: 1-line block ×6, first 2 shown]
	s_waitcnt lgkmcnt(4)
	v_mul_f64 v[95:96], v[39:40], v[47:48]
	v_add_f64 v[71:72], v[71:72], v[105:106]
	v_add_f64 v[75:76], v[125:126], v[75:76]
	v_mul_f64 v[93:94], v[37:38], v[43:44]
	ds_read_b128 v[5:8], v32 offset:80
	v_add_f64 v[55:56], v[97:98], v[55:56]
	v_add_f64 v[59:60], v[59:60], v[99:100]
	;; [unrolled: 1-line block ×6, first 2 shown]
	s_waitcnt lgkmcnt(2)
	v_mul_f64 v[99:100], v[17:18], v[21:22]
	s_waitcnt lgkmcnt(1)
	v_mul_f64 v[101:102], v[17:18], v[25:26]
	v_fma_f64 v[89:90], v[77:78], v[3:4], -v[109:110]
	v_fma_f64 v[91:92], v[79:80], v[3:4], v[111:112]
	v_fma_f64 v[67:68], v[77:78], v[33:34], -v[67:68]
	v_mul_f64 v[77:78], v[39:40], v[43:44]
	v_mul_f64 v[109:110], v[37:38], v[47:48]
	v_fma_f64 v[79:80], v[79:80], v[33:34], v[113:114]
	v_mul_f64 v[111:112], v[51:52], v[43:44]
	v_mul_f64 v[43:44], v[49:50], v[43:44]
	v_fma_f64 v[57:58], v[81:82], v[3:4], -v[115:116]
	v_fma_f64 v[3:4], v[83:84], v[3:4], v[117:118]
	v_fma_f64 v[81:82], v[81:82], v[33:34], -v[87:88]
	v_fma_f64 v[83:84], v[83:84], v[33:34], v[35:36]
	v_fma_f64 v[87:88], v[37:38], v[45:46], -v[95:96]
	v_mul_f64 v[95:96], v[51:52], v[47:48]
	v_mul_f64 v[47:48], v[49:50], v[47:48]
	v_add_f64 v[71:72], v[71:72], v[107:108]
	v_add_f64 v[65:66], v[65:66], v[75:76]
	v_fma_f64 v[85:86], v[39:40], v[41:42], v[93:94]
	s_waitcnt lgkmcnt(0)
	v_mul_f64 v[69:70], v[7:8], v[21:22]
	v_mul_f64 v[73:74], v[5:6], v[21:22]
	v_mul_f64 v[75:76], v[7:8], v[25:26]
	v_mul_f64 v[97:98], v[5:6], v[25:26]
	v_mul_f64 v[21:22], v[15:16], v[21:22]
	v_mul_f64 v[25:26], v[15:16], v[25:26]
	v_add_f64 v[55:56], v[55:56], v[89:90]
	v_fma_f64 v[77:78], v[37:38], v[41:42], -v[77:78]
	v_fma_f64 v[93:94], v[39:40], v[45:46], v[109:110]
	v_add_f64 v[59:60], v[91:92], v[59:60]
	v_fma_f64 v[105:106], v[49:50], v[41:42], -v[111:112]
	v_fma_f64 v[109:110], v[51:52], v[41:42], v[43:44]
	v_add_f64 v[61:62], v[61:62], v[67:68]
	v_add_f64 v[63:64], v[79:80], v[63:64]
	;; [unrolled: 1-line block ×4, first 2 shown]
	ds_read_b128 v[33:36], v32 offset:96
	ds_read_b128 v[37:40], v31 offset:3072
	v_fma_f64 v[49:50], v[49:50], v[45:46], -v[95:96]
	v_fma_f64 v[51:52], v[51:52], v[45:46], v[47:48]
	v_add_f64 v[57:58], v[71:72], v[57:58]
	v_add_f64 v[65:66], v[3:4], v[65:66]
	ds_read_b128 v[41:44], v31 offset:3328
	ds_read_b128 v[45:48], v32 offset:2144
	v_fma_f64 v[69:70], v[5:6], v[19:20], -v[69:70]
	v_fma_f64 v[71:72], v[7:8], v[19:20], v[73:74]
	v_fma_f64 v[73:74], v[5:6], v[23:24], -v[75:76]
	v_fma_f64 v[75:76], v[7:8], v[23:24], v[97:98]
	;; [unrolled: 2-line block ×4, first 2 shown]
	v_add_f64 v[55:56], v[55:56], v[77:78]
	v_add_f64 v[59:60], v[85:86], v[59:60]
	ds_read_b128 v[3:6], v32 offset:112
	ds_read_b128 v[7:10], v32 offset:2160
	v_add_f64 v[61:62], v[61:62], v[87:88]
	v_add_f64 v[63:64], v[93:94], v[63:64]
	s_waitcnt lgkmcnt(4)
	v_mul_f64 v[89:90], v[35:36], v[39:40]
	v_mul_f64 v[25:26], v[33:34], v[39:40]
	ds_read_b128 v[15:18], v31 offset:3584
	ds_read_b128 v[19:22], v31 offset:3840
	v_add_f64 v[49:50], v[67:68], v[49:50]
	s_waitcnt lgkmcnt(5)
	v_mul_f64 v[91:92], v[35:36], v[43:44]
	v_mul_f64 v[95:96], v[33:34], v[43:44]
	s_waitcnt lgkmcnt(4)
	v_mul_f64 v[97:98], v[47:48], v[39:40]
	v_mul_f64 v[39:40], v[45:46], v[39:40]
	v_add_f64 v[57:58], v[57:58], v[105:106]
	v_add_f64 v[65:66], v[109:110], v[65:66]
	;; [unrolled: 1-line block ×3, first 2 shown]
	v_mul_f64 v[53:54], v[47:48], v[43:44]
	v_mul_f64 v[43:44], v[45:46], v[43:44]
	s_waitcnt lgkmcnt(0)
	s_barrier
	buffer_gl0_inv
	v_fma_f64 v[67:68], v[33:34], v[37:38], -v[89:90]
	v_fma_f64 v[25:26], v[35:36], v[37:38], v[25:26]
	v_add_f64 v[49:50], v[49:50], v[83:84]
	v_fma_f64 v[33:34], v[33:34], v[41:42], -v[91:92]
	v_fma_f64 v[35:36], v[35:36], v[41:42], v[95:96]
	v_fma_f64 v[77:78], v[45:46], v[37:38], -v[97:98]
	v_fma_f64 v[37:38], v[47:48], v[37:38], v[39:40]
	v_add_f64 v[39:40], v[55:56], v[69:70]
	v_add_f64 v[55:56], v[71:72], v[59:60]
	;; [unrolled: 1-line block ×7, first 2 shown]
	v_fma_f64 v[45:46], v[45:46], v[41:42], -v[53:54]
	v_fma_f64 v[41:42], v[47:48], v[41:42], v[43:44]
	v_mul_f64 v[43:44], v[5:6], v[17:18]
	v_mul_f64 v[47:48], v[3:4], v[17:18]
	;; [unrolled: 1-line block ×8, first 2 shown]
	v_add_f64 v[39:40], v[39:40], v[67:68]
	v_add_f64 v[25:26], v[25:26], v[55:56]
	;; [unrolled: 1-line block ×8, first 2 shown]
	v_fma_f64 v[23:24], v[3:4], v[15:16], -v[43:44]
	v_fma_f64 v[43:44], v[5:6], v[15:16], v[47:48]
	v_fma_f64 v[3:4], v[3:4], v[19:20], -v[51:52]
	v_fma_f64 v[5:6], v[5:6], v[19:20], v[53:54]
	;; [unrolled: 2-line block ×4, first 2 shown]
	v_add_f64 v[23:24], v[39:40], v[23:24]
	v_add_f64 v[25:26], v[43:44], v[25:26]
	;; [unrolled: 1-line block ×8, first 2 shown]
	s_cbranch_scc0 .LBB410_13
.LBB410_7:                              ; =>This Inner Loop Header: Depth=1
	v_add_nc_u32_e32 v3, s9, v28
	v_cmp_le_i32_e64 s0, s11, v3
	s_or_b32 s0, s1, s0
	s_and_saveexec_b32 s6, s0
	s_xor_b32 s0, exec_lo, s6
	s_cbranch_execz .LBB410_9
; %bb.8:                                ;   in Loop: Header=BB410_7 Depth=1
	v_mov_b32_e32 v3, v2
	v_mov_b32_e32 v4, v2
	;; [unrolled: 1-line block ×3, first 2 shown]
	ds_write_b128 v29, v[2:5]
.LBB410_9:                              ;   in Loop: Header=BB410_7 Depth=1
	s_andn2_saveexec_b32 s0, s0
	s_cbranch_execz .LBB410_11
; %bb.10:                               ;   in Loop: Header=BB410_7 Depth=1
	flat_load_dwordx4 v[3:6], v[11:12]
	s_waitcnt vmcnt(0) lgkmcnt(0)
	ds_write2_b64 v29, v[3:4], v[5:6] offset1:1
.LBB410_11:                             ;   in Loop: Header=BB410_7 Depth=1
	s_or_b32 exec_lo, exec_lo, s0
	v_add_nc_u32_e32 v3, s9, v27
	v_mov_b32_e32 v5, 0
	v_mov_b32_e32 v6, 0
	v_cmp_gt_i32_e64 s0, s11, v3
	v_mov_b32_e32 v3, 0
	v_mov_b32_e32 v4, 0
	s_and_b32 s6, s0, vcc_lo
	s_and_saveexec_b32 s0, s6
	s_cbranch_execz .LBB410_6
; %bb.12:                               ;   in Loop: Header=BB410_7 Depth=1
	flat_load_dwordx4 v[3:6], v[13:14]
	s_waitcnt vmcnt(0) lgkmcnt(0)
	v_xor_b32_e32 v6, 0x80000000, v6
	s_branch .LBB410_6
.LBB410_13:
	s_clause 0x1
	s_load_dword s3, s[4:5], 0x50
	s_load_dwordx2 s[4:5], s[4:5], 0x58
	v_cmp_neq_f64_e64 s2, s[12:13], 0
	v_add_nc_u32_e32 v27, s31, v1
	v_add_nc_u32_e32 v4, s8, v0
	v_cmp_le_i32_e32 vcc_lo, v27, v4
	v_cmp_gt_i32_e64 s0, s10, v4
	v_ashrrev_i32_e32 v5, 31, v4
	s_waitcnt lgkmcnt(0)
	v_mad_i64_i32 v[0:1], null, v27, s3, 0
	s_lshl_b64 s[4:5], s[4:5], 4
	s_add_u32 s4, s22, s4
	s_addc_u32 s5, s23, s5
	s_xor_b32 s6, s30, -1
	s_or_b32 s2, s2, s6
	v_lshlrev_b64 v[0:1], 4, v[0:1]
	v_cndmask_b32_e64 v6, 0, 1, s2
	s_and_b32 s6, vcc_lo, s0
	v_add_co_u32 v13, s1, s4, v0
	v_add_co_ci_u32_e64 v14, null, s5, v1, s1
	s_and_saveexec_b32 s1, s6
	s_cbranch_execz .LBB410_17
; %bb.14:
	v_mul_f64 v[0:1], s[18:19], v[25:26]
	v_mul_f64 v[2:3], s[16:17], v[25:26]
	v_lshlrev_b64 v[11:12], 4, v[4:5]
	v_add_co_u32 v11, vcc_lo, v13, v11
	v_add_co_ci_u32_e64 v12, null, v14, v12, vcc_lo
	s_andn2_b32 vcc_lo, exec_lo, s2
	v_fma_f64 v[0:1], s[16:17], v[23:24], -v[0:1]
	v_fma_f64 v[2:3], s[18:19], v[23:24], v[2:3]
	s_cbranch_vccnz .LBB410_16
; %bb.15:
	flat_load_dwordx4 v[23:26], v[11:12]
	s_waitcnt vmcnt(0) lgkmcnt(0)
	v_mul_f64 v[28:29], s[14:15], v[25:26]
	v_mul_f64 v[25:26], s[12:13], v[25:26]
	v_fma_f64 v[28:29], s[12:13], v[23:24], -v[28:29]
	v_fma_f64 v[23:24], s[14:15], v[23:24], v[25:26]
	v_add_f64 v[0:1], v[0:1], v[28:29]
	v_add_f64 v[2:3], v[2:3], v[23:24]
.LBB410_16:
	flat_store_dwordx4 v[11:12], v[0:3]
.LBB410_17:
	s_or_b32 exec_lo, exec_lo, s1
	v_add_nc_u32_e32 v11, 16, v4
	v_cmp_le_i32_e32 vcc_lo, v27, v11
	v_cmp_gt_i32_e64 s1, s10, v11
	v_ashrrev_i32_e32 v12, 31, v11
	s_and_b32 s2, vcc_lo, s1
	s_and_saveexec_b32 s6, s2
	s_cbranch_execz .LBB410_21
; %bb.18:
	v_mul_f64 v[0:1], s[18:19], v[21:22]
	v_mul_f64 v[2:3], s[16:17], v[21:22]
	v_cmp_ne_u32_e32 vcc_lo, 1, v6
	s_and_b32 vcc_lo, exec_lo, vcc_lo
	v_fma_f64 v[0:1], s[16:17], v[19:20], -v[0:1]
	v_fma_f64 v[2:3], s[18:19], v[19:20], v[2:3]
	v_lshlrev_b64 v[19:20], 4, v[11:12]
	v_add_co_u32 v13, s2, v13, v19
	v_add_co_ci_u32_e64 v14, null, v14, v20, s2
	s_cbranch_vccnz .LBB410_20
; %bb.19:
	flat_load_dwordx4 v[19:22], v[13:14]
	s_waitcnt vmcnt(0) lgkmcnt(0)
	v_mul_f64 v[23:24], s[14:15], v[21:22]
	v_mul_f64 v[21:22], s[12:13], v[21:22]
	v_fma_f64 v[23:24], s[12:13], v[19:20], -v[23:24]
	v_fma_f64 v[19:20], s[14:15], v[19:20], v[21:22]
	v_add_f64 v[0:1], v[0:1], v[23:24]
	v_add_f64 v[2:3], v[2:3], v[19:20]
.LBB410_20:
	flat_store_dwordx4 v[13:14], v[0:3]
.LBB410_21:
	s_or_b32 exec_lo, exec_lo, s6
	v_add_nc_u32_e32 v19, 16, v27
	v_mad_i64_i32 v[0:1], null, v19, s3, 0
	v_cmp_le_i32_e32 vcc_lo, v19, v4
	s_and_b32 s0, vcc_lo, s0
	v_lshlrev_b64 v[0:1], 4, v[0:1]
	v_add_co_u32 v13, s2, s4, v0
	v_add_co_ci_u32_e64 v14, null, s5, v1, s2
	s_and_saveexec_b32 s2, s0
	s_cbranch_execz .LBB410_25
; %bb.22:
	v_mul_f64 v[0:1], s[18:19], v[17:18]
	v_mul_f64 v[2:3], s[16:17], v[17:18]
	v_lshlrev_b64 v[4:5], 4, v[4:5]
	v_cmp_ne_u32_e32 vcc_lo, 1, v6
	s_and_b32 vcc_lo, exec_lo, vcc_lo
	v_add_co_u32 v4, s0, v13, v4
	v_add_co_ci_u32_e64 v5, null, v14, v5, s0
	v_fma_f64 v[0:1], s[16:17], v[15:16], -v[0:1]
	v_fma_f64 v[2:3], s[18:19], v[15:16], v[2:3]
	s_cbranch_vccnz .LBB410_24
; %bb.23:
	flat_load_dwordx4 v[15:18], v[4:5]
	s_waitcnt vmcnt(0) lgkmcnt(0)
	v_mul_f64 v[20:21], s[14:15], v[17:18]
	v_mul_f64 v[17:18], s[12:13], v[17:18]
	v_fma_f64 v[20:21], s[12:13], v[15:16], -v[20:21]
	v_fma_f64 v[15:16], s[14:15], v[15:16], v[17:18]
	v_add_f64 v[0:1], v[0:1], v[20:21]
	v_add_f64 v[2:3], v[2:3], v[15:16]
.LBB410_24:
	flat_store_dwordx4 v[4:5], v[0:3]
.LBB410_25:
	s_or_b32 exec_lo, exec_lo, s2
	v_cmp_le_i32_e32 vcc_lo, v19, v11
	s_and_b32 s0, vcc_lo, s1
	s_and_saveexec_b32 s1, s0
	s_cbranch_execz .LBB410_30
; %bb.26:
	v_mul_f64 v[0:1], s[18:19], v[7:8]
	v_mul_f64 v[2:3], s[16:17], v[7:8]
	v_lshlrev_b64 v[4:5], 4, v[11:12]
	v_cmp_ne_u32_e32 vcc_lo, 1, v6
	s_and_b32 vcc_lo, exec_lo, vcc_lo
	v_add_co_u32 v4, s0, v13, v4
	v_add_co_ci_u32_e64 v5, null, v14, v5, s0
	v_fma_f64 v[0:1], s[16:17], v[9:10], -v[0:1]
	v_fma_f64 v[2:3], s[18:19], v[9:10], v[2:3]
	s_cbranch_vccnz .LBB410_28
; %bb.27:
	flat_load_dwordx4 v[6:9], v[4:5]
	s_waitcnt vmcnt(0) lgkmcnt(0)
	v_mul_f64 v[10:11], s[14:15], v[8:9]
	v_mul_f64 v[8:9], s[12:13], v[8:9]
	v_fma_f64 v[10:11], s[12:13], v[6:7], -v[10:11]
	v_fma_f64 v[6:7], s[14:15], v[6:7], v[8:9]
	v_add_f64 v[0:1], v[0:1], v[10:11]
	v_add_f64 v[2:3], v[2:3], v[6:7]
.LBB410_28:
	flat_store_dwordx4 v[4:5], v[0:3]
	s_endpgm
.LBB410_29:
.LBB410_30:
	s_endpgm
	.section	.rodata,"a",@progbits
	.p2align	6, 0x0
	.amdhsa_kernel _ZL29rocblas_internal_gemmt_kernelIiLi16ELi32ELi8ELc84ELc67ELc76ELb0ELb1E19rocblas_complex_numIdEPKS1_PKS3_PKPS1_EviT_T9_T10_S9_lSB_S9_lSA_T11_S9_li
		.amdhsa_group_segment_fixed_size 8192
		.amdhsa_private_segment_fixed_size 0
		.amdhsa_kernarg_size 100
		.amdhsa_user_sgpr_count 6
		.amdhsa_user_sgpr_private_segment_buffer 1
		.amdhsa_user_sgpr_dispatch_ptr 0
		.amdhsa_user_sgpr_queue_ptr 0
		.amdhsa_user_sgpr_kernarg_segment_ptr 1
		.amdhsa_user_sgpr_dispatch_id 0
		.amdhsa_user_sgpr_flat_scratch_init 0
		.amdhsa_user_sgpr_private_segment_size 0
		.amdhsa_wavefront_size32 1
		.amdhsa_uses_dynamic_stack 0
		.amdhsa_system_sgpr_private_segment_wavefront_offset 0
		.amdhsa_system_sgpr_workgroup_id_x 1
		.amdhsa_system_sgpr_workgroup_id_y 1
		.amdhsa_system_sgpr_workgroup_id_z 1
		.amdhsa_system_sgpr_workgroup_info 0
		.amdhsa_system_vgpr_workitem_id 1
		.amdhsa_next_free_vgpr 127
		.amdhsa_next_free_sgpr 32
		.amdhsa_reserve_vcc 1
		.amdhsa_reserve_flat_scratch 0
		.amdhsa_float_round_mode_32 0
		.amdhsa_float_round_mode_16_64 0
		.amdhsa_float_denorm_mode_32 3
		.amdhsa_float_denorm_mode_16_64 3
		.amdhsa_dx10_clamp 1
		.amdhsa_ieee_mode 1
		.amdhsa_fp16_overflow 0
		.amdhsa_workgroup_processor_mode 1
		.amdhsa_memory_ordered 1
		.amdhsa_forward_progress 1
		.amdhsa_shared_vgpr_count 0
		.amdhsa_exception_fp_ieee_invalid_op 0
		.amdhsa_exception_fp_denorm_src 0
		.amdhsa_exception_fp_ieee_div_zero 0
		.amdhsa_exception_fp_ieee_overflow 0
		.amdhsa_exception_fp_ieee_underflow 0
		.amdhsa_exception_fp_ieee_inexact 0
		.amdhsa_exception_int_div_zero 0
	.end_amdhsa_kernel
	.section	.text._ZL29rocblas_internal_gemmt_kernelIiLi16ELi32ELi8ELc84ELc67ELc76ELb0ELb1E19rocblas_complex_numIdEPKS1_PKS3_PKPS1_EviT_T9_T10_S9_lSB_S9_lSA_T11_S9_li,"axG",@progbits,_ZL29rocblas_internal_gemmt_kernelIiLi16ELi32ELi8ELc84ELc67ELc76ELb0ELb1E19rocblas_complex_numIdEPKS1_PKS3_PKPS1_EviT_T9_T10_S9_lSB_S9_lSA_T11_S9_li,comdat
.Lfunc_end410:
	.size	_ZL29rocblas_internal_gemmt_kernelIiLi16ELi32ELi8ELc84ELc67ELc76ELb0ELb1E19rocblas_complex_numIdEPKS1_PKS3_PKPS1_EviT_T9_T10_S9_lSB_S9_lSA_T11_S9_li, .Lfunc_end410-_ZL29rocblas_internal_gemmt_kernelIiLi16ELi32ELi8ELc84ELc67ELc76ELb0ELb1E19rocblas_complex_numIdEPKS1_PKS3_PKPS1_EviT_T9_T10_S9_lSB_S9_lSA_T11_S9_li
                                        ; -- End function
	.set _ZL29rocblas_internal_gemmt_kernelIiLi16ELi32ELi8ELc84ELc67ELc76ELb0ELb1E19rocblas_complex_numIdEPKS1_PKS3_PKPS1_EviT_T9_T10_S9_lSB_S9_lSA_T11_S9_li.num_vgpr, 127
	.set _ZL29rocblas_internal_gemmt_kernelIiLi16ELi32ELi8ELc84ELc67ELc76ELb0ELb1E19rocblas_complex_numIdEPKS1_PKS3_PKPS1_EviT_T9_T10_S9_lSB_S9_lSA_T11_S9_li.num_agpr, 0
	.set _ZL29rocblas_internal_gemmt_kernelIiLi16ELi32ELi8ELc84ELc67ELc76ELb0ELb1E19rocblas_complex_numIdEPKS1_PKS3_PKPS1_EviT_T9_T10_S9_lSB_S9_lSA_T11_S9_li.numbered_sgpr, 32
	.set _ZL29rocblas_internal_gemmt_kernelIiLi16ELi32ELi8ELc84ELc67ELc76ELb0ELb1E19rocblas_complex_numIdEPKS1_PKS3_PKPS1_EviT_T9_T10_S9_lSB_S9_lSA_T11_S9_li.num_named_barrier, 0
	.set _ZL29rocblas_internal_gemmt_kernelIiLi16ELi32ELi8ELc84ELc67ELc76ELb0ELb1E19rocblas_complex_numIdEPKS1_PKS3_PKPS1_EviT_T9_T10_S9_lSB_S9_lSA_T11_S9_li.private_seg_size, 0
	.set _ZL29rocblas_internal_gemmt_kernelIiLi16ELi32ELi8ELc84ELc67ELc76ELb0ELb1E19rocblas_complex_numIdEPKS1_PKS3_PKPS1_EviT_T9_T10_S9_lSB_S9_lSA_T11_S9_li.uses_vcc, 1
	.set _ZL29rocblas_internal_gemmt_kernelIiLi16ELi32ELi8ELc84ELc67ELc76ELb0ELb1E19rocblas_complex_numIdEPKS1_PKS3_PKPS1_EviT_T9_T10_S9_lSB_S9_lSA_T11_S9_li.uses_flat_scratch, 0
	.set _ZL29rocblas_internal_gemmt_kernelIiLi16ELi32ELi8ELc84ELc67ELc76ELb0ELb1E19rocblas_complex_numIdEPKS1_PKS3_PKPS1_EviT_T9_T10_S9_lSB_S9_lSA_T11_S9_li.has_dyn_sized_stack, 0
	.set _ZL29rocblas_internal_gemmt_kernelIiLi16ELi32ELi8ELc84ELc67ELc76ELb0ELb1E19rocblas_complex_numIdEPKS1_PKS3_PKPS1_EviT_T9_T10_S9_lSB_S9_lSA_T11_S9_li.has_recursion, 0
	.set _ZL29rocblas_internal_gemmt_kernelIiLi16ELi32ELi8ELc84ELc67ELc76ELb0ELb1E19rocblas_complex_numIdEPKS1_PKS3_PKPS1_EviT_T9_T10_S9_lSB_S9_lSA_T11_S9_li.has_indirect_call, 0
	.section	.AMDGPU.csdata,"",@progbits
; Kernel info:
; codeLenInByte = 3560
; TotalNumSgprs: 34
; NumVgprs: 127
; ScratchSize: 0
; MemoryBound: 1
; FloatMode: 240
; IeeeMode: 1
; LDSByteSize: 8192 bytes/workgroup (compile time only)
; SGPRBlocks: 0
; VGPRBlocks: 15
; NumSGPRsForWavesPerEU: 34
; NumVGPRsForWavesPerEU: 127
; Occupancy: 8
; WaveLimiterHint : 1
; COMPUTE_PGM_RSRC2:SCRATCH_EN: 0
; COMPUTE_PGM_RSRC2:USER_SGPR: 6
; COMPUTE_PGM_RSRC2:TRAP_HANDLER: 0
; COMPUTE_PGM_RSRC2:TGID_X_EN: 1
; COMPUTE_PGM_RSRC2:TGID_Y_EN: 1
; COMPUTE_PGM_RSRC2:TGID_Z_EN: 1
; COMPUTE_PGM_RSRC2:TIDIG_COMP_CNT: 1
	.section	.text._ZL29rocblas_internal_gemmt_kernelIiLi16ELi32ELi8ELc67ELc78ELc76ELb1ELb0E19rocblas_complex_numIdEPKS1_PKS3_PKPS1_EviT_T9_T10_S9_lSB_S9_lSA_T11_S9_li,"axG",@progbits,_ZL29rocblas_internal_gemmt_kernelIiLi16ELi32ELi8ELc67ELc78ELc76ELb1ELb0E19rocblas_complex_numIdEPKS1_PKS3_PKPS1_EviT_T9_T10_S9_lSB_S9_lSA_T11_S9_li,comdat
	.globl	_ZL29rocblas_internal_gemmt_kernelIiLi16ELi32ELi8ELc67ELc78ELc76ELb1ELb0E19rocblas_complex_numIdEPKS1_PKS3_PKPS1_EviT_T9_T10_S9_lSB_S9_lSA_T11_S9_li ; -- Begin function _ZL29rocblas_internal_gemmt_kernelIiLi16ELi32ELi8ELc67ELc78ELc76ELb1ELb0E19rocblas_complex_numIdEPKS1_PKS3_PKPS1_EviT_T9_T10_S9_lSB_S9_lSA_T11_S9_li
	.p2align	8
	.type	_ZL29rocblas_internal_gemmt_kernelIiLi16ELi32ELi8ELc67ELc78ELc76ELb1ELb0E19rocblas_complex_numIdEPKS1_PKS3_PKPS1_EviT_T9_T10_S9_lSB_S9_lSA_T11_S9_li,@function
_ZL29rocblas_internal_gemmt_kernelIiLi16ELi32ELi8ELc67ELc78ELc76ELb1ELb0E19rocblas_complex_numIdEPKS1_PKS3_PKPS1_EviT_T9_T10_S9_lSB_S9_lSA_T11_S9_li: ; @_ZL29rocblas_internal_gemmt_kernelIiLi16ELi32ELi8ELc67ELc78ELc76ELb1ELb0E19rocblas_complex_numIdEPKS1_PKS3_PKPS1_EviT_T9_T10_S9_lSB_S9_lSA_T11_S9_li
; %bb.0:
	s_load_dwordx4 s[20:23], s[4:5], 0x38
	s_waitcnt lgkmcnt(0)
	s_load_dwordx4 s[12:15], s[22:23], 0x0
	s_clause 0x1
	s_load_dwordx4 s[0:3], s[4:5], 0x8
	s_load_dwordx2 s[10:11], s[4:5], 0x0
	s_waitcnt lgkmcnt(0)
	s_load_dwordx4 s[16:19], s[0:1], 0x0
	v_cmp_eq_f64_e64 s9, s[12:13], 1.0
	v_cmp_eq_f64_e64 s30, s[14:15], 0
	s_and_b32 s0, s9, s30
	s_andn2_b32 vcc_lo, exec_lo, s0
	s_mov_b32 s0, -1
	s_cbranch_vccnz .LBB411_3
; %bb.1:
	s_cmp_lg_u32 s11, 0
	s_cbranch_scc0 .LBB411_29
; %bb.2:
	s_waitcnt lgkmcnt(0)
	v_cmp_neq_f64_e64 s0, s[16:17], 0
	v_cmp_neq_f64_e64 s1, s[18:19], 0
	s_or_b32 s0, s0, s1
.LBB411_3:
	s_and_b32 vcc_lo, exec_lo, s0
	s_cbranch_vccz .LBB411_30
; %bb.4:
	s_load_dwordx2 s[0:1], s[4:5], 0x48
	s_waitcnt lgkmcnt(0)
	v_cmp_eq_f64_e64 s24, s[16:17], 0
	v_cmp_eq_f64_e64 s25, s[18:19], 0
	s_mov_b32 s9, 0
	v_mov_b32_e32 v23, 0
	s_lshl_b64 s[28:29], s[8:9], 3
	v_mov_b32_e32 v25, 0
	v_mov_b32_e32 v19, 0
	;; [unrolled: 1-line block ×14, first 2 shown]
	s_add_u32 s0, s0, s28
	s_addc_u32 s1, s1, s29
	s_lshl_b32 s6, s6, 5
	s_load_dwordx2 s[22:23], s[0:1], 0x0
	s_lshl_b32 s7, s7, 5
	s_and_b32 s0, s24, s25
	s_cmp_lt_i32 s11, 1
	v_mov_b32_e32 v8, 0
	s_cselect_b32 s1, -1, 0
	s_or_b32 s0, s0, s1
	s_and_b32 vcc_lo, exec_lo, s0
	s_cbranch_vccnz .LBB411_13
; %bb.5:
	s_clause 0x2
	s_load_dword s1, s[4:5], 0x18
	s_load_dwordx4 s[24:27], s[4:5], 0x20
	s_load_dword s8, s[4:5], 0x30
	v_lshl_add_u32 v2, v1, 4, v0
	v_and_b32_e32 v27, 7, v0
	v_mov_b32_e32 v9, 0
	v_mov_b32_e32 v17, 0
	;; [unrolled: 1-line block ×3, first 2 shown]
	v_and_b32_e32 v3, 31, v2
	v_lshrrev_b32_e32 v4, 3, v2
	v_lshlrev_b32_e32 v6, 4, v27
	v_lshrrev_b32_e32 v30, 5, v2
	v_mov_b32_e32 v21, 0
	v_or_b32_e32 v2, s6, v3
	v_lshlrev_b32_e32 v5, 4, v3
	v_add_nc_u32_e32 v3, s6, v3
	v_add_nc_u32_e32 v7, s7, v4
	v_lshl_or_b32 v4, v4, 7, v6
	v_cmp_gt_i32_e32 vcc_lo, s10, v2
	v_lshl_or_b32 v31, v30, 9, v5
	s_waitcnt lgkmcnt(0)
	v_mad_i64_i32 v[2:3], null, s1, v3, 0
	s_add_u32 s26, s26, s28
	s_addc_u32 s27, s27, s29
	s_add_u32 s2, s2, s28
	v_add_nc_u32_e32 v32, 0x1000, v4
	v_mad_i64_i32 v[4:5], null, s8, v7, 0
	s_addc_u32 s3, s3, s29
	s_load_dwordx2 s[26:27], s[26:27], 0x0
	s_load_dwordx2 s[2:3], s[2:3], 0x0
	v_lshlrev_b64 v[2:3], 4, v[2:3]
	s_lshl_b64 s[24:25], s[24:25], 4
	v_cmp_gt_i32_e64 s0, s10, v7
	v_lshlrev_b64 v[4:5], 4, v[4:5]
	v_lshlrev_b32_e32 v7, 4, v30
	s_lshl_b64 s[20:21], s[20:21], 4
	v_add_co_u32 v2, s1, v2, s24
	v_add_co_ci_u32_e64 v3, null, s25, v3, s1
	v_add_co_u32 v4, s1, v4, s20
	v_add_co_ci_u32_e64 v5, null, s21, v5, s1
	;; [unrolled: 2-line block ×4, first 2 shown]
	s_waitcnt lgkmcnt(0)
	v_add_co_u32 v11, s1, s2, v2
	v_add_co_ci_u32_e64 v12, null, s3, v3, s1
	v_add_co_u32 v13, s1, s26, v4
	v_mov_b32_e32 v7, 0
	v_mov_b32_e32 v19, 0
	;; [unrolled: 1-line block ×4, first 2 shown]
	v_lshlrev_b32_e32 v28, 4, v0
	v_lshl_add_u32 v29, v1, 7, 0x1000
	v_add_co_ci_u32_e64 v14, null, s27, v5, s1
	v_mov_b32_e32 v8, 0
	v_mov_b32_e32 v10, 0
	v_mov_b32_e32 v18, 0
	v_mov_b32_e32 v16, 0
	v_mov_b32_e32 v22, 0
	v_mov_b32_e32 v20, 0
	v_mov_b32_e32 v26, 0
	v_mov_b32_e32 v24, 0
	v_mov_b32_e32 v2, 0
	s_xor_b32 s1, s0, -1
	s_branch .LBB411_7
.LBB411_6:                              ;   in Loop: Header=BB411_7 Depth=1
	s_or_b32 exec_lo, exec_lo, s0
	s_waitcnt lgkmcnt(0)
	s_barrier
	buffer_gl0_inv
	ds_read_b128 v[3:6], v29
	ds_read_b128 v[33:36], v28
	ds_read_b128 v[37:40], v28 offset:256
	ds_read_b128 v[41:44], v29 offset:2048
	;; [unrolled: 1-line block ×12, first 2 shown]
	v_add_co_u32 v11, s0, 0x80, v11
	v_add_co_ci_u32_e64 v12, null, 0, v12, s0
	v_add_co_u32 v13, s0, 0x80, v13
	v_add_co_ci_u32_e64 v14, null, 0, v14, s0
	s_waitcnt lgkmcnt(12)
	v_mul_f64 v[85:86], v[5:6], v[35:36]
	v_mul_f64 v[87:88], v[3:4], v[35:36]
	s_waitcnt lgkmcnt(11)
	v_mul_f64 v[89:90], v[5:6], v[39:40]
	v_mul_f64 v[91:92], v[3:4], v[39:40]
	s_waitcnt lgkmcnt(10)
	v_mul_f64 v[93:94], v[43:44], v[35:36]
	v_mul_f64 v[35:36], v[41:42], v[35:36]
	v_mul_f64 v[95:96], v[43:44], v[39:40]
	v_mul_f64 v[39:40], v[41:42], v[39:40]
	s_waitcnt lgkmcnt(8)
	v_mul_f64 v[97:98], v[47:48], v[51:52]
	v_mul_f64 v[99:100], v[45:46], v[51:52]
	s_waitcnt lgkmcnt(7)
	;; [unrolled: 3-line block ×3, first 2 shown]
	v_mul_f64 v[105:106], v[59:60], v[51:52]
	v_mul_f64 v[51:52], v[57:58], v[51:52]
	v_mul_f64 v[107:108], v[59:60], v[55:56]
	v_mul_f64 v[55:56], v[57:58], v[55:56]
	s_waitcnt lgkmcnt(4)
	v_mul_f64 v[109:110], v[63:64], v[67:68]
	v_mul_f64 v[111:112], v[61:62], v[67:68]
	s_waitcnt lgkmcnt(3)
	v_mul_f64 v[113:114], v[63:64], v[71:72]
	v_mul_f64 v[115:116], v[61:62], v[71:72]
	;; [unrolled: 3-line block ×3, first 2 shown]
	v_fma_f64 v[85:86], v[3:4], v[33:34], -v[85:86]
	v_fma_f64 v[87:88], v[5:6], v[33:34], v[87:88]
	v_fma_f64 v[89:90], v[3:4], v[37:38], -v[89:90]
	v_fma_f64 v[91:92], v[5:6], v[37:38], v[91:92]
	;; [unrolled: 2-line block ×4, first 2 shown]
	v_mul_f64 v[123:124], v[75:76], v[71:72]
	v_mul_f64 v[71:72], v[73:74], v[71:72]
	v_fma_f64 v[97:98], v[45:46], v[49:50], -v[97:98]
	v_fma_f64 v[99:100], v[47:48], v[49:50], v[99:100]
	v_fma_f64 v[101:102], v[45:46], v[53:54], -v[101:102]
	v_fma_f64 v[103:104], v[47:48], v[53:54], v[103:104]
	;; [unrolled: 2-line block ×7, first 2 shown]
	v_add_f64 v[23:24], v[23:24], v[85:86]
	v_add_f64 v[25:26], v[87:88], v[25:26]
	;; [unrolled: 1-line block ×6, first 2 shown]
	v_fma_f64 v[73:74], v[73:74], v[69:70], -v[123:124]
	v_fma_f64 v[69:70], v[75:76], v[69:70], v[71:72]
	v_add_f64 v[71:72], v[15:16], v[93:94]
	v_add_f64 v[75:76], v[119:120], v[17:18]
	ds_read_b128 v[3:6], v28 offset:1536
	ds_read_b128 v[33:36], v28 offset:1792
	;; [unrolled: 1-line block ×7, first 2 shown]
	s_add_i32 s9, s9, 8
	s_cmp_lt_i32 s9, s11
	v_add_f64 v[97:98], v[23:24], v[97:98]
	v_add_f64 v[99:100], v[99:100], v[25:26]
	;; [unrolled: 1-line block ×6, first 2 shown]
	ds_read_b128 v[19:22], v28 offset:2560
	ds_read_b128 v[23:26], v28 offset:2816
	s_waitcnt lgkmcnt(8)
	v_mul_f64 v[109:110], v[79:80], v[5:6]
	v_mul_f64 v[111:112], v[77:78], v[5:6]
	s_waitcnt lgkmcnt(7)
	v_mul_f64 v[67:68], v[79:80], v[35:36]
	v_mul_f64 v[113:114], v[77:78], v[35:36]
	;; [unrolled: 1-line block ×6, first 2 shown]
	s_waitcnt lgkmcnt(4)
	v_mul_f64 v[95:96], v[39:40], v[47:48]
	v_add_f64 v[71:72], v[71:72], v[105:106]
	v_add_f64 v[75:76], v[125:126], v[75:76]
	v_mul_f64 v[93:94], v[37:38], v[43:44]
	ds_read_b128 v[5:8], v29 offset:80
	v_add_f64 v[55:56], v[97:98], v[55:56]
	v_add_f64 v[59:60], v[59:60], v[99:100]
	v_add_f64 v[61:62], v[101:102], v[61:62]
	v_add_f64 v[63:64], v[63:64], v[103:104]
	v_add_f64 v[9:10], v[9:10], v[73:74]
	v_add_f64 v[53:54], v[69:70], v[53:54]
	s_waitcnt lgkmcnt(2)
	v_mul_f64 v[99:100], v[17:18], v[21:22]
	s_waitcnt lgkmcnt(1)
	v_mul_f64 v[101:102], v[17:18], v[25:26]
	v_fma_f64 v[89:90], v[77:78], v[3:4], -v[109:110]
	v_fma_f64 v[91:92], v[79:80], v[3:4], v[111:112]
	v_fma_f64 v[67:68], v[77:78], v[33:34], -v[67:68]
	v_mul_f64 v[77:78], v[39:40], v[43:44]
	v_mul_f64 v[109:110], v[37:38], v[47:48]
	v_fma_f64 v[79:80], v[79:80], v[33:34], v[113:114]
	v_mul_f64 v[111:112], v[51:52], v[43:44]
	v_mul_f64 v[43:44], v[49:50], v[43:44]
	v_fma_f64 v[57:58], v[81:82], v[3:4], -v[115:116]
	v_fma_f64 v[3:4], v[83:84], v[3:4], v[117:118]
	v_fma_f64 v[81:82], v[81:82], v[33:34], -v[87:88]
	v_fma_f64 v[83:84], v[83:84], v[33:34], v[35:36]
	v_fma_f64 v[87:88], v[37:38], v[45:46], -v[95:96]
	v_mul_f64 v[95:96], v[51:52], v[47:48]
	v_mul_f64 v[47:48], v[49:50], v[47:48]
	v_add_f64 v[71:72], v[71:72], v[107:108]
	v_add_f64 v[65:66], v[65:66], v[75:76]
	v_fma_f64 v[85:86], v[39:40], v[41:42], v[93:94]
	s_waitcnt lgkmcnt(0)
	v_mul_f64 v[69:70], v[7:8], v[21:22]
	v_mul_f64 v[73:74], v[5:6], v[21:22]
	;; [unrolled: 1-line block ×6, first 2 shown]
	v_add_f64 v[55:56], v[55:56], v[89:90]
	v_fma_f64 v[77:78], v[37:38], v[41:42], -v[77:78]
	v_fma_f64 v[93:94], v[39:40], v[45:46], v[109:110]
	v_add_f64 v[59:60], v[91:92], v[59:60]
	v_fma_f64 v[105:106], v[49:50], v[41:42], -v[111:112]
	v_fma_f64 v[109:110], v[51:52], v[41:42], v[43:44]
	v_add_f64 v[61:62], v[61:62], v[67:68]
	v_add_f64 v[63:64], v[79:80], v[63:64]
	;; [unrolled: 1-line block ×4, first 2 shown]
	ds_read_b128 v[33:36], v29 offset:96
	ds_read_b128 v[37:40], v28 offset:3072
	v_fma_f64 v[49:50], v[49:50], v[45:46], -v[95:96]
	v_fma_f64 v[51:52], v[51:52], v[45:46], v[47:48]
	v_add_f64 v[57:58], v[71:72], v[57:58]
	v_add_f64 v[65:66], v[3:4], v[65:66]
	ds_read_b128 v[41:44], v28 offset:3328
	ds_read_b128 v[45:48], v29 offset:2144
	v_fma_f64 v[69:70], v[5:6], v[19:20], -v[69:70]
	v_fma_f64 v[71:72], v[7:8], v[19:20], v[73:74]
	v_fma_f64 v[73:74], v[5:6], v[23:24], -v[75:76]
	v_fma_f64 v[75:76], v[7:8], v[23:24], v[97:98]
	;; [unrolled: 2-line block ×4, first 2 shown]
	v_add_f64 v[55:56], v[55:56], v[77:78]
	v_add_f64 v[59:60], v[85:86], v[59:60]
	ds_read_b128 v[3:6], v29 offset:112
	ds_read_b128 v[7:10], v29 offset:2160
	v_add_f64 v[61:62], v[61:62], v[87:88]
	v_add_f64 v[63:64], v[93:94], v[63:64]
	s_waitcnt lgkmcnt(4)
	v_mul_f64 v[89:90], v[35:36], v[39:40]
	v_mul_f64 v[25:26], v[33:34], v[39:40]
	ds_read_b128 v[15:18], v28 offset:3584
	ds_read_b128 v[19:22], v28 offset:3840
	v_add_f64 v[49:50], v[67:68], v[49:50]
	s_waitcnt lgkmcnt(5)
	v_mul_f64 v[91:92], v[35:36], v[43:44]
	v_mul_f64 v[95:96], v[33:34], v[43:44]
	s_waitcnt lgkmcnt(4)
	v_mul_f64 v[97:98], v[47:48], v[39:40]
	v_mul_f64 v[39:40], v[45:46], v[39:40]
	v_add_f64 v[57:58], v[57:58], v[105:106]
	v_add_f64 v[65:66], v[109:110], v[65:66]
	;; [unrolled: 1-line block ×3, first 2 shown]
	v_mul_f64 v[53:54], v[47:48], v[43:44]
	v_mul_f64 v[43:44], v[45:46], v[43:44]
	s_waitcnt lgkmcnt(0)
	s_barrier
	buffer_gl0_inv
	v_fma_f64 v[67:68], v[33:34], v[37:38], -v[89:90]
	v_fma_f64 v[25:26], v[35:36], v[37:38], v[25:26]
	v_add_f64 v[49:50], v[49:50], v[83:84]
	v_fma_f64 v[33:34], v[33:34], v[41:42], -v[91:92]
	v_fma_f64 v[35:36], v[35:36], v[41:42], v[95:96]
	v_fma_f64 v[77:78], v[45:46], v[37:38], -v[97:98]
	v_fma_f64 v[37:38], v[47:48], v[37:38], v[39:40]
	v_add_f64 v[39:40], v[55:56], v[69:70]
	v_add_f64 v[55:56], v[71:72], v[59:60]
	;; [unrolled: 1-line block ×7, first 2 shown]
	v_fma_f64 v[45:46], v[45:46], v[41:42], -v[53:54]
	v_fma_f64 v[41:42], v[47:48], v[41:42], v[43:44]
	v_mul_f64 v[43:44], v[5:6], v[17:18]
	v_mul_f64 v[47:48], v[3:4], v[17:18]
	;; [unrolled: 1-line block ×8, first 2 shown]
	v_add_f64 v[39:40], v[39:40], v[67:68]
	v_add_f64 v[25:26], v[25:26], v[55:56]
	;; [unrolled: 1-line block ×8, first 2 shown]
	v_fma_f64 v[23:24], v[3:4], v[15:16], -v[43:44]
	v_fma_f64 v[43:44], v[5:6], v[15:16], v[47:48]
	v_fma_f64 v[3:4], v[3:4], v[19:20], -v[51:52]
	v_fma_f64 v[5:6], v[5:6], v[19:20], v[53:54]
	;; [unrolled: 2-line block ×4, first 2 shown]
	v_add_f64 v[23:24], v[39:40], v[23:24]
	v_add_f64 v[25:26], v[43:44], v[25:26]
	;; [unrolled: 1-line block ×8, first 2 shown]
	s_cbranch_scc0 .LBB411_13
.LBB411_7:                              ; =>This Inner Loop Header: Depth=1
	v_add_nc_u32_e32 v3, s9, v30
	v_mov_b32_e32 v5, 0
	v_mov_b32_e32 v6, 0
	v_cmp_gt_i32_e64 s0, s11, v3
	v_mov_b32_e32 v3, 0
	v_mov_b32_e32 v4, 0
	s_and_b32 s2, vcc_lo, s0
	s_and_saveexec_b32 s0, s2
	s_cbranch_execz .LBB411_9
; %bb.8:                                ;   in Loop: Header=BB411_7 Depth=1
	flat_load_dwordx4 v[3:6], v[11:12]
	s_waitcnt vmcnt(0) lgkmcnt(0)
	v_xor_b32_e32 v6, 0x80000000, v6
.LBB411_9:                              ;   in Loop: Header=BB411_7 Depth=1
	s_or_b32 exec_lo, exec_lo, s0
	v_add_nc_u32_e32 v33, s9, v27
	ds_write_b128 v31, v[3:6]
	v_cmp_le_i32_e64 s0, s11, v33
	s_or_b32 s0, s0, s1
	s_and_saveexec_b32 s2, s0
	s_xor_b32 s0, exec_lo, s2
	s_cbranch_execz .LBB411_11
; %bb.10:                               ;   in Loop: Header=BB411_7 Depth=1
	v_mov_b32_e32 v3, v2
	v_mov_b32_e32 v4, v2
	;; [unrolled: 1-line block ×3, first 2 shown]
	ds_write_b128 v32, v[2:5]
.LBB411_11:                             ;   in Loop: Header=BB411_7 Depth=1
	s_andn2_saveexec_b32 s0, s0
	s_cbranch_execz .LBB411_6
; %bb.12:                               ;   in Loop: Header=BB411_7 Depth=1
	flat_load_dwordx4 v[3:6], v[13:14]
	s_waitcnt vmcnt(0) lgkmcnt(0)
	ds_write2_b64 v32, v[3:4], v[5:6] offset1:1
	s_branch .LBB411_6
.LBB411_13:
	s_clause 0x1
	s_load_dword s3, s[4:5], 0x50
	s_load_dwordx2 s[4:5], s[4:5], 0x58
	v_cmp_neq_f64_e64 s2, s[12:13], 0
	v_add_nc_u32_e32 v27, s7, v1
	v_add_nc_u32_e32 v4, s6, v0
	v_cmp_le_i32_e32 vcc_lo, v27, v4
	v_cmp_gt_i32_e64 s0, s10, v4
	v_ashrrev_i32_e32 v5, 31, v4
	s_waitcnt lgkmcnt(0)
	v_mad_i64_i32 v[0:1], null, v27, s3, 0
	s_lshl_b64 s[4:5], s[4:5], 4
	s_add_u32 s4, s22, s4
	s_addc_u32 s5, s23, s5
	s_xor_b32 s6, s30, -1
	s_or_b32 s2, s2, s6
	v_lshlrev_b64 v[0:1], 4, v[0:1]
	v_cndmask_b32_e64 v6, 0, 1, s2
	s_and_b32 s6, vcc_lo, s0
	v_add_co_u32 v13, s1, s4, v0
	v_add_co_ci_u32_e64 v14, null, s5, v1, s1
	s_and_saveexec_b32 s1, s6
	s_cbranch_execz .LBB411_17
; %bb.14:
	v_mul_f64 v[0:1], s[18:19], v[25:26]
	v_mul_f64 v[2:3], s[16:17], v[25:26]
	v_lshlrev_b64 v[11:12], 4, v[4:5]
	v_add_co_u32 v11, vcc_lo, v13, v11
	v_add_co_ci_u32_e64 v12, null, v14, v12, vcc_lo
	s_andn2_b32 vcc_lo, exec_lo, s2
	v_fma_f64 v[0:1], s[16:17], v[23:24], -v[0:1]
	v_fma_f64 v[2:3], s[18:19], v[23:24], v[2:3]
	s_cbranch_vccnz .LBB411_16
; %bb.15:
	flat_load_dwordx4 v[23:26], v[11:12]
	s_waitcnt vmcnt(0) lgkmcnt(0)
	v_mul_f64 v[28:29], s[14:15], v[25:26]
	v_mul_f64 v[25:26], s[12:13], v[25:26]
	v_fma_f64 v[28:29], s[12:13], v[23:24], -v[28:29]
	v_fma_f64 v[23:24], s[14:15], v[23:24], v[25:26]
	v_add_f64 v[0:1], v[0:1], v[28:29]
	v_add_f64 v[2:3], v[2:3], v[23:24]
.LBB411_16:
	flat_store_dwordx4 v[11:12], v[0:3]
.LBB411_17:
	s_or_b32 exec_lo, exec_lo, s1
	v_add_nc_u32_e32 v11, 16, v4
	v_cmp_le_i32_e32 vcc_lo, v27, v11
	v_cmp_gt_i32_e64 s1, s10, v11
	v_ashrrev_i32_e32 v12, 31, v11
	s_and_b32 s2, vcc_lo, s1
	s_and_saveexec_b32 s6, s2
	s_cbranch_execz .LBB411_21
; %bb.18:
	v_mul_f64 v[0:1], s[18:19], v[21:22]
	v_mul_f64 v[2:3], s[16:17], v[21:22]
	v_cmp_ne_u32_e32 vcc_lo, 1, v6
	s_and_b32 vcc_lo, exec_lo, vcc_lo
	v_fma_f64 v[0:1], s[16:17], v[19:20], -v[0:1]
	v_fma_f64 v[2:3], s[18:19], v[19:20], v[2:3]
	v_lshlrev_b64 v[19:20], 4, v[11:12]
	v_add_co_u32 v13, s2, v13, v19
	v_add_co_ci_u32_e64 v14, null, v14, v20, s2
	s_cbranch_vccnz .LBB411_20
; %bb.19:
	flat_load_dwordx4 v[19:22], v[13:14]
	s_waitcnt vmcnt(0) lgkmcnt(0)
	v_mul_f64 v[23:24], s[14:15], v[21:22]
	v_mul_f64 v[21:22], s[12:13], v[21:22]
	v_fma_f64 v[23:24], s[12:13], v[19:20], -v[23:24]
	v_fma_f64 v[19:20], s[14:15], v[19:20], v[21:22]
	v_add_f64 v[0:1], v[0:1], v[23:24]
	v_add_f64 v[2:3], v[2:3], v[19:20]
.LBB411_20:
	flat_store_dwordx4 v[13:14], v[0:3]
.LBB411_21:
	s_or_b32 exec_lo, exec_lo, s6
	v_add_nc_u32_e32 v19, 16, v27
	v_mad_i64_i32 v[0:1], null, v19, s3, 0
	v_cmp_le_i32_e32 vcc_lo, v19, v4
	s_and_b32 s0, vcc_lo, s0
	v_lshlrev_b64 v[0:1], 4, v[0:1]
	v_add_co_u32 v13, s2, s4, v0
	v_add_co_ci_u32_e64 v14, null, s5, v1, s2
	s_and_saveexec_b32 s2, s0
	s_cbranch_execz .LBB411_25
; %bb.22:
	v_mul_f64 v[0:1], s[18:19], v[17:18]
	v_mul_f64 v[2:3], s[16:17], v[17:18]
	v_lshlrev_b64 v[4:5], 4, v[4:5]
	v_cmp_ne_u32_e32 vcc_lo, 1, v6
	s_and_b32 vcc_lo, exec_lo, vcc_lo
	v_add_co_u32 v4, s0, v13, v4
	v_add_co_ci_u32_e64 v5, null, v14, v5, s0
	v_fma_f64 v[0:1], s[16:17], v[15:16], -v[0:1]
	v_fma_f64 v[2:3], s[18:19], v[15:16], v[2:3]
	s_cbranch_vccnz .LBB411_24
; %bb.23:
	flat_load_dwordx4 v[15:18], v[4:5]
	s_waitcnt vmcnt(0) lgkmcnt(0)
	v_mul_f64 v[20:21], s[14:15], v[17:18]
	v_mul_f64 v[17:18], s[12:13], v[17:18]
	v_fma_f64 v[20:21], s[12:13], v[15:16], -v[20:21]
	v_fma_f64 v[15:16], s[14:15], v[15:16], v[17:18]
	v_add_f64 v[0:1], v[0:1], v[20:21]
	v_add_f64 v[2:3], v[2:3], v[15:16]
.LBB411_24:
	flat_store_dwordx4 v[4:5], v[0:3]
.LBB411_25:
	s_or_b32 exec_lo, exec_lo, s2
	v_cmp_le_i32_e32 vcc_lo, v19, v11
	s_and_b32 s0, vcc_lo, s1
	s_and_saveexec_b32 s1, s0
	s_cbranch_execz .LBB411_30
; %bb.26:
	v_mul_f64 v[0:1], s[18:19], v[7:8]
	v_mul_f64 v[2:3], s[16:17], v[7:8]
	v_lshlrev_b64 v[4:5], 4, v[11:12]
	v_cmp_ne_u32_e32 vcc_lo, 1, v6
	s_and_b32 vcc_lo, exec_lo, vcc_lo
	v_add_co_u32 v4, s0, v13, v4
	v_add_co_ci_u32_e64 v5, null, v14, v5, s0
	v_fma_f64 v[0:1], s[16:17], v[9:10], -v[0:1]
	v_fma_f64 v[2:3], s[18:19], v[9:10], v[2:3]
	s_cbranch_vccnz .LBB411_28
; %bb.27:
	flat_load_dwordx4 v[6:9], v[4:5]
	s_waitcnt vmcnt(0) lgkmcnt(0)
	v_mul_f64 v[10:11], s[14:15], v[8:9]
	v_mul_f64 v[8:9], s[12:13], v[8:9]
	v_fma_f64 v[10:11], s[12:13], v[6:7], -v[10:11]
	v_fma_f64 v[6:7], s[14:15], v[6:7], v[8:9]
	v_add_f64 v[0:1], v[0:1], v[10:11]
	v_add_f64 v[2:3], v[2:3], v[6:7]
.LBB411_28:
	flat_store_dwordx4 v[4:5], v[0:3]
	s_endpgm
.LBB411_29:
.LBB411_30:
	s_endpgm
	.section	.rodata,"a",@progbits
	.p2align	6, 0x0
	.amdhsa_kernel _ZL29rocblas_internal_gemmt_kernelIiLi16ELi32ELi8ELc67ELc78ELc76ELb1ELb0E19rocblas_complex_numIdEPKS1_PKS3_PKPS1_EviT_T9_T10_S9_lSB_S9_lSA_T11_S9_li
		.amdhsa_group_segment_fixed_size 8192
		.amdhsa_private_segment_fixed_size 0
		.amdhsa_kernarg_size 100
		.amdhsa_user_sgpr_count 6
		.amdhsa_user_sgpr_private_segment_buffer 1
		.amdhsa_user_sgpr_dispatch_ptr 0
		.amdhsa_user_sgpr_queue_ptr 0
		.amdhsa_user_sgpr_kernarg_segment_ptr 1
		.amdhsa_user_sgpr_dispatch_id 0
		.amdhsa_user_sgpr_flat_scratch_init 0
		.amdhsa_user_sgpr_private_segment_size 0
		.amdhsa_wavefront_size32 1
		.amdhsa_uses_dynamic_stack 0
		.amdhsa_system_sgpr_private_segment_wavefront_offset 0
		.amdhsa_system_sgpr_workgroup_id_x 1
		.amdhsa_system_sgpr_workgroup_id_y 1
		.amdhsa_system_sgpr_workgroup_id_z 1
		.amdhsa_system_sgpr_workgroup_info 0
		.amdhsa_system_vgpr_workitem_id 1
		.amdhsa_next_free_vgpr 127
		.amdhsa_next_free_sgpr 31
		.amdhsa_reserve_vcc 1
		.amdhsa_reserve_flat_scratch 0
		.amdhsa_float_round_mode_32 0
		.amdhsa_float_round_mode_16_64 0
		.amdhsa_float_denorm_mode_32 3
		.amdhsa_float_denorm_mode_16_64 3
		.amdhsa_dx10_clamp 1
		.amdhsa_ieee_mode 1
		.amdhsa_fp16_overflow 0
		.amdhsa_workgroup_processor_mode 1
		.amdhsa_memory_ordered 1
		.amdhsa_forward_progress 1
		.amdhsa_shared_vgpr_count 0
		.amdhsa_exception_fp_ieee_invalid_op 0
		.amdhsa_exception_fp_denorm_src 0
		.amdhsa_exception_fp_ieee_div_zero 0
		.amdhsa_exception_fp_ieee_overflow 0
		.amdhsa_exception_fp_ieee_underflow 0
		.amdhsa_exception_fp_ieee_inexact 0
		.amdhsa_exception_int_div_zero 0
	.end_amdhsa_kernel
	.section	.text._ZL29rocblas_internal_gemmt_kernelIiLi16ELi32ELi8ELc67ELc78ELc76ELb1ELb0E19rocblas_complex_numIdEPKS1_PKS3_PKPS1_EviT_T9_T10_S9_lSB_S9_lSA_T11_S9_li,"axG",@progbits,_ZL29rocblas_internal_gemmt_kernelIiLi16ELi32ELi8ELc67ELc78ELc76ELb1ELb0E19rocblas_complex_numIdEPKS1_PKS3_PKPS1_EviT_T9_T10_S9_lSB_S9_lSA_T11_S9_li,comdat
.Lfunc_end411:
	.size	_ZL29rocblas_internal_gemmt_kernelIiLi16ELi32ELi8ELc67ELc78ELc76ELb1ELb0E19rocblas_complex_numIdEPKS1_PKS3_PKPS1_EviT_T9_T10_S9_lSB_S9_lSA_T11_S9_li, .Lfunc_end411-_ZL29rocblas_internal_gemmt_kernelIiLi16ELi32ELi8ELc67ELc78ELc76ELb1ELb0E19rocblas_complex_numIdEPKS1_PKS3_PKPS1_EviT_T9_T10_S9_lSB_S9_lSA_T11_S9_li
                                        ; -- End function
	.set _ZL29rocblas_internal_gemmt_kernelIiLi16ELi32ELi8ELc67ELc78ELc76ELb1ELb0E19rocblas_complex_numIdEPKS1_PKS3_PKPS1_EviT_T9_T10_S9_lSB_S9_lSA_T11_S9_li.num_vgpr, 127
	.set _ZL29rocblas_internal_gemmt_kernelIiLi16ELi32ELi8ELc67ELc78ELc76ELb1ELb0E19rocblas_complex_numIdEPKS1_PKS3_PKPS1_EviT_T9_T10_S9_lSB_S9_lSA_T11_S9_li.num_agpr, 0
	.set _ZL29rocblas_internal_gemmt_kernelIiLi16ELi32ELi8ELc67ELc78ELc76ELb1ELb0E19rocblas_complex_numIdEPKS1_PKS3_PKPS1_EviT_T9_T10_S9_lSB_S9_lSA_T11_S9_li.numbered_sgpr, 31
	.set _ZL29rocblas_internal_gemmt_kernelIiLi16ELi32ELi8ELc67ELc78ELc76ELb1ELb0E19rocblas_complex_numIdEPKS1_PKS3_PKPS1_EviT_T9_T10_S9_lSB_S9_lSA_T11_S9_li.num_named_barrier, 0
	.set _ZL29rocblas_internal_gemmt_kernelIiLi16ELi32ELi8ELc67ELc78ELc76ELb1ELb0E19rocblas_complex_numIdEPKS1_PKS3_PKPS1_EviT_T9_T10_S9_lSB_S9_lSA_T11_S9_li.private_seg_size, 0
	.set _ZL29rocblas_internal_gemmt_kernelIiLi16ELi32ELi8ELc67ELc78ELc76ELb1ELb0E19rocblas_complex_numIdEPKS1_PKS3_PKPS1_EviT_T9_T10_S9_lSB_S9_lSA_T11_S9_li.uses_vcc, 1
	.set _ZL29rocblas_internal_gemmt_kernelIiLi16ELi32ELi8ELc67ELc78ELc76ELb1ELb0E19rocblas_complex_numIdEPKS1_PKS3_PKPS1_EviT_T9_T10_S9_lSB_S9_lSA_T11_S9_li.uses_flat_scratch, 0
	.set _ZL29rocblas_internal_gemmt_kernelIiLi16ELi32ELi8ELc67ELc78ELc76ELb1ELb0E19rocblas_complex_numIdEPKS1_PKS3_PKPS1_EviT_T9_T10_S9_lSB_S9_lSA_T11_S9_li.has_dyn_sized_stack, 0
	.set _ZL29rocblas_internal_gemmt_kernelIiLi16ELi32ELi8ELc67ELc78ELc76ELb1ELb0E19rocblas_complex_numIdEPKS1_PKS3_PKPS1_EviT_T9_T10_S9_lSB_S9_lSA_T11_S9_li.has_recursion, 0
	.set _ZL29rocblas_internal_gemmt_kernelIiLi16ELi32ELi8ELc67ELc78ELc76ELb1ELb0E19rocblas_complex_numIdEPKS1_PKS3_PKPS1_EviT_T9_T10_S9_lSB_S9_lSA_T11_S9_li.has_indirect_call, 0
	.section	.AMDGPU.csdata,"",@progbits
; Kernel info:
; codeLenInByte = 3544
; TotalNumSgprs: 33
; NumVgprs: 127
; ScratchSize: 0
; MemoryBound: 1
; FloatMode: 240
; IeeeMode: 1
; LDSByteSize: 8192 bytes/workgroup (compile time only)
; SGPRBlocks: 0
; VGPRBlocks: 15
; NumSGPRsForWavesPerEU: 33
; NumVGPRsForWavesPerEU: 127
; Occupancy: 8
; WaveLimiterHint : 1
; COMPUTE_PGM_RSRC2:SCRATCH_EN: 0
; COMPUTE_PGM_RSRC2:USER_SGPR: 6
; COMPUTE_PGM_RSRC2:TRAP_HANDLER: 0
; COMPUTE_PGM_RSRC2:TGID_X_EN: 1
; COMPUTE_PGM_RSRC2:TGID_Y_EN: 1
; COMPUTE_PGM_RSRC2:TGID_Z_EN: 1
; COMPUTE_PGM_RSRC2:TIDIG_COMP_CNT: 1
	.section	.text._ZL29rocblas_internal_gemmt_kernelIiLi16ELi32ELi8ELc67ELc84ELc76ELb1ELb0E19rocblas_complex_numIdEPKS1_PKS3_PKPS1_EviT_T9_T10_S9_lSB_S9_lSA_T11_S9_li,"axG",@progbits,_ZL29rocblas_internal_gemmt_kernelIiLi16ELi32ELi8ELc67ELc84ELc76ELb1ELb0E19rocblas_complex_numIdEPKS1_PKS3_PKPS1_EviT_T9_T10_S9_lSB_S9_lSA_T11_S9_li,comdat
	.globl	_ZL29rocblas_internal_gemmt_kernelIiLi16ELi32ELi8ELc67ELc84ELc76ELb1ELb0E19rocblas_complex_numIdEPKS1_PKS3_PKPS1_EviT_T9_T10_S9_lSB_S9_lSA_T11_S9_li ; -- Begin function _ZL29rocblas_internal_gemmt_kernelIiLi16ELi32ELi8ELc67ELc84ELc76ELb1ELb0E19rocblas_complex_numIdEPKS1_PKS3_PKPS1_EviT_T9_T10_S9_lSB_S9_lSA_T11_S9_li
	.p2align	8
	.type	_ZL29rocblas_internal_gemmt_kernelIiLi16ELi32ELi8ELc67ELc84ELc76ELb1ELb0E19rocblas_complex_numIdEPKS1_PKS3_PKPS1_EviT_T9_T10_S9_lSB_S9_lSA_T11_S9_li,@function
_ZL29rocblas_internal_gemmt_kernelIiLi16ELi32ELi8ELc67ELc84ELc76ELb1ELb0E19rocblas_complex_numIdEPKS1_PKS3_PKPS1_EviT_T9_T10_S9_lSB_S9_lSA_T11_S9_li: ; @_ZL29rocblas_internal_gemmt_kernelIiLi16ELi32ELi8ELc67ELc84ELc76ELb1ELb0E19rocblas_complex_numIdEPKS1_PKS3_PKPS1_EviT_T9_T10_S9_lSB_S9_lSA_T11_S9_li
; %bb.0:
	s_load_dwordx4 s[20:23], s[4:5], 0x38
	s_waitcnt lgkmcnt(0)
	s_load_dwordx4 s[12:15], s[22:23], 0x0
	s_clause 0x1
	s_load_dwordx4 s[0:3], s[4:5], 0x8
	s_load_dwordx2 s[10:11], s[4:5], 0x0
	s_waitcnt lgkmcnt(0)
	s_load_dwordx4 s[16:19], s[0:1], 0x0
	v_cmp_eq_f64_e64 s9, s[12:13], 1.0
	v_cmp_eq_f64_e64 s28, s[14:15], 0
	s_and_b32 s0, s9, s28
	s_andn2_b32 vcc_lo, exec_lo, s0
	s_mov_b32 s0, -1
	s_cbranch_vccnz .LBB412_3
; %bb.1:
	s_cmp_lg_u32 s11, 0
	s_cbranch_scc0 .LBB412_29
; %bb.2:
	s_waitcnt lgkmcnt(0)
	v_cmp_neq_f64_e64 s0, s[16:17], 0
	v_cmp_neq_f64_e64 s1, s[18:19], 0
	s_or_b32 s0, s0, s1
.LBB412_3:
	s_and_b32 vcc_lo, exec_lo, s0
	s_cbranch_vccz .LBB412_30
; %bb.4:
	s_load_dwordx2 s[22:23], s[4:5], 0x48
	s_waitcnt lgkmcnt(0)
	v_cmp_eq_f64_e64 s24, s[16:17], 0
	v_cmp_eq_f64_e64 s25, s[18:19], 0
	s_mov_b32 s9, 0
	v_mov_b32_e32 v23, 0
	s_lshl_b64 s[0:1], s[8:9], 3
	v_mov_b32_e32 v25, 0
	v_mov_b32_e32 v19, 0
	;; [unrolled: 1-line block ×14, first 2 shown]
	s_add_u32 s22, s22, s0
	s_addc_u32 s23, s23, s1
	s_lshl_b32 s8, s6, 5
	s_load_dwordx2 s[22:23], s[22:23], 0x0
	s_lshl_b32 s29, s7, 5
	s_and_b32 s6, s24, s25
	s_cmp_lt_i32 s11, 1
	v_mov_b32_e32 v8, 0
	s_cselect_b32 s7, -1, 0
	s_or_b32 s6, s6, s7
	s_and_b32 vcc_lo, exec_lo, s6
	s_cbranch_vccnz .LBB412_13
; %bb.5:
	s_clause 0x2
	s_load_dword s6, s[4:5], 0x30
	s_load_dword s30, s[4:5], 0x18
	s_load_dwordx4 s[24:27], s[4:5], 0x20
	v_lshl_add_u32 v2, v1, 4, v0
	v_and_b32_e32 v27, 7, v0
	v_mov_b32_e32 v9, 0
	v_mov_b32_e32 v17, 0
	;; [unrolled: 1-line block ×3, first 2 shown]
	v_and_b32_e32 v3, 31, v2
	v_lshrrev_b32_e32 v4, 3, v2
	v_lshlrev_b32_e32 v5, 4, v27
	v_lshrrev_b32_e32 v28, 5, v2
	v_mov_b32_e32 v21, 0
	v_or_b32_e32 v6, s8, v3
	v_lshlrev_b32_e32 v7, 4, v3
	v_add_nc_u32_e32 v3, s8, v3
	v_add_nc_u32_e32 v2, s29, v4
	v_lshl_or_b32 v8, v4, 7, v5
	v_cmp_gt_i32_e32 vcc_lo, s10, v6
	v_lshl_or_b32 v29, v28, 9, v7
	s_waitcnt lgkmcnt(0)
	s_ashr_i32 s7, s6, 31
	v_mad_i64_i32 v[4:5], null, s30, v3, 0
	s_add_u32 s26, s26, s0
	s_addc_u32 s27, s27, s1
	v_mad_i64_i32 v[6:7], null, s6, v27, 0
	s_add_u32 s0, s2, s0
	s_addc_u32 s1, s3, s1
	s_load_dwordx2 s[2:3], s[26:27], 0x0
	s_load_dwordx2 s[26:27], s[0:1], 0x0
	v_lshlrev_b64 v[4:5], 4, v[4:5]
	v_ashrrev_i32_e32 v3, 31, v2
	s_lshl_b64 s[24:25], s[24:25], 4
	v_lshlrev_b64 v[6:7], 4, v[6:7]
	v_add_nc_u32_e32 v30, 0x1000, v8
	v_lshlrev_b32_e32 v8, 4, v28
	v_add_co_u32 v4, s1, v4, s24
	s_lshl_b64 s[20:21], s[20:21], 4
	v_cmp_gt_i32_e64 s0, s10, v2
	v_lshlrev_b64 v[2:3], 4, v[2:3]
	v_add_co_ci_u32_e64 v5, null, s25, v5, s1
	v_add_co_u32 v6, s1, v6, s20
	v_add_co_ci_u32_e64 v7, null, s21, v7, s1
	v_add_co_u32 v4, s1, v4, v8
	;; [unrolled: 2-line block ×3, first 2 shown]
	v_add_co_ci_u32_e64 v3, null, v7, v3, s1
	s_waitcnt lgkmcnt(0)
	v_add_co_u32 v11, s1, s26, v4
	v_add_co_ci_u32_e64 v12, null, s27, v5, s1
	v_add_co_u32 v13, s1, s2, v2
	v_mov_b32_e32 v7, 0
	v_mov_b32_e32 v19, 0
	;; [unrolled: 1-line block ×4, first 2 shown]
	v_lshlrev_b32_e32 v31, 4, v0
	v_lshl_add_u32 v32, v1, 7, 0x1000
	v_add_co_ci_u32_e64 v14, null, s3, v3, s1
	v_mov_b32_e32 v8, 0
	v_mov_b32_e32 v10, 0
	;; [unrolled: 1-line block ×9, first 2 shown]
	s_lshl_b64 s[2:3], s[6:7], 7
	s_xor_b32 s1, s0, -1
	s_branch .LBB412_7
.LBB412_6:                              ;   in Loop: Header=BB412_7 Depth=1
	s_or_b32 exec_lo, exec_lo, s0
	s_waitcnt lgkmcnt(0)
	s_barrier
	buffer_gl0_inv
	ds_read_b128 v[3:6], v32
	ds_read_b128 v[33:36], v31
	ds_read_b128 v[37:40], v31 offset:256
	ds_read_b128 v[41:44], v32 offset:2048
	;; [unrolled: 1-line block ×12, first 2 shown]
	v_add_co_u32 v11, s0, 0x80, v11
	v_add_co_ci_u32_e64 v12, null, 0, v12, s0
	v_add_co_u32 v13, s0, v13, s2
	v_add_co_ci_u32_e64 v14, null, s3, v14, s0
	s_waitcnt lgkmcnt(12)
	v_mul_f64 v[85:86], v[5:6], v[35:36]
	v_mul_f64 v[87:88], v[3:4], v[35:36]
	s_waitcnt lgkmcnt(11)
	v_mul_f64 v[89:90], v[5:6], v[39:40]
	v_mul_f64 v[91:92], v[3:4], v[39:40]
	;; [unrolled: 3-line block ×3, first 2 shown]
	v_mul_f64 v[95:96], v[43:44], v[39:40]
	v_mul_f64 v[39:40], v[41:42], v[39:40]
	s_waitcnt lgkmcnt(8)
	v_mul_f64 v[97:98], v[47:48], v[51:52]
	v_mul_f64 v[99:100], v[45:46], v[51:52]
	s_waitcnt lgkmcnt(7)
	;; [unrolled: 3-line block ×3, first 2 shown]
	v_mul_f64 v[105:106], v[59:60], v[51:52]
	v_mul_f64 v[51:52], v[57:58], v[51:52]
	;; [unrolled: 1-line block ×4, first 2 shown]
	s_waitcnt lgkmcnt(4)
	v_mul_f64 v[109:110], v[63:64], v[67:68]
	v_mul_f64 v[111:112], v[61:62], v[67:68]
	s_waitcnt lgkmcnt(3)
	v_mul_f64 v[113:114], v[63:64], v[71:72]
	v_mul_f64 v[115:116], v[61:62], v[71:72]
	;; [unrolled: 3-line block ×3, first 2 shown]
	v_fma_f64 v[85:86], v[3:4], v[33:34], -v[85:86]
	v_fma_f64 v[87:88], v[5:6], v[33:34], v[87:88]
	v_fma_f64 v[89:90], v[3:4], v[37:38], -v[89:90]
	v_fma_f64 v[91:92], v[5:6], v[37:38], v[91:92]
	;; [unrolled: 2-line block ×4, first 2 shown]
	v_mul_f64 v[123:124], v[75:76], v[71:72]
	v_mul_f64 v[71:72], v[73:74], v[71:72]
	v_fma_f64 v[97:98], v[45:46], v[49:50], -v[97:98]
	v_fma_f64 v[99:100], v[47:48], v[49:50], v[99:100]
	v_fma_f64 v[101:102], v[45:46], v[53:54], -v[101:102]
	v_fma_f64 v[103:104], v[47:48], v[53:54], v[103:104]
	;; [unrolled: 2-line block ×7, first 2 shown]
	v_add_f64 v[23:24], v[23:24], v[85:86]
	v_add_f64 v[25:26], v[87:88], v[25:26]
	;; [unrolled: 1-line block ×6, first 2 shown]
	v_fma_f64 v[73:74], v[73:74], v[69:70], -v[123:124]
	v_fma_f64 v[69:70], v[75:76], v[69:70], v[71:72]
	v_add_f64 v[71:72], v[15:16], v[93:94]
	v_add_f64 v[75:76], v[119:120], v[17:18]
	ds_read_b128 v[3:6], v31 offset:1536
	ds_read_b128 v[33:36], v31 offset:1792
	;; [unrolled: 1-line block ×7, first 2 shown]
	s_add_i32 s9, s9, 8
	s_cmp_lt_i32 s9, s11
	v_add_f64 v[97:98], v[23:24], v[97:98]
	v_add_f64 v[99:100], v[99:100], v[25:26]
	v_add_f64 v[101:102], v[19:20], v[101:102]
	v_add_f64 v[103:104], v[103:104], v[21:22]
	v_add_f64 v[9:10], v[9:10], v[57:58]
	v_add_f64 v[53:54], v[53:54], v[85:86]
	ds_read_b128 v[19:22], v31 offset:2560
	ds_read_b128 v[23:26], v31 offset:2816
	s_waitcnt lgkmcnt(8)
	v_mul_f64 v[109:110], v[79:80], v[5:6]
	v_mul_f64 v[111:112], v[77:78], v[5:6]
	s_waitcnt lgkmcnt(7)
	v_mul_f64 v[67:68], v[79:80], v[35:36]
	v_mul_f64 v[113:114], v[77:78], v[35:36]
	;; [unrolled: 1-line block ×6, first 2 shown]
	s_waitcnt lgkmcnt(4)
	v_mul_f64 v[95:96], v[39:40], v[47:48]
	v_add_f64 v[71:72], v[71:72], v[105:106]
	v_add_f64 v[75:76], v[125:126], v[75:76]
	v_mul_f64 v[93:94], v[37:38], v[43:44]
	ds_read_b128 v[5:8], v32 offset:80
	v_add_f64 v[55:56], v[97:98], v[55:56]
	v_add_f64 v[59:60], v[59:60], v[99:100]
	v_add_f64 v[61:62], v[101:102], v[61:62]
	v_add_f64 v[63:64], v[63:64], v[103:104]
	v_add_f64 v[9:10], v[9:10], v[73:74]
	v_add_f64 v[53:54], v[69:70], v[53:54]
	s_waitcnt lgkmcnt(2)
	v_mul_f64 v[99:100], v[17:18], v[21:22]
	s_waitcnt lgkmcnt(1)
	v_mul_f64 v[101:102], v[17:18], v[25:26]
	v_fma_f64 v[89:90], v[77:78], v[3:4], -v[109:110]
	v_fma_f64 v[91:92], v[79:80], v[3:4], v[111:112]
	v_fma_f64 v[67:68], v[77:78], v[33:34], -v[67:68]
	v_mul_f64 v[77:78], v[39:40], v[43:44]
	v_mul_f64 v[109:110], v[37:38], v[47:48]
	v_fma_f64 v[79:80], v[79:80], v[33:34], v[113:114]
	v_mul_f64 v[111:112], v[51:52], v[43:44]
	v_mul_f64 v[43:44], v[49:50], v[43:44]
	v_fma_f64 v[57:58], v[81:82], v[3:4], -v[115:116]
	v_fma_f64 v[3:4], v[83:84], v[3:4], v[117:118]
	v_fma_f64 v[81:82], v[81:82], v[33:34], -v[87:88]
	v_fma_f64 v[83:84], v[83:84], v[33:34], v[35:36]
	v_fma_f64 v[87:88], v[37:38], v[45:46], -v[95:96]
	v_mul_f64 v[95:96], v[51:52], v[47:48]
	v_mul_f64 v[47:48], v[49:50], v[47:48]
	v_add_f64 v[71:72], v[71:72], v[107:108]
	v_add_f64 v[65:66], v[65:66], v[75:76]
	v_fma_f64 v[85:86], v[39:40], v[41:42], v[93:94]
	s_waitcnt lgkmcnt(0)
	v_mul_f64 v[69:70], v[7:8], v[21:22]
	v_mul_f64 v[73:74], v[5:6], v[21:22]
	v_mul_f64 v[75:76], v[7:8], v[25:26]
	v_mul_f64 v[97:98], v[5:6], v[25:26]
	v_mul_f64 v[21:22], v[15:16], v[21:22]
	v_mul_f64 v[25:26], v[15:16], v[25:26]
	v_add_f64 v[55:56], v[55:56], v[89:90]
	v_fma_f64 v[77:78], v[37:38], v[41:42], -v[77:78]
	v_fma_f64 v[93:94], v[39:40], v[45:46], v[109:110]
	v_add_f64 v[59:60], v[91:92], v[59:60]
	v_fma_f64 v[105:106], v[49:50], v[41:42], -v[111:112]
	v_fma_f64 v[109:110], v[51:52], v[41:42], v[43:44]
	v_add_f64 v[61:62], v[61:62], v[67:68]
	v_add_f64 v[63:64], v[79:80], v[63:64]
	;; [unrolled: 1-line block ×4, first 2 shown]
	ds_read_b128 v[33:36], v32 offset:96
	ds_read_b128 v[37:40], v31 offset:3072
	v_fma_f64 v[49:50], v[49:50], v[45:46], -v[95:96]
	v_fma_f64 v[51:52], v[51:52], v[45:46], v[47:48]
	v_add_f64 v[57:58], v[71:72], v[57:58]
	v_add_f64 v[65:66], v[3:4], v[65:66]
	ds_read_b128 v[41:44], v31 offset:3328
	ds_read_b128 v[45:48], v32 offset:2144
	v_fma_f64 v[69:70], v[5:6], v[19:20], -v[69:70]
	v_fma_f64 v[71:72], v[7:8], v[19:20], v[73:74]
	v_fma_f64 v[73:74], v[5:6], v[23:24], -v[75:76]
	v_fma_f64 v[75:76], v[7:8], v[23:24], v[97:98]
	;; [unrolled: 2-line block ×4, first 2 shown]
	v_add_f64 v[55:56], v[55:56], v[77:78]
	v_add_f64 v[59:60], v[85:86], v[59:60]
	ds_read_b128 v[3:6], v32 offset:112
	ds_read_b128 v[7:10], v32 offset:2160
	v_add_f64 v[61:62], v[61:62], v[87:88]
	v_add_f64 v[63:64], v[93:94], v[63:64]
	s_waitcnt lgkmcnt(4)
	v_mul_f64 v[89:90], v[35:36], v[39:40]
	v_mul_f64 v[25:26], v[33:34], v[39:40]
	ds_read_b128 v[15:18], v31 offset:3584
	ds_read_b128 v[19:22], v31 offset:3840
	v_add_f64 v[49:50], v[67:68], v[49:50]
	s_waitcnt lgkmcnt(5)
	v_mul_f64 v[91:92], v[35:36], v[43:44]
	v_mul_f64 v[95:96], v[33:34], v[43:44]
	s_waitcnt lgkmcnt(4)
	v_mul_f64 v[97:98], v[47:48], v[39:40]
	v_mul_f64 v[39:40], v[45:46], v[39:40]
	v_add_f64 v[57:58], v[57:58], v[105:106]
	v_add_f64 v[65:66], v[109:110], v[65:66]
	;; [unrolled: 1-line block ×3, first 2 shown]
	v_mul_f64 v[53:54], v[47:48], v[43:44]
	v_mul_f64 v[43:44], v[45:46], v[43:44]
	s_waitcnt lgkmcnt(0)
	s_barrier
	buffer_gl0_inv
	v_fma_f64 v[67:68], v[33:34], v[37:38], -v[89:90]
	v_fma_f64 v[25:26], v[35:36], v[37:38], v[25:26]
	v_add_f64 v[49:50], v[49:50], v[83:84]
	v_fma_f64 v[33:34], v[33:34], v[41:42], -v[91:92]
	v_fma_f64 v[35:36], v[35:36], v[41:42], v[95:96]
	v_fma_f64 v[77:78], v[45:46], v[37:38], -v[97:98]
	v_fma_f64 v[37:38], v[47:48], v[37:38], v[39:40]
	v_add_f64 v[39:40], v[55:56], v[69:70]
	v_add_f64 v[55:56], v[71:72], v[59:60]
	;; [unrolled: 1-line block ×7, first 2 shown]
	v_fma_f64 v[45:46], v[45:46], v[41:42], -v[53:54]
	v_fma_f64 v[41:42], v[47:48], v[41:42], v[43:44]
	v_mul_f64 v[43:44], v[5:6], v[17:18]
	v_mul_f64 v[47:48], v[3:4], v[17:18]
	;; [unrolled: 1-line block ×8, first 2 shown]
	v_add_f64 v[39:40], v[39:40], v[67:68]
	v_add_f64 v[25:26], v[25:26], v[55:56]
	;; [unrolled: 1-line block ×8, first 2 shown]
	v_fma_f64 v[23:24], v[3:4], v[15:16], -v[43:44]
	v_fma_f64 v[43:44], v[5:6], v[15:16], v[47:48]
	v_fma_f64 v[3:4], v[3:4], v[19:20], -v[51:52]
	v_fma_f64 v[5:6], v[5:6], v[19:20], v[53:54]
	;; [unrolled: 2-line block ×4, first 2 shown]
	v_add_f64 v[23:24], v[39:40], v[23:24]
	v_add_f64 v[25:26], v[43:44], v[25:26]
	;; [unrolled: 1-line block ×8, first 2 shown]
	s_cbranch_scc0 .LBB412_13
.LBB412_7:                              ; =>This Inner Loop Header: Depth=1
	v_add_nc_u32_e32 v3, s9, v28
	v_mov_b32_e32 v5, 0
	v_mov_b32_e32 v6, 0
	v_cmp_gt_i32_e64 s0, s11, v3
	v_mov_b32_e32 v3, 0
	v_mov_b32_e32 v4, 0
	s_and_b32 s6, vcc_lo, s0
	s_and_saveexec_b32 s0, s6
	s_cbranch_execz .LBB412_9
; %bb.8:                                ;   in Loop: Header=BB412_7 Depth=1
	flat_load_dwordx4 v[3:6], v[11:12]
	s_waitcnt vmcnt(0) lgkmcnt(0)
	v_xor_b32_e32 v6, 0x80000000, v6
.LBB412_9:                              ;   in Loop: Header=BB412_7 Depth=1
	s_or_b32 exec_lo, exec_lo, s0
	v_add_nc_u32_e32 v33, s9, v27
	ds_write_b128 v29, v[3:6]
	v_cmp_le_i32_e64 s0, s11, v33
	s_or_b32 s0, s0, s1
	s_and_saveexec_b32 s6, s0
	s_xor_b32 s0, exec_lo, s6
	s_cbranch_execz .LBB412_11
; %bb.10:                               ;   in Loop: Header=BB412_7 Depth=1
	v_mov_b32_e32 v3, v2
	v_mov_b32_e32 v4, v2
	;; [unrolled: 1-line block ×3, first 2 shown]
	ds_write_b128 v30, v[2:5]
.LBB412_11:                             ;   in Loop: Header=BB412_7 Depth=1
	s_andn2_saveexec_b32 s0, s0
	s_cbranch_execz .LBB412_6
; %bb.12:                               ;   in Loop: Header=BB412_7 Depth=1
	flat_load_dwordx4 v[3:6], v[13:14]
	s_waitcnt vmcnt(0) lgkmcnt(0)
	ds_write2_b64 v30, v[3:4], v[5:6] offset1:1
	s_branch .LBB412_6
.LBB412_13:
	s_clause 0x1
	s_load_dword s3, s[4:5], 0x50
	s_load_dwordx2 s[4:5], s[4:5], 0x58
	v_cmp_neq_f64_e64 s2, s[12:13], 0
	v_add_nc_u32_e32 v27, s29, v1
	v_add_nc_u32_e32 v4, s8, v0
	v_cmp_le_i32_e32 vcc_lo, v27, v4
	v_cmp_gt_i32_e64 s0, s10, v4
	v_ashrrev_i32_e32 v5, 31, v4
	s_waitcnt lgkmcnt(0)
	v_mad_i64_i32 v[0:1], null, v27, s3, 0
	s_lshl_b64 s[4:5], s[4:5], 4
	s_add_u32 s4, s22, s4
	s_addc_u32 s5, s23, s5
	s_xor_b32 s6, s28, -1
	s_or_b32 s2, s2, s6
	v_lshlrev_b64 v[0:1], 4, v[0:1]
	v_cndmask_b32_e64 v6, 0, 1, s2
	s_and_b32 s6, vcc_lo, s0
	v_add_co_u32 v13, s1, s4, v0
	v_add_co_ci_u32_e64 v14, null, s5, v1, s1
	s_and_saveexec_b32 s1, s6
	s_cbranch_execz .LBB412_17
; %bb.14:
	v_mul_f64 v[0:1], s[18:19], v[25:26]
	v_mul_f64 v[2:3], s[16:17], v[25:26]
	v_lshlrev_b64 v[11:12], 4, v[4:5]
	v_add_co_u32 v11, vcc_lo, v13, v11
	v_add_co_ci_u32_e64 v12, null, v14, v12, vcc_lo
	s_andn2_b32 vcc_lo, exec_lo, s2
	v_fma_f64 v[0:1], s[16:17], v[23:24], -v[0:1]
	v_fma_f64 v[2:3], s[18:19], v[23:24], v[2:3]
	s_cbranch_vccnz .LBB412_16
; %bb.15:
	flat_load_dwordx4 v[23:26], v[11:12]
	s_waitcnt vmcnt(0) lgkmcnt(0)
	v_mul_f64 v[28:29], s[14:15], v[25:26]
	v_mul_f64 v[25:26], s[12:13], v[25:26]
	v_fma_f64 v[28:29], s[12:13], v[23:24], -v[28:29]
	v_fma_f64 v[23:24], s[14:15], v[23:24], v[25:26]
	v_add_f64 v[0:1], v[0:1], v[28:29]
	v_add_f64 v[2:3], v[2:3], v[23:24]
.LBB412_16:
	flat_store_dwordx4 v[11:12], v[0:3]
.LBB412_17:
	s_or_b32 exec_lo, exec_lo, s1
	v_add_nc_u32_e32 v11, 16, v4
	v_cmp_le_i32_e32 vcc_lo, v27, v11
	v_cmp_gt_i32_e64 s1, s10, v11
	v_ashrrev_i32_e32 v12, 31, v11
	s_and_b32 s2, vcc_lo, s1
	s_and_saveexec_b32 s6, s2
	s_cbranch_execz .LBB412_21
; %bb.18:
	v_mul_f64 v[0:1], s[18:19], v[21:22]
	v_mul_f64 v[2:3], s[16:17], v[21:22]
	v_cmp_ne_u32_e32 vcc_lo, 1, v6
	s_and_b32 vcc_lo, exec_lo, vcc_lo
	v_fma_f64 v[0:1], s[16:17], v[19:20], -v[0:1]
	v_fma_f64 v[2:3], s[18:19], v[19:20], v[2:3]
	v_lshlrev_b64 v[19:20], 4, v[11:12]
	v_add_co_u32 v13, s2, v13, v19
	v_add_co_ci_u32_e64 v14, null, v14, v20, s2
	s_cbranch_vccnz .LBB412_20
; %bb.19:
	flat_load_dwordx4 v[19:22], v[13:14]
	s_waitcnt vmcnt(0) lgkmcnt(0)
	v_mul_f64 v[23:24], s[14:15], v[21:22]
	v_mul_f64 v[21:22], s[12:13], v[21:22]
	v_fma_f64 v[23:24], s[12:13], v[19:20], -v[23:24]
	v_fma_f64 v[19:20], s[14:15], v[19:20], v[21:22]
	v_add_f64 v[0:1], v[0:1], v[23:24]
	v_add_f64 v[2:3], v[2:3], v[19:20]
.LBB412_20:
	flat_store_dwordx4 v[13:14], v[0:3]
.LBB412_21:
	s_or_b32 exec_lo, exec_lo, s6
	v_add_nc_u32_e32 v19, 16, v27
	v_mad_i64_i32 v[0:1], null, v19, s3, 0
	v_cmp_le_i32_e32 vcc_lo, v19, v4
	s_and_b32 s0, vcc_lo, s0
	v_lshlrev_b64 v[0:1], 4, v[0:1]
	v_add_co_u32 v13, s2, s4, v0
	v_add_co_ci_u32_e64 v14, null, s5, v1, s2
	s_and_saveexec_b32 s2, s0
	s_cbranch_execz .LBB412_25
; %bb.22:
	v_mul_f64 v[0:1], s[18:19], v[17:18]
	v_mul_f64 v[2:3], s[16:17], v[17:18]
	v_lshlrev_b64 v[4:5], 4, v[4:5]
	v_cmp_ne_u32_e32 vcc_lo, 1, v6
	s_and_b32 vcc_lo, exec_lo, vcc_lo
	v_add_co_u32 v4, s0, v13, v4
	v_add_co_ci_u32_e64 v5, null, v14, v5, s0
	v_fma_f64 v[0:1], s[16:17], v[15:16], -v[0:1]
	v_fma_f64 v[2:3], s[18:19], v[15:16], v[2:3]
	s_cbranch_vccnz .LBB412_24
; %bb.23:
	flat_load_dwordx4 v[15:18], v[4:5]
	s_waitcnt vmcnt(0) lgkmcnt(0)
	v_mul_f64 v[20:21], s[14:15], v[17:18]
	v_mul_f64 v[17:18], s[12:13], v[17:18]
	v_fma_f64 v[20:21], s[12:13], v[15:16], -v[20:21]
	v_fma_f64 v[15:16], s[14:15], v[15:16], v[17:18]
	v_add_f64 v[0:1], v[0:1], v[20:21]
	v_add_f64 v[2:3], v[2:3], v[15:16]
.LBB412_24:
	flat_store_dwordx4 v[4:5], v[0:3]
.LBB412_25:
	s_or_b32 exec_lo, exec_lo, s2
	v_cmp_le_i32_e32 vcc_lo, v19, v11
	s_and_b32 s0, vcc_lo, s1
	s_and_saveexec_b32 s1, s0
	s_cbranch_execz .LBB412_30
; %bb.26:
	v_mul_f64 v[0:1], s[18:19], v[7:8]
	v_mul_f64 v[2:3], s[16:17], v[7:8]
	v_lshlrev_b64 v[4:5], 4, v[11:12]
	v_cmp_ne_u32_e32 vcc_lo, 1, v6
	s_and_b32 vcc_lo, exec_lo, vcc_lo
	v_add_co_u32 v4, s0, v13, v4
	v_add_co_ci_u32_e64 v5, null, v14, v5, s0
	v_fma_f64 v[0:1], s[16:17], v[9:10], -v[0:1]
	v_fma_f64 v[2:3], s[18:19], v[9:10], v[2:3]
	s_cbranch_vccnz .LBB412_28
; %bb.27:
	flat_load_dwordx4 v[6:9], v[4:5]
	s_waitcnt vmcnt(0) lgkmcnt(0)
	v_mul_f64 v[10:11], s[14:15], v[8:9]
	v_mul_f64 v[8:9], s[12:13], v[8:9]
	v_fma_f64 v[10:11], s[12:13], v[6:7], -v[10:11]
	v_fma_f64 v[6:7], s[14:15], v[6:7], v[8:9]
	v_add_f64 v[0:1], v[0:1], v[10:11]
	v_add_f64 v[2:3], v[2:3], v[6:7]
.LBB412_28:
	flat_store_dwordx4 v[4:5], v[0:3]
	s_endpgm
.LBB412_29:
.LBB412_30:
	s_endpgm
	.section	.rodata,"a",@progbits
	.p2align	6, 0x0
	.amdhsa_kernel _ZL29rocblas_internal_gemmt_kernelIiLi16ELi32ELi8ELc67ELc84ELc76ELb1ELb0E19rocblas_complex_numIdEPKS1_PKS3_PKPS1_EviT_T9_T10_S9_lSB_S9_lSA_T11_S9_li
		.amdhsa_group_segment_fixed_size 8192
		.amdhsa_private_segment_fixed_size 0
		.amdhsa_kernarg_size 100
		.amdhsa_user_sgpr_count 6
		.amdhsa_user_sgpr_private_segment_buffer 1
		.amdhsa_user_sgpr_dispatch_ptr 0
		.amdhsa_user_sgpr_queue_ptr 0
		.amdhsa_user_sgpr_kernarg_segment_ptr 1
		.amdhsa_user_sgpr_dispatch_id 0
		.amdhsa_user_sgpr_flat_scratch_init 0
		.amdhsa_user_sgpr_private_segment_size 0
		.amdhsa_wavefront_size32 1
		.amdhsa_uses_dynamic_stack 0
		.amdhsa_system_sgpr_private_segment_wavefront_offset 0
		.amdhsa_system_sgpr_workgroup_id_x 1
		.amdhsa_system_sgpr_workgroup_id_y 1
		.amdhsa_system_sgpr_workgroup_id_z 1
		.amdhsa_system_sgpr_workgroup_info 0
		.amdhsa_system_vgpr_workitem_id 1
		.amdhsa_next_free_vgpr 127
		.amdhsa_next_free_sgpr 31
		.amdhsa_reserve_vcc 1
		.amdhsa_reserve_flat_scratch 0
		.amdhsa_float_round_mode_32 0
		.amdhsa_float_round_mode_16_64 0
		.amdhsa_float_denorm_mode_32 3
		.amdhsa_float_denorm_mode_16_64 3
		.amdhsa_dx10_clamp 1
		.amdhsa_ieee_mode 1
		.amdhsa_fp16_overflow 0
		.amdhsa_workgroup_processor_mode 1
		.amdhsa_memory_ordered 1
		.amdhsa_forward_progress 1
		.amdhsa_shared_vgpr_count 0
		.amdhsa_exception_fp_ieee_invalid_op 0
		.amdhsa_exception_fp_denorm_src 0
		.amdhsa_exception_fp_ieee_div_zero 0
		.amdhsa_exception_fp_ieee_overflow 0
		.amdhsa_exception_fp_ieee_underflow 0
		.amdhsa_exception_fp_ieee_inexact 0
		.amdhsa_exception_int_div_zero 0
	.end_amdhsa_kernel
	.section	.text._ZL29rocblas_internal_gemmt_kernelIiLi16ELi32ELi8ELc67ELc84ELc76ELb1ELb0E19rocblas_complex_numIdEPKS1_PKS3_PKPS1_EviT_T9_T10_S9_lSB_S9_lSA_T11_S9_li,"axG",@progbits,_ZL29rocblas_internal_gemmt_kernelIiLi16ELi32ELi8ELc67ELc84ELc76ELb1ELb0E19rocblas_complex_numIdEPKS1_PKS3_PKPS1_EviT_T9_T10_S9_lSB_S9_lSA_T11_S9_li,comdat
.Lfunc_end412:
	.size	_ZL29rocblas_internal_gemmt_kernelIiLi16ELi32ELi8ELc67ELc84ELc76ELb1ELb0E19rocblas_complex_numIdEPKS1_PKS3_PKPS1_EviT_T9_T10_S9_lSB_S9_lSA_T11_S9_li, .Lfunc_end412-_ZL29rocblas_internal_gemmt_kernelIiLi16ELi32ELi8ELc67ELc84ELc76ELb1ELb0E19rocblas_complex_numIdEPKS1_PKS3_PKPS1_EviT_T9_T10_S9_lSB_S9_lSA_T11_S9_li
                                        ; -- End function
	.set _ZL29rocblas_internal_gemmt_kernelIiLi16ELi32ELi8ELc67ELc84ELc76ELb1ELb0E19rocblas_complex_numIdEPKS1_PKS3_PKPS1_EviT_T9_T10_S9_lSB_S9_lSA_T11_S9_li.num_vgpr, 127
	.set _ZL29rocblas_internal_gemmt_kernelIiLi16ELi32ELi8ELc67ELc84ELc76ELb1ELb0E19rocblas_complex_numIdEPKS1_PKS3_PKPS1_EviT_T9_T10_S9_lSB_S9_lSA_T11_S9_li.num_agpr, 0
	.set _ZL29rocblas_internal_gemmt_kernelIiLi16ELi32ELi8ELc67ELc84ELc76ELb1ELb0E19rocblas_complex_numIdEPKS1_PKS3_PKPS1_EviT_T9_T10_S9_lSB_S9_lSA_T11_S9_li.numbered_sgpr, 31
	.set _ZL29rocblas_internal_gemmt_kernelIiLi16ELi32ELi8ELc67ELc84ELc76ELb1ELb0E19rocblas_complex_numIdEPKS1_PKS3_PKPS1_EviT_T9_T10_S9_lSB_S9_lSA_T11_S9_li.num_named_barrier, 0
	.set _ZL29rocblas_internal_gemmt_kernelIiLi16ELi32ELi8ELc67ELc84ELc76ELb1ELb0E19rocblas_complex_numIdEPKS1_PKS3_PKPS1_EviT_T9_T10_S9_lSB_S9_lSA_T11_S9_li.private_seg_size, 0
	.set _ZL29rocblas_internal_gemmt_kernelIiLi16ELi32ELi8ELc67ELc84ELc76ELb1ELb0E19rocblas_complex_numIdEPKS1_PKS3_PKPS1_EviT_T9_T10_S9_lSB_S9_lSA_T11_S9_li.uses_vcc, 1
	.set _ZL29rocblas_internal_gemmt_kernelIiLi16ELi32ELi8ELc67ELc84ELc76ELb1ELb0E19rocblas_complex_numIdEPKS1_PKS3_PKPS1_EviT_T9_T10_S9_lSB_S9_lSA_T11_S9_li.uses_flat_scratch, 0
	.set _ZL29rocblas_internal_gemmt_kernelIiLi16ELi32ELi8ELc67ELc84ELc76ELb1ELb0E19rocblas_complex_numIdEPKS1_PKS3_PKPS1_EviT_T9_T10_S9_lSB_S9_lSA_T11_S9_li.has_dyn_sized_stack, 0
	.set _ZL29rocblas_internal_gemmt_kernelIiLi16ELi32ELi8ELc67ELc84ELc76ELb1ELb0E19rocblas_complex_numIdEPKS1_PKS3_PKPS1_EviT_T9_T10_S9_lSB_S9_lSA_T11_S9_li.has_recursion, 0
	.set _ZL29rocblas_internal_gemmt_kernelIiLi16ELi32ELi8ELc67ELc84ELc76ELb1ELb0E19rocblas_complex_numIdEPKS1_PKS3_PKPS1_EviT_T9_T10_S9_lSB_S9_lSA_T11_S9_li.has_indirect_call, 0
	.section	.AMDGPU.csdata,"",@progbits
; Kernel info:
; codeLenInByte = 3560
; TotalNumSgprs: 33
; NumVgprs: 127
; ScratchSize: 0
; MemoryBound: 1
; FloatMode: 240
; IeeeMode: 1
; LDSByteSize: 8192 bytes/workgroup (compile time only)
; SGPRBlocks: 0
; VGPRBlocks: 15
; NumSGPRsForWavesPerEU: 33
; NumVGPRsForWavesPerEU: 127
; Occupancy: 8
; WaveLimiterHint : 1
; COMPUTE_PGM_RSRC2:SCRATCH_EN: 0
; COMPUTE_PGM_RSRC2:USER_SGPR: 6
; COMPUTE_PGM_RSRC2:TRAP_HANDLER: 0
; COMPUTE_PGM_RSRC2:TGID_X_EN: 1
; COMPUTE_PGM_RSRC2:TGID_Y_EN: 1
; COMPUTE_PGM_RSRC2:TGID_Z_EN: 1
; COMPUTE_PGM_RSRC2:TIDIG_COMP_CNT: 1
	.section	.text._ZL29rocblas_internal_gemmt_kernelIiLi16ELi32ELi8ELc67ELc67ELc76ELb1ELb1E19rocblas_complex_numIdEPKS1_PKS3_PKPS1_EviT_T9_T10_S9_lSB_S9_lSA_T11_S9_li,"axG",@progbits,_ZL29rocblas_internal_gemmt_kernelIiLi16ELi32ELi8ELc67ELc67ELc76ELb1ELb1E19rocblas_complex_numIdEPKS1_PKS3_PKPS1_EviT_T9_T10_S9_lSB_S9_lSA_T11_S9_li,comdat
	.globl	_ZL29rocblas_internal_gemmt_kernelIiLi16ELi32ELi8ELc67ELc67ELc76ELb1ELb1E19rocblas_complex_numIdEPKS1_PKS3_PKPS1_EviT_T9_T10_S9_lSB_S9_lSA_T11_S9_li ; -- Begin function _ZL29rocblas_internal_gemmt_kernelIiLi16ELi32ELi8ELc67ELc67ELc76ELb1ELb1E19rocblas_complex_numIdEPKS1_PKS3_PKPS1_EviT_T9_T10_S9_lSB_S9_lSA_T11_S9_li
	.p2align	8
	.type	_ZL29rocblas_internal_gemmt_kernelIiLi16ELi32ELi8ELc67ELc67ELc76ELb1ELb1E19rocblas_complex_numIdEPKS1_PKS3_PKPS1_EviT_T9_T10_S9_lSB_S9_lSA_T11_S9_li,@function
_ZL29rocblas_internal_gemmt_kernelIiLi16ELi32ELi8ELc67ELc67ELc76ELb1ELb1E19rocblas_complex_numIdEPKS1_PKS3_PKPS1_EviT_T9_T10_S9_lSB_S9_lSA_T11_S9_li: ; @_ZL29rocblas_internal_gemmt_kernelIiLi16ELi32ELi8ELc67ELc67ELc76ELb1ELb1E19rocblas_complex_numIdEPKS1_PKS3_PKPS1_EviT_T9_T10_S9_lSB_S9_lSA_T11_S9_li
; %bb.0:
	s_load_dwordx4 s[20:23], s[4:5], 0x38
	s_waitcnt lgkmcnt(0)
	s_load_dwordx4 s[12:15], s[22:23], 0x0
	s_clause 0x1
	s_load_dwordx4 s[0:3], s[4:5], 0x8
	s_load_dwordx2 s[10:11], s[4:5], 0x0
	s_waitcnt lgkmcnt(0)
	s_load_dwordx4 s[16:19], s[0:1], 0x0
	v_cmp_eq_f64_e64 s9, s[12:13], 1.0
	v_cmp_eq_f64_e64 s30, s[14:15], 0
	s_and_b32 s0, s9, s30
	s_andn2_b32 vcc_lo, exec_lo, s0
	s_mov_b32 s0, -1
	s_cbranch_vccnz .LBB413_3
; %bb.1:
	s_cmp_lg_u32 s11, 0
	s_cbranch_scc0 .LBB413_27
; %bb.2:
	s_waitcnt lgkmcnt(0)
	v_cmp_neq_f64_e64 s0, s[16:17], 0
	v_cmp_neq_f64_e64 s1, s[18:19], 0
	s_or_b32 s0, s0, s1
.LBB413_3:
	s_and_b32 vcc_lo, exec_lo, s0
	s_cbranch_vccz .LBB413_28
; %bb.4:
	s_load_dwordx2 s[0:1], s[4:5], 0x48
	s_waitcnt lgkmcnt(0)
	v_cmp_eq_f64_e64 s24, s[16:17], 0
	v_cmp_eq_f64_e64 s25, s[18:19], 0
	s_mov_b32 s9, 0
	v_mov_b32_e32 v26, 0
	s_lshl_b64 s[28:29], s[8:9], 3
	v_mov_b32_e32 v28, 0
	v_mov_b32_e32 v22, 0
	;; [unrolled: 1-line block ×14, first 2 shown]
	s_add_u32 s0, s0, s28
	s_addc_u32 s1, s1, s29
	s_lshl_b32 s8, s6, 5
	s_load_dwordx2 s[22:23], s[0:1], 0x0
	s_lshl_b32 s31, s7, 5
	s_and_b32 s0, s24, s25
	s_cmp_lt_i32 s11, 1
	v_mov_b32_e32 v11, 0
	s_cselect_b32 s1, -1, 0
	s_or_b32 s0, s0, s1
	s_and_b32 vcc_lo, exec_lo, s0
	s_cbranch_vccnz .LBB413_11
; %bb.5:
	s_clause 0x2
	s_load_dword s6, s[4:5], 0x30
	s_load_dword s1, s[4:5], 0x18
	s_load_dwordx4 s[24:27], s[4:5], 0x20
	v_lshl_add_u32 v2, v1, 4, v0
	v_and_b32_e32 v30, 7, v0
	v_mov_b32_e32 v12, 0
	v_mov_b32_e32 v20, 0
	;; [unrolled: 1-line block ×3, first 2 shown]
	v_and_b32_e32 v3, 31, v2
	v_lshrrev_b32_e32 v4, 3, v2
	v_lshlrev_b32_e32 v5, 4, v30
	v_lshrrev_b32_e32 v31, 5, v2
	v_mov_b32_e32 v24, 0
	v_or_b32_e32 v6, s8, v3
	v_lshlrev_b32_e32 v7, 4, v3
	v_add_nc_u32_e32 v2, s31, v4
	v_lshl_or_b32 v4, v4, 7, v5
	v_add_nc_u32_e32 v3, s8, v3
	v_cmp_gt_i32_e32 vcc_lo, s10, v6
	v_lshl_or_b32 v32, v31, 9, v7
	v_lshlrev_b32_e32 v8, 4, v31
	v_add_nc_u32_e32 v33, 0x1000, v4
	s_waitcnt lgkmcnt(0)
	s_ashr_i32 s7, s6, 31
	v_mad_i64_i32 v[4:5], null, s1, v3, 0
	s_add_u32 s26, s26, s28
	s_addc_u32 s27, s27, s29
	s_add_u32 s2, s2, s28
	s_addc_u32 s3, s3, s29
	s_load_dwordx2 s[26:27], s[26:27], 0x0
	s_load_dwordx2 s[2:3], s[2:3], 0x0
	v_mad_i64_i32 v[6:7], null, s6, v30, 0
	v_lshlrev_b64 v[4:5], 4, v[4:5]
	s_lshl_b64 s[24:25], s[24:25], 4
	v_ashrrev_i32_e32 v3, 31, v2
	s_lshl_b64 s[20:21], s[20:21], 4
	v_cmp_gt_i32_e64 s0, s10, v2
	v_mov_b32_e32 v22, 0
	v_add_co_u32 v9, s1, v4, s24
	v_add_co_ci_u32_e64 v10, null, s25, v5, s1
	v_lshlrev_b64 v[4:5], 4, v[6:7]
	v_add_co_u32 v6, s1, v9, v8
	v_lshlrev_b64 v[2:3], 4, v[2:3]
	v_add_co_ci_u32_e64 v7, null, 0, v10, s1
	v_add_co_u32 v4, s1, v4, s20
	v_add_co_ci_u32_e64 v5, null, s21, v5, s1
	s_waitcnt lgkmcnt(0)
	v_add_co_u32 v14, s1, s2, v6
	v_add_co_ci_u32_e64 v15, null, s3, v7, s1
	v_add_co_u32 v2, s1, v4, v2
	v_add_co_ci_u32_e64 v3, null, v5, v3, s1
	v_mov_b32_e32 v10, 0
	v_add_co_u32 v16, s1, s26, v2
	v_mov_b32_e32 v28, 0
	v_mov_b32_e32 v26, 0
	v_lshlrev_b32_e32 v34, 4, v0
	v_lshl_add_u32 v35, v1, 7, 0x1000
	v_mov_b32_e32 v11, 0
	v_mov_b32_e32 v13, 0
	;; [unrolled: 1-line block ×8, first 2 shown]
	v_add_co_ci_u32_e64 v17, null, s27, v3, s1
	s_lshl_b64 s[2:3], s[6:7], 7
	s_branch .LBB413_7
.LBB413_6:                              ;   in Loop: Header=BB413_7 Depth=1
	s_or_b32 exec_lo, exec_lo, s1
	ds_write_b128 v33, v[6:9]
	s_waitcnt lgkmcnt(0)
	s_barrier
	buffer_gl0_inv
	ds_read_b128 v[2:5], v35
	ds_read_b128 v[6:9], v34
	ds_read_b128 v[36:39], v34 offset:256
	ds_read_b128 v[40:43], v35 offset:2048
	;; [unrolled: 1-line block ×12, first 2 shown]
	v_add_co_u32 v14, s1, 0x80, v14
	v_add_co_ci_u32_e64 v15, null, 0, v15, s1
	v_add_co_u32 v16, s1, v16, s2
	v_add_co_ci_u32_e64 v17, null, s3, v17, s1
	s_waitcnt lgkmcnt(12)
	v_mul_f64 v[84:85], v[4:5], v[8:9]
	v_mul_f64 v[86:87], v[2:3], v[8:9]
	s_waitcnt lgkmcnt(11)
	v_mul_f64 v[88:89], v[4:5], v[38:39]
	v_mul_f64 v[90:91], v[2:3], v[38:39]
	;; [unrolled: 3-line block ×3, first 2 shown]
	v_mul_f64 v[94:95], v[42:43], v[38:39]
	v_mul_f64 v[38:39], v[40:41], v[38:39]
	s_waitcnt lgkmcnt(8)
	v_mul_f64 v[96:97], v[46:47], v[50:51]
	v_mul_f64 v[98:99], v[44:45], v[50:51]
	s_waitcnt lgkmcnt(7)
	;; [unrolled: 3-line block ×3, first 2 shown]
	v_mul_f64 v[104:105], v[58:59], v[50:51]
	v_mul_f64 v[50:51], v[56:57], v[50:51]
	;; [unrolled: 1-line block ×4, first 2 shown]
	s_waitcnt lgkmcnt(4)
	v_mul_f64 v[108:109], v[62:63], v[66:67]
	v_mul_f64 v[110:111], v[60:61], v[66:67]
	s_waitcnt lgkmcnt(3)
	v_mul_f64 v[112:113], v[62:63], v[70:71]
	v_mul_f64 v[114:115], v[60:61], v[70:71]
	;; [unrolled: 3-line block ×3, first 2 shown]
	v_fma_f64 v[84:85], v[2:3], v[6:7], -v[84:85]
	v_fma_f64 v[86:87], v[4:5], v[6:7], v[86:87]
	v_fma_f64 v[88:89], v[2:3], v[36:37], -v[88:89]
	v_fma_f64 v[90:91], v[4:5], v[36:37], v[90:91]
	v_fma_f64 v[92:93], v[40:41], v[6:7], -v[92:93]
	v_fma_f64 v[118:119], v[42:43], v[6:7], v[8:9]
	v_fma_f64 v[94:95], v[40:41], v[36:37], -v[94:95]
	v_fma_f64 v[120:121], v[42:43], v[36:37], v[38:39]
	v_mul_f64 v[122:123], v[74:75], v[70:71]
	v_mul_f64 v[70:71], v[72:73], v[70:71]
	ds_read_b128 v[2:5], v34 offset:1536
	ds_read_b128 v[6:9], v34 offset:1792
	v_fma_f64 v[96:97], v[44:45], v[48:49], -v[96:97]
	v_fma_f64 v[98:99], v[46:47], v[48:49], v[98:99]
	v_fma_f64 v[100:101], v[44:45], v[52:53], -v[100:101]
	v_fma_f64 v[102:103], v[46:47], v[52:53], v[102:103]
	;; [unrolled: 2-line block ×7, first 2 shown]
	v_add_f64 v[26:27], v[26:27], v[84:85]
	v_add_f64 v[28:29], v[86:87], v[28:29]
	;; [unrolled: 1-line block ×4, first 2 shown]
	s_waitcnt lgkmcnt(1)
	v_mul_f64 v[108:109], v[78:79], v[4:5]
	v_mul_f64 v[110:111], v[76:77], v[4:5]
	s_waitcnt lgkmcnt(0)
	v_mul_f64 v[66:67], v[78:79], v[8:9]
	v_fma_f64 v[72:73], v[72:73], v[68:69], -v[122:123]
	v_mul_f64 v[114:115], v[82:83], v[4:5]
	v_mul_f64 v[4:5], v[80:81], v[4:5]
	v_fma_f64 v[68:69], v[74:75], v[68:69], v[70:71]
	v_add_f64 v[70:71], v[18:19], v[92:93]
	v_add_f64 v[74:75], v[118:119], v[20:21]
	;; [unrolled: 1-line block ×4, first 2 shown]
	ds_read_b128 v[36:39], v35 offset:64
	ds_read_b128 v[40:43], v34 offset:2048
	;; [unrolled: 1-line block ×3, first 2 shown]
	v_mul_f64 v[112:113], v[76:77], v[8:9]
	v_mul_f64 v[86:87], v[82:83], v[8:9]
	;; [unrolled: 1-line block ×3, first 2 shown]
	ds_read_b128 v[48:51], v35 offset:2112
	ds_read_b128 v[18:21], v35 offset:2128
	v_add_f64 v[26:27], v[26:27], v[96:97]
	v_add_f64 v[28:29], v[98:99], v[28:29]
	;; [unrolled: 1-line block ×4, first 2 shown]
	v_fma_f64 v[88:89], v[76:77], v[2:3], -v[108:109]
	v_fma_f64 v[90:91], v[78:79], v[2:3], v[110:111]
	v_fma_f64 v[66:67], v[76:77], v[6:7], -v[66:67]
	ds_read_b128 v[8:11], v35 offset:80
	ds_read_b128 v[22:25], v34 offset:2816
	s_add_i32 s9, s9, 8
	v_add_f64 v[70:71], v[70:71], v[104:105]
	v_add_f64 v[74:75], v[124:125], v[74:75]
	s_waitcnt lgkmcnt(5)
	v_mul_f64 v[76:77], v[38:39], v[42:43]
	v_mul_f64 v[94:95], v[36:37], v[42:43]
	v_add_f64 v[12:13], v[12:13], v[56:57]
	v_add_f64 v[52:53], v[52:53], v[84:85]
	v_fma_f64 v[56:57], v[80:81], v[2:3], -v[114:115]
	v_fma_f64 v[84:85], v[82:83], v[2:3], v[4:5]
	ds_read_b128 v[2:5], v34 offset:2560
	s_waitcnt lgkmcnt(5)
	v_mul_f64 v[108:109], v[38:39], v[46:47]
	v_mul_f64 v[110:111], v[36:37], v[46:47]
	v_fma_f64 v[78:79], v[78:79], v[6:7], v[112:113]
	s_waitcnt lgkmcnt(4)
	v_mul_f64 v[112:113], v[50:51], v[42:43]
	v_mul_f64 v[42:43], v[48:49], v[42:43]
	v_fma_f64 v[80:81], v[80:81], v[6:7], -v[86:87]
	v_fma_f64 v[82:83], v[82:83], v[6:7], v[92:93]
	v_add_f64 v[54:55], v[26:27], v[54:55]
	v_add_f64 v[28:29], v[58:59], v[28:29]
	v_add_f64 v[58:59], v[96:97], v[60:61]
	v_add_f64 v[60:61], v[62:63], v[98:99]
	s_waitcnt lgkmcnt(1)
	v_mul_f64 v[102:103], v[20:21], v[24:25]
	v_mul_f64 v[104:105], v[18:19], v[24:25]
	v_add_f64 v[62:63], v[70:71], v[106:107]
	v_add_f64 v[64:65], v[64:65], v[74:75]
	v_fma_f64 v[76:77], v[36:37], v[40:41], -v[76:77]
	v_fma_f64 v[86:87], v[38:39], v[40:41], v[94:95]
	v_add_f64 v[12:13], v[12:13], v[72:73]
	v_add_f64 v[52:53], v[68:69], v[52:53]
	s_waitcnt lgkmcnt(0)
	v_mul_f64 v[68:69], v[10:11], v[4:5]
	v_mul_f64 v[70:71], v[8:9], v[4:5]
	;; [unrolled: 1-line block ×3, first 2 shown]
	v_fma_f64 v[92:93], v[36:37], v[44:45], -v[108:109]
	v_fma_f64 v[94:95], v[38:39], v[44:45], v[110:111]
	v_mul_f64 v[36:37], v[50:51], v[46:47]
	v_mul_f64 v[38:39], v[48:49], v[46:47]
	v_fma_f64 v[46:47], v[48:49], v[40:41], -v[112:113]
	v_fma_f64 v[100:101], v[50:51], v[40:41], v[42:43]
	v_mul_f64 v[74:75], v[8:9], v[24:25]
	v_mul_f64 v[96:97], v[20:21], v[4:5]
	;; [unrolled: 1-line block ×3, first 2 shown]
	v_add_f64 v[28:29], v[90:91], v[28:29]
	ds_read_b128 v[4:7], v35 offset:96
	ds_read_b128 v[24:27], v34 offset:3072
	s_cmp_lt_i32 s9, s11
	v_add_f64 v[56:57], v[62:63], v[56:57]
	v_add_f64 v[12:13], v[12:13], v[80:81]
	v_add_f64 v[52:53], v[82:83], v[52:53]
	v_fma_f64 v[62:63], v[8:9], v[2:3], -v[68:69]
	v_fma_f64 v[48:49], v[48:49], v[44:45], -v[36:37]
	v_fma_f64 v[44:45], v[50:51], v[44:45], v[38:39]
	v_add_f64 v[50:51], v[54:55], v[88:89]
	v_add_f64 v[54:55], v[58:59], v[66:67]
	;; [unrolled: 1-line block ×4, first 2 shown]
	ds_read_b128 v[36:39], v34 offset:3328
	ds_read_b128 v[40:43], v35 offset:2144
	v_fma_f64 v[64:65], v[10:11], v[2:3], v[70:71]
	v_fma_f64 v[66:67], v[8:9], v[22:23], -v[72:73]
	v_fma_f64 v[68:69], v[10:11], v[22:23], v[74:75]
	v_fma_f64 v[70:71], v[18:19], v[2:3], -v[96:97]
	;; [unrolled: 2-line block ×3, first 2 shown]
	s_waitcnt lgkmcnt(2)
	v_mul_f64 v[74:75], v[6:7], v[26:27]
	v_fma_f64 v[22:23], v[20:21], v[22:23], v[104:105]
	v_mul_f64 v[78:79], v[4:5], v[26:27]
	v_add_f64 v[56:57], v[56:57], v[46:47]
	ds_read_b128 v[8:11], v35 offset:112
	ds_read_b128 v[18:21], v35 offset:2160
	v_add_f64 v[12:13], v[12:13], v[48:49]
	v_add_f64 v[48:49], v[44:45], v[52:53]
	;; [unrolled: 1-line block ×3, first 2 shown]
	s_waitcnt lgkmcnt(3)
	v_mul_f64 v[80:81], v[6:7], v[38:39]
	v_mul_f64 v[82:83], v[4:5], v[38:39]
	s_waitcnt lgkmcnt(2)
	v_mul_f64 v[84:85], v[42:43], v[26:27]
	v_mul_f64 v[88:89], v[40:41], v[26:27]
	v_add_f64 v[76:77], v[86:87], v[28:29]
	v_add_f64 v[54:55], v[54:55], v[92:93]
	;; [unrolled: 1-line block ×4, first 2 shown]
	v_mul_f64 v[52:53], v[42:43], v[38:39]
	v_mul_f64 v[38:39], v[40:41], v[38:39]
	ds_read_b128 v[26:29], v34 offset:3584
	ds_read_b128 v[44:47], v34 offset:3840
	v_fma_f64 v[74:75], v[4:5], v[24:25], -v[74:75]
	v_fma_f64 v[78:79], v[6:7], v[24:25], v[78:79]
	v_add_f64 v[56:57], v[56:57], v[70:71]
	s_waitcnt lgkmcnt(0)
	s_barrier
	buffer_gl0_inv
	v_add_f64 v[12:13], v[12:13], v[72:73]
	v_add_f64 v[22:23], v[22:23], v[48:49]
	;; [unrolled: 1-line block ×3, first 2 shown]
	v_fma_f64 v[4:5], v[4:5], v[36:37], -v[80:81]
	v_fma_f64 v[6:7], v[6:7], v[36:37], v[82:83]
	v_fma_f64 v[80:81], v[40:41], v[24:25], -v[84:85]
	v_fma_f64 v[24:25], v[42:43], v[24:25], v[88:89]
	v_add_f64 v[62:63], v[64:65], v[76:77]
	v_add_f64 v[54:55], v[54:55], v[66:67]
	;; [unrolled: 1-line block ×4, first 2 shown]
	v_fma_f64 v[40:41], v[40:41], v[36:37], -v[52:53]
	v_fma_f64 v[36:37], v[42:43], v[36:37], v[38:39]
	v_mul_f64 v[38:39], v[10:11], v[28:29]
	v_mul_f64 v[42:43], v[8:9], v[28:29]
	;; [unrolled: 1-line block ×8, first 2 shown]
	v_add_f64 v[50:51], v[50:51], v[74:75]
	v_add_f64 v[62:63], v[78:79], v[62:63]
	;; [unrolled: 1-line block ×8, first 2 shown]
	v_fma_f64 v[22:23], v[8:9], v[26:27], -v[38:39]
	v_fma_f64 v[24:25], v[10:11], v[26:27], v[42:43]
	v_fma_f64 v[8:9], v[8:9], v[44:45], -v[48:49]
	v_fma_f64 v[10:11], v[10:11], v[44:45], v[52:53]
	;; [unrolled: 2-line block ×4, first 2 shown]
	v_add_f64 v[26:27], v[50:51], v[22:23]
	v_add_f64 v[28:29], v[24:25], v[62:63]
	;; [unrolled: 1-line block ×8, first 2 shown]
	s_cbranch_scc0 .LBB413_11
.LBB413_7:                              ; =>This Inner Loop Header: Depth=1
	v_add_nc_u32_e32 v2, s9, v31
	v_mov_b32_e32 v4, 0
	v_mov_b32_e32 v5, 0
	v_cmp_gt_i32_e64 s1, s11, v2
	v_mov_b32_e32 v2, 0
	v_mov_b32_e32 v3, 0
	s_and_b32 s6, vcc_lo, s1
	s_and_saveexec_b32 s1, s6
	s_cbranch_execz .LBB413_9
; %bb.8:                                ;   in Loop: Header=BB413_7 Depth=1
	flat_load_dwordx4 v[2:5], v[14:15]
	s_waitcnt vmcnt(0) lgkmcnt(0)
	v_xor_b32_e32 v5, 0x80000000, v5
.LBB413_9:                              ;   in Loop: Header=BB413_7 Depth=1
	s_or_b32 exec_lo, exec_lo, s1
	v_add_nc_u32_e32 v6, s9, v30
	v_mov_b32_e32 v8, 0
	v_mov_b32_e32 v9, 0
	ds_write_b128 v32, v[2:5]
	v_cmp_gt_i32_e64 s1, s11, v6
	v_mov_b32_e32 v6, 0
	v_mov_b32_e32 v7, 0
	s_and_b32 s6, s1, s0
	s_and_saveexec_b32 s1, s6
	s_cbranch_execz .LBB413_6
; %bb.10:                               ;   in Loop: Header=BB413_7 Depth=1
	flat_load_dwordx4 v[6:9], v[16:17]
	s_waitcnt vmcnt(0) lgkmcnt(0)
	v_xor_b32_e32 v9, 0x80000000, v9
	s_branch .LBB413_6
.LBB413_11:
	s_clause 0x1
	s_load_dword s3, s[4:5], 0x50
	s_load_dwordx2 s[4:5], s[4:5], 0x58
	v_cmp_neq_f64_e64 s2, s[12:13], 0
	v_add_nc_u32_e32 v15, s31, v1
	v_add_nc_u32_e32 v4, s8, v0
	v_cmp_le_i32_e32 vcc_lo, v15, v4
	v_cmp_gt_i32_e64 s0, s10, v4
	v_ashrrev_i32_e32 v5, 31, v4
	s_waitcnt lgkmcnt(0)
	v_mad_i64_i32 v[0:1], null, v15, s3, 0
	s_lshl_b64 s[4:5], s[4:5], 4
	s_add_u32 s4, s22, s4
	s_addc_u32 s5, s23, s5
	s_xor_b32 s6, s30, -1
	s_or_b32 s2, s2, s6
	v_lshlrev_b64 v[0:1], 4, v[0:1]
	v_cndmask_b32_e64 v14, 0, 1, s2
	s_and_b32 s6, vcc_lo, s0
	v_add_co_u32 v8, s1, s4, v0
	v_add_co_ci_u32_e64 v9, null, s5, v1, s1
	s_and_saveexec_b32 s1, s6
	s_cbranch_execz .LBB413_15
; %bb.12:
	v_mul_f64 v[0:1], s[18:19], v[28:29]
	v_mul_f64 v[2:3], s[16:17], v[28:29]
	v_lshlrev_b64 v[6:7], 4, v[4:5]
	v_add_co_u32 v6, vcc_lo, v8, v6
	v_add_co_ci_u32_e64 v7, null, v9, v7, vcc_lo
	s_andn2_b32 vcc_lo, exec_lo, s2
	v_fma_f64 v[0:1], s[16:17], v[26:27], -v[0:1]
	v_fma_f64 v[2:3], s[18:19], v[26:27], v[2:3]
	s_cbranch_vccnz .LBB413_14
; %bb.13:
	flat_load_dwordx4 v[26:29], v[6:7]
	s_waitcnt vmcnt(0) lgkmcnt(0)
	v_mul_f64 v[16:17], s[14:15], v[28:29]
	v_mul_f64 v[28:29], s[12:13], v[28:29]
	v_fma_f64 v[16:17], s[12:13], v[26:27], -v[16:17]
	v_fma_f64 v[26:27], s[14:15], v[26:27], v[28:29]
	v_add_f64 v[0:1], v[0:1], v[16:17]
	v_add_f64 v[2:3], v[2:3], v[26:27]
.LBB413_14:
	flat_store_dwordx4 v[6:7], v[0:3]
.LBB413_15:
	s_or_b32 exec_lo, exec_lo, s1
	v_add_nc_u32_e32 v6, 16, v4
	v_cmp_le_i32_e32 vcc_lo, v15, v6
	v_cmp_gt_i32_e64 s1, s10, v6
	v_ashrrev_i32_e32 v7, 31, v6
	s_and_b32 s2, vcc_lo, s1
	s_and_saveexec_b32 s6, s2
	s_cbranch_execz .LBB413_19
; %bb.16:
	v_mul_f64 v[0:1], s[18:19], v[24:25]
	v_mul_f64 v[2:3], s[16:17], v[24:25]
	v_lshlrev_b64 v[16:17], 4, v[6:7]
	v_cmp_ne_u32_e32 vcc_lo, 1, v14
	s_and_b32 vcc_lo, exec_lo, vcc_lo
	v_add_co_u32 v8, s2, v8, v16
	v_add_co_ci_u32_e64 v9, null, v9, v17, s2
	v_fma_f64 v[0:1], s[16:17], v[22:23], -v[0:1]
	v_fma_f64 v[2:3], s[18:19], v[22:23], v[2:3]
	s_cbranch_vccnz .LBB413_18
; %bb.17:
	flat_load_dwordx4 v[22:25], v[8:9]
	s_waitcnt vmcnt(0) lgkmcnt(0)
	v_mul_f64 v[16:17], s[14:15], v[24:25]
	v_mul_f64 v[24:25], s[12:13], v[24:25]
	v_fma_f64 v[16:17], s[12:13], v[22:23], -v[16:17]
	v_fma_f64 v[22:23], s[14:15], v[22:23], v[24:25]
	v_add_f64 v[0:1], v[0:1], v[16:17]
	v_add_f64 v[2:3], v[2:3], v[22:23]
.LBB413_18:
	flat_store_dwordx4 v[8:9], v[0:3]
.LBB413_19:
	s_or_b32 exec_lo, exec_lo, s6
	v_add_nc_u32_e32 v15, 16, v15
	v_mad_i64_i32 v[0:1], null, v15, s3, 0
	v_cmp_le_i32_e32 vcc_lo, v15, v4
	s_and_b32 s0, vcc_lo, s0
	v_lshlrev_b64 v[0:1], 4, v[0:1]
	v_add_co_u32 v8, s2, s4, v0
	v_add_co_ci_u32_e64 v9, null, s5, v1, s2
	s_and_saveexec_b32 s2, s0
	s_cbranch_execz .LBB413_23
; %bb.20:
	v_mul_f64 v[0:1], s[18:19], v[20:21]
	v_mul_f64 v[2:3], s[16:17], v[20:21]
	v_lshlrev_b64 v[4:5], 4, v[4:5]
	v_cmp_ne_u32_e32 vcc_lo, 1, v14
	s_and_b32 vcc_lo, exec_lo, vcc_lo
	v_add_co_u32 v4, s0, v8, v4
	v_add_co_ci_u32_e64 v5, null, v9, v5, s0
	v_fma_f64 v[0:1], s[16:17], v[18:19], -v[0:1]
	v_fma_f64 v[2:3], s[18:19], v[18:19], v[2:3]
	s_cbranch_vccnz .LBB413_22
; %bb.21:
	flat_load_dwordx4 v[16:19], v[4:5]
	s_waitcnt vmcnt(0) lgkmcnt(0)
	v_mul_f64 v[20:21], s[14:15], v[18:19]
	v_mul_f64 v[18:19], s[12:13], v[18:19]
	v_fma_f64 v[20:21], s[12:13], v[16:17], -v[20:21]
	v_fma_f64 v[16:17], s[14:15], v[16:17], v[18:19]
	v_add_f64 v[0:1], v[0:1], v[20:21]
	v_add_f64 v[2:3], v[2:3], v[16:17]
.LBB413_22:
	flat_store_dwordx4 v[4:5], v[0:3]
.LBB413_23:
	s_or_b32 exec_lo, exec_lo, s2
	v_cmp_le_i32_e32 vcc_lo, v15, v6
	s_and_b32 s0, vcc_lo, s1
	s_and_saveexec_b32 s1, s0
	s_cbranch_execz .LBB413_28
; %bb.24:
	v_mul_f64 v[0:1], s[18:19], v[10:11]
	v_mul_f64 v[2:3], s[16:17], v[10:11]
	v_lshlrev_b64 v[4:5], 4, v[6:7]
	v_cmp_ne_u32_e32 vcc_lo, 1, v14
	s_and_b32 vcc_lo, exec_lo, vcc_lo
	v_add_co_u32 v4, s0, v8, v4
	v_add_co_ci_u32_e64 v5, null, v9, v5, s0
	v_fma_f64 v[0:1], s[16:17], v[12:13], -v[0:1]
	v_fma_f64 v[2:3], s[18:19], v[12:13], v[2:3]
	s_cbranch_vccnz .LBB413_26
; %bb.25:
	flat_load_dwordx4 v[6:9], v[4:5]
	s_waitcnt vmcnt(0) lgkmcnt(0)
	v_mul_f64 v[10:11], s[14:15], v[8:9]
	v_mul_f64 v[8:9], s[12:13], v[8:9]
	v_fma_f64 v[10:11], s[12:13], v[6:7], -v[10:11]
	v_fma_f64 v[6:7], s[14:15], v[6:7], v[8:9]
	v_add_f64 v[0:1], v[0:1], v[10:11]
	v_add_f64 v[2:3], v[2:3], v[6:7]
.LBB413_26:
	flat_store_dwordx4 v[4:5], v[0:3]
	s_endpgm
.LBB413_27:
.LBB413_28:
	s_endpgm
	.section	.rodata,"a",@progbits
	.p2align	6, 0x0
	.amdhsa_kernel _ZL29rocblas_internal_gemmt_kernelIiLi16ELi32ELi8ELc67ELc67ELc76ELb1ELb1E19rocblas_complex_numIdEPKS1_PKS3_PKPS1_EviT_T9_T10_S9_lSB_S9_lSA_T11_S9_li
		.amdhsa_group_segment_fixed_size 8192
		.amdhsa_private_segment_fixed_size 0
		.amdhsa_kernarg_size 100
		.amdhsa_user_sgpr_count 6
		.amdhsa_user_sgpr_private_segment_buffer 1
		.amdhsa_user_sgpr_dispatch_ptr 0
		.amdhsa_user_sgpr_queue_ptr 0
		.amdhsa_user_sgpr_kernarg_segment_ptr 1
		.amdhsa_user_sgpr_dispatch_id 0
		.amdhsa_user_sgpr_flat_scratch_init 0
		.amdhsa_user_sgpr_private_segment_size 0
		.amdhsa_wavefront_size32 1
		.amdhsa_uses_dynamic_stack 0
		.amdhsa_system_sgpr_private_segment_wavefront_offset 0
		.amdhsa_system_sgpr_workgroup_id_x 1
		.amdhsa_system_sgpr_workgroup_id_y 1
		.amdhsa_system_sgpr_workgroup_id_z 1
		.amdhsa_system_sgpr_workgroup_info 0
		.amdhsa_system_vgpr_workitem_id 1
		.amdhsa_next_free_vgpr 126
		.amdhsa_next_free_sgpr 32
		.amdhsa_reserve_vcc 1
		.amdhsa_reserve_flat_scratch 0
		.amdhsa_float_round_mode_32 0
		.amdhsa_float_round_mode_16_64 0
		.amdhsa_float_denorm_mode_32 3
		.amdhsa_float_denorm_mode_16_64 3
		.amdhsa_dx10_clamp 1
		.amdhsa_ieee_mode 1
		.amdhsa_fp16_overflow 0
		.amdhsa_workgroup_processor_mode 1
		.amdhsa_memory_ordered 1
		.amdhsa_forward_progress 1
		.amdhsa_shared_vgpr_count 0
		.amdhsa_exception_fp_ieee_invalid_op 0
		.amdhsa_exception_fp_denorm_src 0
		.amdhsa_exception_fp_ieee_div_zero 0
		.amdhsa_exception_fp_ieee_overflow 0
		.amdhsa_exception_fp_ieee_underflow 0
		.amdhsa_exception_fp_ieee_inexact 0
		.amdhsa_exception_int_div_zero 0
	.end_amdhsa_kernel
	.section	.text._ZL29rocblas_internal_gemmt_kernelIiLi16ELi32ELi8ELc67ELc67ELc76ELb1ELb1E19rocblas_complex_numIdEPKS1_PKS3_PKPS1_EviT_T9_T10_S9_lSB_S9_lSA_T11_S9_li,"axG",@progbits,_ZL29rocblas_internal_gemmt_kernelIiLi16ELi32ELi8ELc67ELc67ELc76ELb1ELb1E19rocblas_complex_numIdEPKS1_PKS3_PKPS1_EviT_T9_T10_S9_lSB_S9_lSA_T11_S9_li,comdat
.Lfunc_end413:
	.size	_ZL29rocblas_internal_gemmt_kernelIiLi16ELi32ELi8ELc67ELc67ELc76ELb1ELb1E19rocblas_complex_numIdEPKS1_PKS3_PKPS1_EviT_T9_T10_S9_lSB_S9_lSA_T11_S9_li, .Lfunc_end413-_ZL29rocblas_internal_gemmt_kernelIiLi16ELi32ELi8ELc67ELc67ELc76ELb1ELb1E19rocblas_complex_numIdEPKS1_PKS3_PKPS1_EviT_T9_T10_S9_lSB_S9_lSA_T11_S9_li
                                        ; -- End function
	.set _ZL29rocblas_internal_gemmt_kernelIiLi16ELi32ELi8ELc67ELc67ELc76ELb1ELb1E19rocblas_complex_numIdEPKS1_PKS3_PKPS1_EviT_T9_T10_S9_lSB_S9_lSA_T11_S9_li.num_vgpr, 126
	.set _ZL29rocblas_internal_gemmt_kernelIiLi16ELi32ELi8ELc67ELc67ELc76ELb1ELb1E19rocblas_complex_numIdEPKS1_PKS3_PKPS1_EviT_T9_T10_S9_lSB_S9_lSA_T11_S9_li.num_agpr, 0
	.set _ZL29rocblas_internal_gemmt_kernelIiLi16ELi32ELi8ELc67ELc67ELc76ELb1ELb1E19rocblas_complex_numIdEPKS1_PKS3_PKPS1_EviT_T9_T10_S9_lSB_S9_lSA_T11_S9_li.numbered_sgpr, 32
	.set _ZL29rocblas_internal_gemmt_kernelIiLi16ELi32ELi8ELc67ELc67ELc76ELb1ELb1E19rocblas_complex_numIdEPKS1_PKS3_PKPS1_EviT_T9_T10_S9_lSB_S9_lSA_T11_S9_li.num_named_barrier, 0
	.set _ZL29rocblas_internal_gemmt_kernelIiLi16ELi32ELi8ELc67ELc67ELc76ELb1ELb1E19rocblas_complex_numIdEPKS1_PKS3_PKPS1_EviT_T9_T10_S9_lSB_S9_lSA_T11_S9_li.private_seg_size, 0
	.set _ZL29rocblas_internal_gemmt_kernelIiLi16ELi32ELi8ELc67ELc67ELc76ELb1ELb1E19rocblas_complex_numIdEPKS1_PKS3_PKPS1_EviT_T9_T10_S9_lSB_S9_lSA_T11_S9_li.uses_vcc, 1
	.set _ZL29rocblas_internal_gemmt_kernelIiLi16ELi32ELi8ELc67ELc67ELc76ELb1ELb1E19rocblas_complex_numIdEPKS1_PKS3_PKPS1_EviT_T9_T10_S9_lSB_S9_lSA_T11_S9_li.uses_flat_scratch, 0
	.set _ZL29rocblas_internal_gemmt_kernelIiLi16ELi32ELi8ELc67ELc67ELc76ELb1ELb1E19rocblas_complex_numIdEPKS1_PKS3_PKPS1_EviT_T9_T10_S9_lSB_S9_lSA_T11_S9_li.has_dyn_sized_stack, 0
	.set _ZL29rocblas_internal_gemmt_kernelIiLi16ELi32ELi8ELc67ELc67ELc76ELb1ELb1E19rocblas_complex_numIdEPKS1_PKS3_PKPS1_EviT_T9_T10_S9_lSB_S9_lSA_T11_S9_li.has_recursion, 0
	.set _ZL29rocblas_internal_gemmt_kernelIiLi16ELi32ELi8ELc67ELc67ELc76ELb1ELb1E19rocblas_complex_numIdEPKS1_PKS3_PKPS1_EviT_T9_T10_S9_lSB_S9_lSA_T11_S9_li.has_indirect_call, 0
	.section	.AMDGPU.csdata,"",@progbits
; Kernel info:
; codeLenInByte = 3548
; TotalNumSgprs: 34
; NumVgprs: 126
; ScratchSize: 0
; MemoryBound: 1
; FloatMode: 240
; IeeeMode: 1
; LDSByteSize: 8192 bytes/workgroup (compile time only)
; SGPRBlocks: 0
; VGPRBlocks: 15
; NumSGPRsForWavesPerEU: 34
; NumVGPRsForWavesPerEU: 126
; Occupancy: 8
; WaveLimiterHint : 1
; COMPUTE_PGM_RSRC2:SCRATCH_EN: 0
; COMPUTE_PGM_RSRC2:USER_SGPR: 6
; COMPUTE_PGM_RSRC2:TRAP_HANDLER: 0
; COMPUTE_PGM_RSRC2:TGID_X_EN: 1
; COMPUTE_PGM_RSRC2:TGID_Y_EN: 1
; COMPUTE_PGM_RSRC2:TGID_Z_EN: 1
; COMPUTE_PGM_RSRC2:TIDIG_COMP_CNT: 1
	.section	.text._ZL29rocblas_internal_gemmt_kernelIiLi16ELi32ELi8ELc78ELc78ELc85ELb0ELb0E19rocblas_complex_numIdES1_PKPKS1_PKPS1_EviT_T9_T10_S9_lSB_S9_lSA_T11_S9_li,"axG",@progbits,_ZL29rocblas_internal_gemmt_kernelIiLi16ELi32ELi8ELc78ELc78ELc85ELb0ELb0E19rocblas_complex_numIdES1_PKPKS1_PKPS1_EviT_T9_T10_S9_lSB_S9_lSA_T11_S9_li,comdat
	.globl	_ZL29rocblas_internal_gemmt_kernelIiLi16ELi32ELi8ELc78ELc78ELc85ELb0ELb0E19rocblas_complex_numIdES1_PKPKS1_PKPS1_EviT_T9_T10_S9_lSB_S9_lSA_T11_S9_li ; -- Begin function _ZL29rocblas_internal_gemmt_kernelIiLi16ELi32ELi8ELc78ELc78ELc85ELb0ELb0E19rocblas_complex_numIdES1_PKPKS1_PKPS1_EviT_T9_T10_S9_lSB_S9_lSA_T11_S9_li
	.p2align	8
	.type	_ZL29rocblas_internal_gemmt_kernelIiLi16ELi32ELi8ELc78ELc78ELc85ELb0ELb0E19rocblas_complex_numIdES1_PKPKS1_PKPS1_EviT_T9_T10_S9_lSB_S9_lSA_T11_S9_li,@function
_ZL29rocblas_internal_gemmt_kernelIiLi16ELi32ELi8ELc78ELc78ELc85ELb0ELb0E19rocblas_complex_numIdES1_PKPKS1_PKPS1_EviT_T9_T10_S9_lSB_S9_lSA_T11_S9_li: ; @_ZL29rocblas_internal_gemmt_kernelIiLi16ELi32ELi8ELc78ELc78ELc85ELb0ELb0E19rocblas_complex_numIdES1_PKPKS1_PKPS1_EviT_T9_T10_S9_lSB_S9_lSA_T11_S9_li
; %bb.0:
	s_clause 0x2
	s_load_dwordx8 s[12:19], s[4:5], 0x40
	s_load_dwordx2 s[2:3], s[4:5], 0x0
	s_load_dwordx4 s[20:23], s[4:5], 0x8
	s_waitcnt lgkmcnt(0)
	v_cmp_eq_f64_e64 s0, s[14:15], 1.0
	v_cmp_eq_f64_e64 s30, s[16:17], 0
	s_and_b32 s0, s0, s30
	s_andn2_b32 vcc_lo, exec_lo, s0
	s_mov_b32 s0, -1
	s_cbranch_vccnz .LBB414_3
; %bb.1:
	s_cmp_lg_u32 s3, 0
	s_cbranch_scc0 .LBB414_31
; %bb.2:
	v_cmp_neq_f64_e64 s0, s[20:21], 0
	v_cmp_neq_f64_e64 s1, s[22:23], 0
	s_or_b32 s0, s0, s1
.LBB414_3:
	s_and_b32 vcc_lo, exec_lo, s0
	s_cbranch_vccz .LBB414_32
; %bb.4:
	v_cmp_eq_f64_e64 s24, s[20:21], 0
	v_cmp_eq_f64_e64 s25, s[22:23], 0
	s_mov_b32 s9, 0
	v_mov_b32_e32 v22, 0
	s_lshl_b64 s[28:29], s[8:9], 3
	v_mov_b32_e32 v24, 0
	s_add_u32 s0, s18, s28
	s_addc_u32 s1, s19, s29
	s_lshl_b32 s8, s6, 5
	s_load_dwordx2 s[10:11], s[0:1], 0x0
	s_lshl_b32 s18, s7, 5
	v_mov_b32_e32 v18, 0
	v_mov_b32_e32 v20, 0
	v_mov_b32_e32 v14, 0
	v_mov_b32_e32 v16, 0
	v_mov_b32_e32 v8, 0
	v_mov_b32_e32 v6, 0
	v_mov_b32_e32 v23, 0
	v_mov_b32_e32 v25, 0
	v_mov_b32_e32 v19, 0
	v_mov_b32_e32 v21, 0
	v_mov_b32_e32 v15, 0
	v_mov_b32_e32 v17, 0
	s_and_b32 s0, s24, s25
	s_cmp_lt_i32 s3, 1
	v_mov_b32_e32 v9, 0
	s_cselect_b32 s1, -1, 0
	v_mov_b32_e32 v7, 0
	s_or_b32 s0, s0, s1
	s_and_b32 vcc_lo, exec_lo, s0
	s_cbranch_vccnz .LBB414_15
; %bb.5:
	s_clause 0x3
	s_load_dword s6, s[4:5], 0x20
	s_load_dword s1, s[4:5], 0x38
	s_load_dwordx4 s[24:27], s[4:5], 0x28
	s_load_dwordx2 s[34:35], s[4:5], 0x18
	v_lshl_add_u32 v2, v1, 4, v0
	v_and_b32_e32 v26, 7, v0
	v_mov_b32_e32 v16, 0
	v_mov_b32_e32 v14, 0
	;; [unrolled: 1-line block ×3, first 2 shown]
	v_and_b32_e32 v6, 31, v2
	v_lshrrev_b32_e32 v3, 3, v2
	v_lshrrev_b32_e32 v27, 5, v2
	v_lshlrev_b32_e32 v8, 4, v26
	v_mov_b32_e32 v18, 0
	v_or_b32_e32 v2, s8, v6
	v_lshlrev_b32_e32 v4, 4, v6
	v_add_nc_u32_e32 v5, s18, v3
	v_lshl_or_b32 v7, v3, 7, v8
	v_add_nc_u32_e32 v6, s8, v6
	v_cmp_gt_i32_e32 vcc_lo, s2, v2
	v_lshl_or_b32 v28, v27, 9, v4
	s_waitcnt lgkmcnt(0)
	v_mad_i64_i32 v[2:3], null, v27, s6, 0
	s_ashr_i32 s7, s6, 31
	s_add_u32 s26, s26, s28
	s_addc_u32 s27, s27, s29
	v_cmp_gt_i32_e64 s0, s2, v5
	s_add_u32 s28, s34, s28
	v_mad_i64_i32 v[4:5], null, s1, v5, 0
	s_addc_u32 s29, s35, s29
	s_load_dwordx2 s[26:27], s[26:27], 0x0
	s_load_dwordx2 s[28:29], s[28:29], 0x0
	v_lshlrev_b64 v[2:3], 4, v[2:3]
	v_add_nc_u32_e32 v29, 0x1000, v7
	v_ashrrev_i32_e32 v7, 31, v6
	s_lshl_b64 s[24:25], s[24:25], 4
	v_lshlrev_b64 v[4:5], 4, v[4:5]
	s_lshl_b64 s[12:13], s[12:13], 4
	v_add_co_u32 v9, s1, v2, s24
	v_add_co_ci_u32_e64 v10, null, s25, v3, s1
	v_lshlrev_b64 v[2:3], 4, v[6:7]
	v_add_co_u32 v4, s1, v4, s12
	v_add_co_ci_u32_e64 v5, null, s13, v5, s1
	v_mov_b32_e32 v6, 0
	v_add_co_u32 v2, s1, v9, v2
	v_add_co_ci_u32_e64 v3, null, v10, v3, s1
	v_add_co_u32 v4, s1, v4, v8
	v_add_co_ci_u32_e64 v5, null, 0, v5, s1
	s_waitcnt lgkmcnt(0)
	v_add_co_u32 v10, s1, s28, v2
	v_add_co_ci_u32_e64 v11, null, s29, v3, s1
	v_add_co_u32 v12, s1, s26, v4
	v_mov_b32_e32 v8, 0
	v_mov_b32_e32 v24, 0
	;; [unrolled: 1-line block ×3, first 2 shown]
	v_lshlrev_b32_e32 v30, 4, v0
	v_lshl_add_u32 v31, v1, 7, 0x1000
	v_add_co_ci_u32_e64 v13, null, s27, v5, s1
	v_mov_b32_e32 v7, 0
	v_mov_b32_e32 v9, 0
	;; [unrolled: 1-line block ×9, first 2 shown]
	s_lshl_b64 s[6:7], s[6:7], 7
	s_xor_b32 s1, vcc_lo, -1
	s_xor_b32 s0, s0, -1
	s_branch .LBB414_7
.LBB414_6:                              ;   in Loop: Header=BB414_7 Depth=1
	s_or_b32 exec_lo, exec_lo, s12
	s_waitcnt lgkmcnt(0)
	s_barrier
	buffer_gl0_inv
	ds_read_b128 v[32:35], v31
	ds_read_b128 v[36:39], v30
	ds_read_b128 v[40:43], v30 offset:256
	ds_read_b128 v[44:47], v31 offset:2048
	;; [unrolled: 1-line block ×12, first 2 shown]
	v_add_co_u32 v10, vcc_lo, v10, s6
	v_add_co_ci_u32_e64 v11, null, s7, v11, vcc_lo
	v_add_co_u32 v12, vcc_lo, 0x80, v12
	v_add_co_ci_u32_e64 v13, null, 0, v13, vcc_lo
	s_waitcnt lgkmcnt(12)
	v_mul_f64 v[3:4], v[34:35], v[38:39]
	v_mul_f64 v[88:89], v[32:33], v[38:39]
	s_waitcnt lgkmcnt(11)
	v_mul_f64 v[90:91], v[34:35], v[42:43]
	v_mul_f64 v[92:93], v[32:33], v[42:43]
	;; [unrolled: 3-line block ×3, first 2 shown]
	v_mul_f64 v[96:97], v[46:47], v[42:43]
	v_mul_f64 v[42:43], v[44:45], v[42:43]
	s_waitcnt lgkmcnt(8)
	v_mul_f64 v[98:99], v[50:51], v[54:55]
	v_mul_f64 v[100:101], v[48:49], v[54:55]
	s_waitcnt lgkmcnt(7)
	;; [unrolled: 3-line block ×3, first 2 shown]
	v_mul_f64 v[106:107], v[62:63], v[54:55]
	v_mul_f64 v[54:55], v[60:61], v[54:55]
	;; [unrolled: 1-line block ×4, first 2 shown]
	s_waitcnt lgkmcnt(4)
	v_mul_f64 v[110:111], v[66:67], v[70:71]
	v_mul_f64 v[112:113], v[64:65], v[70:71]
	s_waitcnt lgkmcnt(3)
	v_mul_f64 v[114:115], v[66:67], v[74:75]
	v_mul_f64 v[116:117], v[64:65], v[74:75]
	;; [unrolled: 3-line block ×3, first 2 shown]
	v_fma_f64 v[3:4], v[32:33], v[36:37], -v[3:4]
	v_fma_f64 v[88:89], v[34:35], v[36:37], v[88:89]
	v_fma_f64 v[90:91], v[32:33], v[40:41], -v[90:91]
	v_fma_f64 v[92:93], v[34:35], v[40:41], v[92:93]
	;; [unrolled: 2-line block ×4, first 2 shown]
	v_mul_f64 v[124:125], v[78:79], v[74:75]
	v_mul_f64 v[74:75], v[76:77], v[74:75]
	ds_read_b128 v[32:35], v30 offset:1536
	ds_read_b128 v[36:39], v30 offset:1792
	v_fma_f64 v[98:99], v[48:49], v[52:53], -v[98:99]
	v_fma_f64 v[100:101], v[50:51], v[52:53], v[100:101]
	v_fma_f64 v[102:103], v[48:49], v[56:57], -v[102:103]
	v_fma_f64 v[104:105], v[50:51], v[56:57], v[104:105]
	;; [unrolled: 2-line block ×7, first 2 shown]
	v_add_f64 v[22:23], v[22:23], v[3:4]
	v_add_f64 v[24:25], v[88:89], v[24:25]
	;; [unrolled: 1-line block ×4, first 2 shown]
	s_waitcnt lgkmcnt(1)
	v_mul_f64 v[110:111], v[82:83], v[34:35]
	v_mul_f64 v[112:113], v[80:81], v[34:35]
	s_waitcnt lgkmcnt(0)
	v_mul_f64 v[70:71], v[82:83], v[38:39]
	v_fma_f64 v[76:77], v[76:77], v[72:73], -v[124:125]
	v_fma_f64 v[72:73], v[78:79], v[72:73], v[74:75]
	v_add_f64 v[74:75], v[14:15], v[94:95]
	v_add_f64 v[78:79], v[120:121], v[16:17]
	;; [unrolled: 1-line block ×4, first 2 shown]
	ds_read_b128 v[40:43], v31 offset:64
	ds_read_b128 v[44:47], v30 offset:2048
	;; [unrolled: 1-line block ×3, first 2 shown]
	v_mul_f64 v[114:115], v[80:81], v[38:39]
	v_mul_f64 v[116:117], v[86:87], v[34:35]
	;; [unrolled: 1-line block ×5, first 2 shown]
	ds_read_b128 v[52:55], v31 offset:2112
	ds_read_b128 v[14:17], v31 offset:2128
	v_add_f64 v[98:99], v[22:23], v[98:99]
	v_add_f64 v[100:101], v[100:101], v[24:25]
	;; [unrolled: 1-line block ×4, first 2 shown]
	v_fma_f64 v[92:93], v[80:81], v[32:33], -v[110:111]
	v_fma_f64 v[94:95], v[82:83], v[32:33], v[112:113]
	v_fma_f64 v[70:71], v[80:81], v[36:37], -v[70:71]
	ds_read_b128 v[18:21], v30 offset:2560
	ds_read_b128 v[3:6], v31 offset:80
	;; [unrolled: 1-line block ×3, first 2 shown]
	v_add_f64 v[74:75], v[74:75], v[106:107]
	s_waitcnt lgkmcnt(6)
	v_mul_f64 v[80:81], v[42:43], v[46:47]
	v_mul_f64 v[96:97], v[40:41], v[46:47]
	s_waitcnt lgkmcnt(5)
	v_mul_f64 v[110:111], v[42:43], v[50:51]
	v_mul_f64 v[112:113], v[40:41], v[50:51]
	v_add_f64 v[78:79], v[126:127], v[78:79]
	v_add_f64 v[7:8], v[8:9], v[60:61]
	;; [unrolled: 1-line block ×3, first 2 shown]
	v_fma_f64 v[82:83], v[82:83], v[36:37], v[114:115]
	s_waitcnt lgkmcnt(4)
	v_mul_f64 v[114:115], v[54:55], v[46:47]
	v_mul_f64 v[46:47], v[52:53], v[46:47]
	v_fma_f64 v[60:61], v[84:85], v[32:33], -v[116:117]
	v_fma_f64 v[88:89], v[86:87], v[32:33], v[34:35]
	v_fma_f64 v[84:85], v[84:85], v[36:37], -v[90:91]
	v_fma_f64 v[86:87], v[86:87], v[36:37], v[38:39]
	v_add_f64 v[58:59], v[98:99], v[58:59]
	v_add_f64 v[62:63], v[62:63], v[100:101]
	;; [unrolled: 1-line block ×4, first 2 shown]
	s_waitcnt lgkmcnt(0)
	v_mul_f64 v[98:99], v[3:4], v[24:25]
	v_mul_f64 v[100:101], v[16:17], v[20:21]
	;; [unrolled: 1-line block ×3, first 2 shown]
	v_add_f64 v[74:75], v[74:75], v[108:109]
	v_fma_f64 v[80:81], v[40:41], v[44:45], -v[80:81]
	v_fma_f64 v[90:91], v[42:43], v[44:45], v[96:97]
	v_fma_f64 v[96:97], v[40:41], v[48:49], -v[110:111]
	v_fma_f64 v[106:107], v[42:43], v[48:49], v[112:113]
	v_mul_f64 v[40:41], v[54:55], v[50:51]
	v_mul_f64 v[42:43], v[52:53], v[50:51]
	v_add_f64 v[68:69], v[68:69], v[78:79]
	v_add_f64 v[7:8], v[7:8], v[76:77]
	;; [unrolled: 1-line block ×3, first 2 shown]
	v_fma_f64 v[50:51], v[52:53], v[44:45], -v[114:115]
	v_fma_f64 v[110:111], v[54:55], v[44:45], v[46:47]
	v_mul_f64 v[72:73], v[5:6], v[20:21]
	v_mul_f64 v[76:77], v[3:4], v[20:21]
	;; [unrolled: 1-line block ×5, first 2 shown]
	ds_read_b128 v[32:35], v31 offset:96
	ds_read_b128 v[36:39], v30 offset:3072
	s_add_i32 s9, s9, 8
	s_cmp_lt_i32 s9, s3
	v_add_f64 v[60:61], v[74:75], v[60:61]
	v_fma_f64 v[74:75], v[5:6], v[22:23], v[98:99]
	v_fma_f64 v[52:53], v[52:53], v[48:49], -v[40:41]
	v_fma_f64 v[48:49], v[54:55], v[48:49], v[42:43]
	v_add_f64 v[54:55], v[58:59], v[92:93]
	v_add_f64 v[58:59], v[94:95], v[62:63]
	;; [unrolled: 1-line block ×7, first 2 shown]
	ds_read_b128 v[40:43], v30 offset:3328
	ds_read_b128 v[44:47], v31 offset:2144
	v_fma_f64 v[68:69], v[3:4], v[18:19], -v[72:73]
	v_fma_f64 v[70:71], v[5:6], v[18:19], v[76:77]
	v_fma_f64 v[72:73], v[3:4], v[22:23], -v[78:79]
	v_fma_f64 v[76:77], v[14:15], v[18:19], -v[100:101]
	v_fma_f64 v[78:79], v[16:17], v[18:19], v[20:21]
	v_fma_f64 v[82:83], v[14:15], v[22:23], -v[102:103]
	s_waitcnt lgkmcnt(2)
	v_mul_f64 v[84:85], v[34:35], v[38:39]
	v_fma_f64 v[86:87], v[16:17], v[22:23], v[24:25]
	v_mul_f64 v[88:89], v[32:33], v[38:39]
	v_add_f64 v[50:51], v[60:61], v[50:51]
	ds_read_b128 v[3:6], v31 offset:112
	ds_read_b128 v[14:17], v31 offset:2160
	;; [unrolled: 1-line block ×4, first 2 shown]
	s_waitcnt lgkmcnt(0)
	v_add_f64 v[54:55], v[54:55], v[80:81]
	v_add_f64 v[58:59], v[90:91], v[58:59]
	;; [unrolled: 1-line block ×4, first 2 shown]
	v_mul_f64 v[92:93], v[34:35], v[42:43]
	v_mul_f64 v[94:95], v[32:33], v[42:43]
	;; [unrolled: 1-line block ×4, first 2 shown]
	v_add_f64 v[60:61], v[110:111], v[66:67]
	v_add_f64 v[7:8], v[7:8], v[52:53]
	;; [unrolled: 1-line block ×3, first 2 shown]
	v_mul_f64 v[52:53], v[46:47], v[42:43]
	v_mul_f64 v[42:43], v[44:45], v[42:43]
	s_barrier
	v_fma_f64 v[56:57], v[32:33], v[36:37], -v[84:85]
	buffer_gl0_inv
	v_fma_f64 v[66:67], v[34:35], v[36:37], v[88:89]
	v_add_f64 v[50:51], v[50:51], v[76:77]
	v_fma_f64 v[32:33], v[32:33], v[40:41], -v[92:93]
	v_fma_f64 v[34:35], v[34:35], v[40:41], v[94:95]
	v_fma_f64 v[80:81], v[44:45], v[36:37], -v[98:99]
	v_fma_f64 v[36:37], v[46:47], v[36:37], v[38:39]
	v_add_f64 v[38:39], v[54:55], v[68:69]
	v_add_f64 v[54:55], v[70:71], v[58:59]
	;; [unrolled: 1-line block ×7, first 2 shown]
	v_fma_f64 v[44:45], v[44:45], v[40:41], -v[52:53]
	v_fma_f64 v[40:41], v[46:47], v[40:41], v[42:43]
	v_mul_f64 v[42:43], v[5:6], v[20:21]
	v_mul_f64 v[46:47], v[3:4], v[20:21]
	;; [unrolled: 1-line block ×8, first 2 shown]
	v_add_f64 v[50:51], v[50:51], v[80:81]
	v_add_f64 v[38:39], v[38:39], v[56:57]
	;; [unrolled: 1-line block ×8, first 2 shown]
	v_fma_f64 v[42:43], v[3:4], v[18:19], -v[42:43]
	v_fma_f64 v[44:45], v[5:6], v[18:19], v[46:47]
	v_fma_f64 v[3:4], v[3:4], v[22:23], -v[52:53]
	v_fma_f64 v[5:6], v[5:6], v[22:23], v[64:65]
	;; [unrolled: 2-line block ×4, first 2 shown]
	v_add_f64 v[22:23], v[38:39], v[42:43]
	v_add_f64 v[24:25], v[44:45], v[54:55]
	;; [unrolled: 1-line block ×8, first 2 shown]
	s_cbranch_scc0 .LBB414_15
.LBB414_7:                              ; =>This Inner Loop Header: Depth=1
	v_add_nc_u32_e32 v3, s9, v27
	v_cmp_le_i32_e32 vcc_lo, s3, v3
	s_or_b32 s12, s1, vcc_lo
	s_and_saveexec_b32 s13, s12
	s_xor_b32 s12, exec_lo, s13
	s_cbranch_execz .LBB414_9
; %bb.8:                                ;   in Loop: Header=BB414_7 Depth=1
	v_mov_b32_e32 v3, v2
	v_mov_b32_e32 v4, v2
	v_mov_b32_e32 v5, v2
	ds_write_b128 v28, v[2:5]
.LBB414_9:                              ;   in Loop: Header=BB414_7 Depth=1
	s_andn2_saveexec_b32 s12, s12
	s_cbranch_execz .LBB414_11
; %bb.10:                               ;   in Loop: Header=BB414_7 Depth=1
	flat_load_dwordx4 v[32:35], v[10:11]
	s_waitcnt vmcnt(0) lgkmcnt(0)
	ds_write2_b64 v28, v[32:33], v[34:35] offset1:1
.LBB414_11:                             ;   in Loop: Header=BB414_7 Depth=1
	s_or_b32 exec_lo, exec_lo, s12
	v_add_nc_u32_e32 v3, s9, v26
	v_cmp_le_i32_e32 vcc_lo, s3, v3
	s_or_b32 s12, vcc_lo, s0
	s_and_saveexec_b32 s13, s12
	s_xor_b32 s12, exec_lo, s13
	s_cbranch_execz .LBB414_13
; %bb.12:                               ;   in Loop: Header=BB414_7 Depth=1
	v_mov_b32_e32 v3, v2
	v_mov_b32_e32 v4, v2
	;; [unrolled: 1-line block ×3, first 2 shown]
	ds_write_b128 v29, v[2:5]
.LBB414_13:                             ;   in Loop: Header=BB414_7 Depth=1
	s_andn2_saveexec_b32 s12, s12
	s_cbranch_execz .LBB414_6
; %bb.14:                               ;   in Loop: Header=BB414_7 Depth=1
	flat_load_dwordx4 v[32:35], v[12:13]
	s_waitcnt vmcnt(0) lgkmcnt(0)
	ds_write2_b64 v29, v[32:33], v[34:35] offset1:1
	s_branch .LBB414_6
.LBB414_15:
	s_clause 0x1
	s_load_dword s3, s[4:5], 0x60
	s_load_dwordx2 s[4:5], s[4:5], 0x68
	v_cmp_neq_f64_e64 s6, s[14:15], 0
	v_add_nc_u32_e32 v27, s18, v1
	v_add_nc_u32_e32 v4, s8, v0
	v_cmp_gt_i32_e64 s0, s2, v27
	v_cmp_le_i32_e32 vcc_lo, v4, v27
	v_ashrrev_i32_e32 v5, 31, v4
	s_waitcnt lgkmcnt(0)
	v_mad_i64_i32 v[1:2], null, v27, s3, 0
	s_lshl_b64 s[4:5], s[4:5], 4
	s_add_u32 s4, s10, s4
	s_addc_u32 s5, s11, s5
	s_xor_b32 s7, s30, -1
	s_or_b32 s6, s6, s7
	v_lshlrev_b64 v[0:1], 4, v[1:2]
	v_cndmask_b32_e64 v26, 0, 1, s6
	s_and_b32 s7, s0, vcc_lo
	v_add_co_u32 v12, s1, s4, v0
	v_add_co_ci_u32_e64 v13, null, s5, v1, s1
	s_and_saveexec_b32 s1, s7
	s_cbranch_execz .LBB414_19
; %bb.16:
	v_mul_f64 v[0:1], s[22:23], v[24:25]
	v_mul_f64 v[2:3], s[20:21], v[24:25]
	v_lshlrev_b64 v[10:11], 4, v[4:5]
	v_add_co_u32 v10, vcc_lo, v12, v10
	v_add_co_ci_u32_e64 v11, null, v13, v11, vcc_lo
	s_andn2_b32 vcc_lo, exec_lo, s6
	v_fma_f64 v[0:1], s[20:21], v[22:23], -v[0:1]
	v_fma_f64 v[2:3], s[22:23], v[22:23], v[2:3]
	s_cbranch_vccnz .LBB414_18
; %bb.17:
	flat_load_dwordx4 v[22:25], v[10:11]
	s_waitcnt vmcnt(0) lgkmcnt(0)
	v_mul_f64 v[28:29], s[16:17], v[24:25]
	v_mul_f64 v[24:25], s[14:15], v[24:25]
	v_fma_f64 v[28:29], s[14:15], v[22:23], -v[28:29]
	v_fma_f64 v[22:23], s[16:17], v[22:23], v[24:25]
	v_add_f64 v[0:1], v[0:1], v[28:29]
	v_add_f64 v[2:3], v[2:3], v[22:23]
.LBB414_18:
	flat_store_dwordx4 v[10:11], v[0:3]
.LBB414_19:
	s_or_b32 exec_lo, exec_lo, s1
	v_add_nc_u32_e32 v10, 16, v4
	v_cmp_le_i32_e32 vcc_lo, v10, v27
	v_ashrrev_i32_e32 v11, 31, v10
	s_and_b32 s0, s0, vcc_lo
	s_and_saveexec_b32 s1, s0
	s_cbranch_execz .LBB414_23
; %bb.20:
	v_mul_f64 v[0:1], s[22:23], v[20:21]
	v_mul_f64 v[2:3], s[20:21], v[20:21]
	v_cmp_ne_u32_e32 vcc_lo, 1, v26
	s_and_b32 vcc_lo, exec_lo, vcc_lo
	v_fma_f64 v[0:1], s[20:21], v[18:19], -v[0:1]
	v_fma_f64 v[2:3], s[22:23], v[18:19], v[2:3]
	v_lshlrev_b64 v[18:19], 4, v[10:11]
	v_add_co_u32 v12, s0, v12, v18
	v_add_co_ci_u32_e64 v13, null, v13, v19, s0
	s_cbranch_vccnz .LBB414_22
; %bb.21:
	flat_load_dwordx4 v[18:21], v[12:13]
	s_waitcnt vmcnt(0) lgkmcnt(0)
	v_mul_f64 v[22:23], s[16:17], v[20:21]
	v_mul_f64 v[20:21], s[14:15], v[20:21]
	v_fma_f64 v[22:23], s[14:15], v[18:19], -v[22:23]
	v_fma_f64 v[18:19], s[16:17], v[18:19], v[20:21]
	v_add_f64 v[0:1], v[0:1], v[22:23]
	v_add_f64 v[2:3], v[2:3], v[18:19]
.LBB414_22:
	flat_store_dwordx4 v[12:13], v[0:3]
.LBB414_23:
	s_or_b32 exec_lo, exec_lo, s1
	v_add_nc_u32_e32 v18, 16, v27
	v_mad_i64_i32 v[0:1], null, v18, s3, 0
	v_cmp_gt_i32_e64 s0, s2, v18
	v_cmp_le_i32_e32 vcc_lo, v4, v18
	v_lshlrev_b64 v[0:1], 4, v[0:1]
	v_add_co_u32 v12, s1, s4, v0
	v_add_co_ci_u32_e64 v13, null, s5, v1, s1
	s_and_b32 s1, s0, vcc_lo
	s_and_saveexec_b32 s2, s1
	s_cbranch_execz .LBB414_27
; %bb.24:
	v_mul_f64 v[0:1], s[22:23], v[16:17]
	v_mul_f64 v[2:3], s[20:21], v[16:17]
	v_lshlrev_b64 v[4:5], 4, v[4:5]
	v_cmp_ne_u32_e32 vcc_lo, 1, v26
	s_and_b32 vcc_lo, exec_lo, vcc_lo
	v_add_co_u32 v4, s1, v12, v4
	v_add_co_ci_u32_e64 v5, null, v13, v5, s1
	v_fma_f64 v[0:1], s[20:21], v[14:15], -v[0:1]
	v_fma_f64 v[2:3], s[22:23], v[14:15], v[2:3]
	s_cbranch_vccnz .LBB414_26
; %bb.25:
	flat_load_dwordx4 v[14:17], v[4:5]
	s_waitcnt vmcnt(0) lgkmcnt(0)
	v_mul_f64 v[19:20], s[16:17], v[16:17]
	v_mul_f64 v[16:17], s[14:15], v[16:17]
	v_fma_f64 v[19:20], s[14:15], v[14:15], -v[19:20]
	v_fma_f64 v[14:15], s[16:17], v[14:15], v[16:17]
	v_add_f64 v[0:1], v[0:1], v[19:20]
	v_add_f64 v[2:3], v[2:3], v[14:15]
.LBB414_26:
	flat_store_dwordx4 v[4:5], v[0:3]
.LBB414_27:
	s_or_b32 exec_lo, exec_lo, s2
	v_cmp_le_i32_e32 vcc_lo, v10, v18
	s_and_b32 s0, s0, vcc_lo
	s_and_saveexec_b32 s1, s0
	s_cbranch_execz .LBB414_32
; %bb.28:
	v_mul_f64 v[0:1], s[22:23], v[6:7]
	v_mul_f64 v[2:3], s[20:21], v[6:7]
	v_lshlrev_b64 v[4:5], 4, v[10:11]
	v_cmp_ne_u32_e32 vcc_lo, 1, v26
	s_and_b32 vcc_lo, exec_lo, vcc_lo
	v_add_co_u32 v4, s0, v12, v4
	v_add_co_ci_u32_e64 v5, null, v13, v5, s0
	v_fma_f64 v[0:1], s[20:21], v[8:9], -v[0:1]
	v_fma_f64 v[2:3], s[22:23], v[8:9], v[2:3]
	s_cbranch_vccnz .LBB414_30
; %bb.29:
	flat_load_dwordx4 v[6:9], v[4:5]
	s_waitcnt vmcnt(0) lgkmcnt(0)
	v_mul_f64 v[10:11], s[16:17], v[8:9]
	v_mul_f64 v[8:9], s[14:15], v[8:9]
	v_fma_f64 v[10:11], s[14:15], v[6:7], -v[10:11]
	v_fma_f64 v[6:7], s[16:17], v[6:7], v[8:9]
	v_add_f64 v[0:1], v[0:1], v[10:11]
	v_add_f64 v[2:3], v[2:3], v[6:7]
.LBB414_30:
	flat_store_dwordx4 v[4:5], v[0:3]
	s_endpgm
.LBB414_31:
.LBB414_32:
	s_endpgm
	.section	.rodata,"a",@progbits
	.p2align	6, 0x0
	.amdhsa_kernel _ZL29rocblas_internal_gemmt_kernelIiLi16ELi32ELi8ELc78ELc78ELc85ELb0ELb0E19rocblas_complex_numIdES1_PKPKS1_PKPS1_EviT_T9_T10_S9_lSB_S9_lSA_T11_S9_li
		.amdhsa_group_segment_fixed_size 8192
		.amdhsa_private_segment_fixed_size 0
		.amdhsa_kernarg_size 116
		.amdhsa_user_sgpr_count 6
		.amdhsa_user_sgpr_private_segment_buffer 1
		.amdhsa_user_sgpr_dispatch_ptr 0
		.amdhsa_user_sgpr_queue_ptr 0
		.amdhsa_user_sgpr_kernarg_segment_ptr 1
		.amdhsa_user_sgpr_dispatch_id 0
		.amdhsa_user_sgpr_flat_scratch_init 0
		.amdhsa_user_sgpr_private_segment_size 0
		.amdhsa_wavefront_size32 1
		.amdhsa_uses_dynamic_stack 0
		.amdhsa_system_sgpr_private_segment_wavefront_offset 0
		.amdhsa_system_sgpr_workgroup_id_x 1
		.amdhsa_system_sgpr_workgroup_id_y 1
		.amdhsa_system_sgpr_workgroup_id_z 1
		.amdhsa_system_sgpr_workgroup_info 0
		.amdhsa_system_vgpr_workitem_id 1
		.amdhsa_next_free_vgpr 128
		.amdhsa_next_free_sgpr 36
		.amdhsa_reserve_vcc 1
		.amdhsa_reserve_flat_scratch 0
		.amdhsa_float_round_mode_32 0
		.amdhsa_float_round_mode_16_64 0
		.amdhsa_float_denorm_mode_32 3
		.amdhsa_float_denorm_mode_16_64 3
		.amdhsa_dx10_clamp 1
		.amdhsa_ieee_mode 1
		.amdhsa_fp16_overflow 0
		.amdhsa_workgroup_processor_mode 1
		.amdhsa_memory_ordered 1
		.amdhsa_forward_progress 1
		.amdhsa_shared_vgpr_count 0
		.amdhsa_exception_fp_ieee_invalid_op 0
		.amdhsa_exception_fp_denorm_src 0
		.amdhsa_exception_fp_ieee_div_zero 0
		.amdhsa_exception_fp_ieee_overflow 0
		.amdhsa_exception_fp_ieee_underflow 0
		.amdhsa_exception_fp_ieee_inexact 0
		.amdhsa_exception_int_div_zero 0
	.end_amdhsa_kernel
	.section	.text._ZL29rocblas_internal_gemmt_kernelIiLi16ELi32ELi8ELc78ELc78ELc85ELb0ELb0E19rocblas_complex_numIdES1_PKPKS1_PKPS1_EviT_T9_T10_S9_lSB_S9_lSA_T11_S9_li,"axG",@progbits,_ZL29rocblas_internal_gemmt_kernelIiLi16ELi32ELi8ELc78ELc78ELc85ELb0ELb0E19rocblas_complex_numIdES1_PKPKS1_PKPS1_EviT_T9_T10_S9_lSB_S9_lSA_T11_S9_li,comdat
.Lfunc_end414:
	.size	_ZL29rocblas_internal_gemmt_kernelIiLi16ELi32ELi8ELc78ELc78ELc85ELb0ELb0E19rocblas_complex_numIdES1_PKPKS1_PKPS1_EviT_T9_T10_S9_lSB_S9_lSA_T11_S9_li, .Lfunc_end414-_ZL29rocblas_internal_gemmt_kernelIiLi16ELi32ELi8ELc78ELc78ELc85ELb0ELb0E19rocblas_complex_numIdES1_PKPKS1_PKPS1_EviT_T9_T10_S9_lSB_S9_lSA_T11_S9_li
                                        ; -- End function
	.set _ZL29rocblas_internal_gemmt_kernelIiLi16ELi32ELi8ELc78ELc78ELc85ELb0ELb0E19rocblas_complex_numIdES1_PKPKS1_PKPS1_EviT_T9_T10_S9_lSB_S9_lSA_T11_S9_li.num_vgpr, 128
	.set _ZL29rocblas_internal_gemmt_kernelIiLi16ELi32ELi8ELc78ELc78ELc85ELb0ELb0E19rocblas_complex_numIdES1_PKPKS1_PKPS1_EviT_T9_T10_S9_lSB_S9_lSA_T11_S9_li.num_agpr, 0
	.set _ZL29rocblas_internal_gemmt_kernelIiLi16ELi32ELi8ELc78ELc78ELc85ELb0ELb0E19rocblas_complex_numIdES1_PKPKS1_PKPS1_EviT_T9_T10_S9_lSB_S9_lSA_T11_S9_li.numbered_sgpr, 36
	.set _ZL29rocblas_internal_gemmt_kernelIiLi16ELi32ELi8ELc78ELc78ELc85ELb0ELb0E19rocblas_complex_numIdES1_PKPKS1_PKPS1_EviT_T9_T10_S9_lSB_S9_lSA_T11_S9_li.num_named_barrier, 0
	.set _ZL29rocblas_internal_gemmt_kernelIiLi16ELi32ELi8ELc78ELc78ELc85ELb0ELb0E19rocblas_complex_numIdES1_PKPKS1_PKPS1_EviT_T9_T10_S9_lSB_S9_lSA_T11_S9_li.private_seg_size, 0
	.set _ZL29rocblas_internal_gemmt_kernelIiLi16ELi32ELi8ELc78ELc78ELc85ELb0ELb0E19rocblas_complex_numIdES1_PKPKS1_PKPS1_EviT_T9_T10_S9_lSB_S9_lSA_T11_S9_li.uses_vcc, 1
	.set _ZL29rocblas_internal_gemmt_kernelIiLi16ELi32ELi8ELc78ELc78ELc85ELb0ELb0E19rocblas_complex_numIdES1_PKPKS1_PKPS1_EviT_T9_T10_S9_lSB_S9_lSA_T11_S9_li.uses_flat_scratch, 0
	.set _ZL29rocblas_internal_gemmt_kernelIiLi16ELi32ELi8ELc78ELc78ELc85ELb0ELb0E19rocblas_complex_numIdES1_PKPKS1_PKPS1_EviT_T9_T10_S9_lSB_S9_lSA_T11_S9_li.has_dyn_sized_stack, 0
	.set _ZL29rocblas_internal_gemmt_kernelIiLi16ELi32ELi8ELc78ELc78ELc85ELb0ELb0E19rocblas_complex_numIdES1_PKPKS1_PKPS1_EviT_T9_T10_S9_lSB_S9_lSA_T11_S9_li.has_recursion, 0
	.set _ZL29rocblas_internal_gemmt_kernelIiLi16ELi32ELi8ELc78ELc78ELc85ELb0ELb0E19rocblas_complex_numIdES1_PKPKS1_PKPS1_EviT_T9_T10_S9_lSB_S9_lSA_T11_S9_li.has_indirect_call, 0
	.section	.AMDGPU.csdata,"",@progbits
; Kernel info:
; codeLenInByte = 3524
; TotalNumSgprs: 38
; NumVgprs: 128
; ScratchSize: 0
; MemoryBound: 0
; FloatMode: 240
; IeeeMode: 1
; LDSByteSize: 8192 bytes/workgroup (compile time only)
; SGPRBlocks: 0
; VGPRBlocks: 15
; NumSGPRsForWavesPerEU: 38
; NumVGPRsForWavesPerEU: 128
; Occupancy: 8
; WaveLimiterHint : 1
; COMPUTE_PGM_RSRC2:SCRATCH_EN: 0
; COMPUTE_PGM_RSRC2:USER_SGPR: 6
; COMPUTE_PGM_RSRC2:TRAP_HANDLER: 0
; COMPUTE_PGM_RSRC2:TGID_X_EN: 1
; COMPUTE_PGM_RSRC2:TGID_Y_EN: 1
; COMPUTE_PGM_RSRC2:TGID_Z_EN: 1
; COMPUTE_PGM_RSRC2:TIDIG_COMP_CNT: 1
	.section	.text._ZL29rocblas_internal_gemmt_kernelIiLi16ELi32ELi8ELc78ELc84ELc85ELb0ELb0E19rocblas_complex_numIdES1_PKPKS1_PKPS1_EviT_T9_T10_S9_lSB_S9_lSA_T11_S9_li,"axG",@progbits,_ZL29rocblas_internal_gemmt_kernelIiLi16ELi32ELi8ELc78ELc84ELc85ELb0ELb0E19rocblas_complex_numIdES1_PKPKS1_PKPS1_EviT_T9_T10_S9_lSB_S9_lSA_T11_S9_li,comdat
	.globl	_ZL29rocblas_internal_gemmt_kernelIiLi16ELi32ELi8ELc78ELc84ELc85ELb0ELb0E19rocblas_complex_numIdES1_PKPKS1_PKPS1_EviT_T9_T10_S9_lSB_S9_lSA_T11_S9_li ; -- Begin function _ZL29rocblas_internal_gemmt_kernelIiLi16ELi32ELi8ELc78ELc84ELc85ELb0ELb0E19rocblas_complex_numIdES1_PKPKS1_PKPS1_EviT_T9_T10_S9_lSB_S9_lSA_T11_S9_li
	.p2align	8
	.type	_ZL29rocblas_internal_gemmt_kernelIiLi16ELi32ELi8ELc78ELc84ELc85ELb0ELb0E19rocblas_complex_numIdES1_PKPKS1_PKPS1_EviT_T9_T10_S9_lSB_S9_lSA_T11_S9_li,@function
_ZL29rocblas_internal_gemmt_kernelIiLi16ELi32ELi8ELc78ELc84ELc85ELb0ELb0E19rocblas_complex_numIdES1_PKPKS1_PKPS1_EviT_T9_T10_S9_lSB_S9_lSA_T11_S9_li: ; @_ZL29rocblas_internal_gemmt_kernelIiLi16ELi32ELi8ELc78ELc84ELc85ELb0ELb0E19rocblas_complex_numIdES1_PKPKS1_PKPS1_EviT_T9_T10_S9_lSB_S9_lSA_T11_S9_li
; %bb.0:
	s_clause 0x2
	s_load_dwordx8 s[12:19], s[4:5], 0x40
	s_load_dwordx2 s[2:3], s[4:5], 0x0
	s_load_dwordx4 s[20:23], s[4:5], 0x8
	s_waitcnt lgkmcnt(0)
	v_cmp_eq_f64_e64 s0, s[14:15], 1.0
	v_cmp_eq_f64_e64 s30, s[16:17], 0
	s_and_b32 s0, s0, s30
	s_andn2_b32 vcc_lo, exec_lo, s0
	s_mov_b32 s0, -1
	s_cbranch_vccnz .LBB415_3
; %bb.1:
	s_cmp_lg_u32 s3, 0
	s_cbranch_scc0 .LBB415_31
; %bb.2:
	v_cmp_neq_f64_e64 s0, s[20:21], 0
	v_cmp_neq_f64_e64 s1, s[22:23], 0
	s_or_b32 s0, s0, s1
.LBB415_3:
	s_and_b32 vcc_lo, exec_lo, s0
	s_cbranch_vccz .LBB415_32
; %bb.4:
	v_cmp_eq_f64_e64 s24, s[20:21], 0
	v_cmp_eq_f64_e64 s25, s[22:23], 0
	s_mov_b32 s9, 0
	v_mov_b32_e32 v22, 0
	s_lshl_b64 s[28:29], s[8:9], 3
	v_mov_b32_e32 v24, 0
	s_add_u32 s0, s18, s28
	s_addc_u32 s1, s19, s29
	s_lshl_b32 s8, s6, 5
	s_load_dwordx2 s[10:11], s[0:1], 0x0
	s_lshl_b32 s31, s7, 5
	v_mov_b32_e32 v18, 0
	v_mov_b32_e32 v20, 0
	;; [unrolled: 1-line block ×12, first 2 shown]
	s_and_b32 s0, s24, s25
	s_cmp_lt_i32 s3, 1
	v_mov_b32_e32 v9, 0
	s_cselect_b32 s1, -1, 0
	v_mov_b32_e32 v7, 0
	s_or_b32 s0, s0, s1
	s_and_b32 vcc_lo, exec_lo, s0
	s_cbranch_vccnz .LBB415_15
; %bb.5:
	s_clause 0x3
	s_load_dword s6, s[4:5], 0x20
	s_load_dword s18, s[4:5], 0x38
	s_load_dwordx4 s[24:27], s[4:5], 0x28
	s_load_dwordx2 s[34:35], s[4:5], 0x18
	v_lshl_add_u32 v2, v1, 4, v0
	v_and_b32_e32 v26, 7, v0
	v_mov_b32_e32 v16, 0
	v_mov_b32_e32 v14, 0
	;; [unrolled: 1-line block ×3, first 2 shown]
	v_and_b32_e32 v3, 31, v2
	v_lshrrev_b32_e32 v4, 3, v2
	v_lshrrev_b32_e32 v27, 5, v2
	v_lshlrev_b32_e32 v5, 4, v26
	v_mov_b32_e32 v18, 0
	v_or_b32_e32 v6, s8, v3
	v_add_nc_u32_e32 v2, s31, v4
	v_lshlrev_b32_e32 v7, 4, v3
	v_lshl_or_b32 v8, v4, 7, v5
	v_mov_b32_e32 v24, 0
	v_cmp_gt_i32_e32 vcc_lo, s2, v6
	v_add_nc_u32_e32 v6, s8, v3
	s_waitcnt lgkmcnt(0)
	s_ashr_i32 s7, s6, 31
	s_ashr_i32 s19, s18, 31
	v_mad_i64_i32 v[4:5], null, v27, s6, 0
	s_add_u32 s26, s26, s28
	s_addc_u32 s27, s27, s29
	s_add_u32 s28, s34, s28
	s_addc_u32 s29, s35, s29
	s_load_dwordx2 s[26:27], s[26:27], 0x0
	s_load_dwordx2 s[28:29], s[28:29], 0x0
	v_add_nc_u32_e32 v29, 0x1000, v8
	v_lshlrev_b64 v[4:5], 4, v[4:5]
	v_mad_i64_i32 v[8:9], null, s18, v26, 0
	v_lshl_or_b32 v28, v27, 9, v7
	v_ashrrev_i32_e32 v7, 31, v6
	s_lshl_b64 s[24:25], s[24:25], 4
	v_ashrrev_i32_e32 v3, 31, v2
	v_add_co_u32 v10, s1, v4, s24
	v_lshlrev_b64 v[6:7], 4, v[6:7]
	v_add_co_ci_u32_e64 v11, null, s25, v5, s1
	v_lshlrev_b64 v[4:5], 4, v[8:9]
	s_lshl_b64 s[12:13], s[12:13], 4
	v_cmp_gt_i32_e64 s0, s2, v2
	v_add_co_u32 v6, s1, v10, v6
	v_lshlrev_b64 v[2:3], 4, v[2:3]
	v_add_co_ci_u32_e64 v7, null, v11, v7, s1
	v_add_co_u32 v4, s1, v4, s12
	v_add_co_ci_u32_e64 v5, null, s13, v5, s1
	s_waitcnt lgkmcnt(0)
	v_add_co_u32 v10, s1, s28, v6
	v_add_co_ci_u32_e64 v11, null, s29, v7, s1
	v_add_co_u32 v2, s1, v4, v2
	v_add_co_ci_u32_e64 v3, null, v5, v3, s1
	v_mov_b32_e32 v6, 0
	v_add_co_u32 v12, s1, s26, v2
	v_mov_b32_e32 v8, 0
	v_mov_b32_e32 v22, 0
	v_lshlrev_b32_e32 v30, 4, v0
	v_lshl_add_u32 v31, v1, 7, 0x1000
	v_add_co_ci_u32_e64 v13, null, s27, v3, s1
	v_mov_b32_e32 v7, 0
	v_mov_b32_e32 v9, 0
	;; [unrolled: 1-line block ×9, first 2 shown]
	s_lshl_b64 s[6:7], s[6:7], 7
	s_lshl_b64 s[12:13], s[18:19], 7
	s_xor_b32 s1, vcc_lo, -1
	s_xor_b32 s0, s0, -1
	s_branch .LBB415_7
.LBB415_6:                              ;   in Loop: Header=BB415_7 Depth=1
	s_or_b32 exec_lo, exec_lo, s18
	s_waitcnt lgkmcnt(0)
	s_barrier
	buffer_gl0_inv
	ds_read_b128 v[32:35], v31
	ds_read_b128 v[36:39], v30
	ds_read_b128 v[40:43], v30 offset:256
	ds_read_b128 v[44:47], v31 offset:2048
	;; [unrolled: 1-line block ×12, first 2 shown]
	v_add_co_u32 v10, vcc_lo, v10, s6
	v_add_co_ci_u32_e64 v11, null, s7, v11, vcc_lo
	v_add_co_u32 v12, vcc_lo, v12, s12
	v_add_co_ci_u32_e64 v13, null, s13, v13, vcc_lo
	s_waitcnt lgkmcnt(12)
	v_mul_f64 v[3:4], v[34:35], v[38:39]
	v_mul_f64 v[88:89], v[32:33], v[38:39]
	s_waitcnt lgkmcnt(11)
	v_mul_f64 v[90:91], v[34:35], v[42:43]
	v_mul_f64 v[92:93], v[32:33], v[42:43]
	;; [unrolled: 3-line block ×3, first 2 shown]
	v_mul_f64 v[96:97], v[46:47], v[42:43]
	v_mul_f64 v[42:43], v[44:45], v[42:43]
	s_waitcnt lgkmcnt(8)
	v_mul_f64 v[98:99], v[50:51], v[54:55]
	v_mul_f64 v[100:101], v[48:49], v[54:55]
	s_waitcnt lgkmcnt(7)
	;; [unrolled: 3-line block ×3, first 2 shown]
	v_mul_f64 v[106:107], v[62:63], v[54:55]
	v_mul_f64 v[54:55], v[60:61], v[54:55]
	;; [unrolled: 1-line block ×4, first 2 shown]
	s_waitcnt lgkmcnt(4)
	v_mul_f64 v[110:111], v[66:67], v[70:71]
	v_mul_f64 v[112:113], v[64:65], v[70:71]
	s_waitcnt lgkmcnt(3)
	v_mul_f64 v[114:115], v[66:67], v[74:75]
	v_mul_f64 v[116:117], v[64:65], v[74:75]
	;; [unrolled: 3-line block ×3, first 2 shown]
	v_fma_f64 v[3:4], v[32:33], v[36:37], -v[3:4]
	v_fma_f64 v[88:89], v[34:35], v[36:37], v[88:89]
	v_fma_f64 v[90:91], v[32:33], v[40:41], -v[90:91]
	v_fma_f64 v[92:93], v[34:35], v[40:41], v[92:93]
	;; [unrolled: 2-line block ×4, first 2 shown]
	v_mul_f64 v[124:125], v[78:79], v[74:75]
	v_mul_f64 v[74:75], v[76:77], v[74:75]
	ds_read_b128 v[32:35], v30 offset:1536
	ds_read_b128 v[36:39], v30 offset:1792
	v_fma_f64 v[98:99], v[48:49], v[52:53], -v[98:99]
	v_fma_f64 v[100:101], v[50:51], v[52:53], v[100:101]
	v_fma_f64 v[102:103], v[48:49], v[56:57], -v[102:103]
	v_fma_f64 v[104:105], v[50:51], v[56:57], v[104:105]
	v_fma_f64 v[106:107], v[60:61], v[52:53], -v[106:107]
	v_fma_f64 v[126:127], v[62:63], v[52:53], v[54:55]
	v_fma_f64 v[60:61], v[60:61], v[56:57], -v[108:109]
	v_fma_f64 v[56:57], v[62:63], v[56:57], v[58:59]
	v_fma_f64 v[58:59], v[64:65], v[68:69], -v[110:111]
	v_fma_f64 v[62:63], v[66:67], v[68:69], v[112:113]
	v_fma_f64 v[64:65], v[64:65], v[72:73], -v[114:115]
	v_fma_f64 v[66:67], v[66:67], v[72:73], v[116:117]
	v_fma_f64 v[108:109], v[76:77], v[68:69], -v[118:119]
	v_fma_f64 v[68:69], v[78:79], v[68:69], v[70:71]
	v_add_f64 v[22:23], v[22:23], v[3:4]
	v_add_f64 v[24:25], v[88:89], v[24:25]
	;; [unrolled: 1-line block ×4, first 2 shown]
	s_waitcnt lgkmcnt(1)
	v_mul_f64 v[110:111], v[82:83], v[34:35]
	v_mul_f64 v[112:113], v[80:81], v[34:35]
	s_waitcnt lgkmcnt(0)
	v_mul_f64 v[70:71], v[82:83], v[38:39]
	v_fma_f64 v[76:77], v[76:77], v[72:73], -v[124:125]
	v_fma_f64 v[72:73], v[78:79], v[72:73], v[74:75]
	v_add_f64 v[74:75], v[14:15], v[94:95]
	v_add_f64 v[78:79], v[120:121], v[16:17]
	v_add_f64 v[8:9], v[8:9], v[96:97]
	v_add_f64 v[88:89], v[122:123], v[6:7]
	ds_read_b128 v[40:43], v31 offset:64
	ds_read_b128 v[44:47], v30 offset:2048
	;; [unrolled: 1-line block ×3, first 2 shown]
	v_mul_f64 v[114:115], v[80:81], v[38:39]
	v_mul_f64 v[116:117], v[86:87], v[34:35]
	;; [unrolled: 1-line block ×5, first 2 shown]
	ds_read_b128 v[52:55], v31 offset:2112
	ds_read_b128 v[14:17], v31 offset:2128
	v_add_f64 v[98:99], v[22:23], v[98:99]
	v_add_f64 v[100:101], v[100:101], v[24:25]
	;; [unrolled: 1-line block ×4, first 2 shown]
	v_fma_f64 v[92:93], v[80:81], v[32:33], -v[110:111]
	v_fma_f64 v[94:95], v[82:83], v[32:33], v[112:113]
	v_fma_f64 v[70:71], v[80:81], v[36:37], -v[70:71]
	ds_read_b128 v[18:21], v30 offset:2560
	ds_read_b128 v[3:6], v31 offset:80
	;; [unrolled: 1-line block ×3, first 2 shown]
	v_add_f64 v[74:75], v[74:75], v[106:107]
	s_waitcnt lgkmcnt(6)
	v_mul_f64 v[80:81], v[42:43], v[46:47]
	v_mul_f64 v[96:97], v[40:41], v[46:47]
	s_waitcnt lgkmcnt(5)
	v_mul_f64 v[110:111], v[42:43], v[50:51]
	v_mul_f64 v[112:113], v[40:41], v[50:51]
	v_add_f64 v[78:79], v[126:127], v[78:79]
	v_add_f64 v[7:8], v[8:9], v[60:61]
	v_add_f64 v[56:57], v[56:57], v[88:89]
	v_fma_f64 v[82:83], v[82:83], v[36:37], v[114:115]
	s_waitcnt lgkmcnt(4)
	v_mul_f64 v[114:115], v[54:55], v[46:47]
	v_mul_f64 v[46:47], v[52:53], v[46:47]
	v_fma_f64 v[60:61], v[84:85], v[32:33], -v[116:117]
	v_fma_f64 v[88:89], v[86:87], v[32:33], v[34:35]
	v_fma_f64 v[84:85], v[84:85], v[36:37], -v[90:91]
	v_fma_f64 v[86:87], v[86:87], v[36:37], v[38:39]
	v_add_f64 v[58:59], v[98:99], v[58:59]
	v_add_f64 v[62:63], v[62:63], v[100:101]
	v_add_f64 v[64:65], v[102:103], v[64:65]
	v_add_f64 v[66:67], v[66:67], v[104:105]
	s_waitcnt lgkmcnt(0)
	v_mul_f64 v[98:99], v[3:4], v[24:25]
	v_mul_f64 v[100:101], v[16:17], v[20:21]
	;; [unrolled: 1-line block ×3, first 2 shown]
	v_add_f64 v[74:75], v[74:75], v[108:109]
	v_fma_f64 v[80:81], v[40:41], v[44:45], -v[80:81]
	v_fma_f64 v[90:91], v[42:43], v[44:45], v[96:97]
	v_fma_f64 v[96:97], v[40:41], v[48:49], -v[110:111]
	v_fma_f64 v[106:107], v[42:43], v[48:49], v[112:113]
	v_mul_f64 v[40:41], v[54:55], v[50:51]
	v_mul_f64 v[42:43], v[52:53], v[50:51]
	v_add_f64 v[68:69], v[68:69], v[78:79]
	v_add_f64 v[7:8], v[7:8], v[76:77]
	;; [unrolled: 1-line block ×3, first 2 shown]
	v_fma_f64 v[50:51], v[52:53], v[44:45], -v[114:115]
	v_fma_f64 v[110:111], v[54:55], v[44:45], v[46:47]
	v_mul_f64 v[72:73], v[5:6], v[20:21]
	v_mul_f64 v[76:77], v[3:4], v[20:21]
	;; [unrolled: 1-line block ×5, first 2 shown]
	ds_read_b128 v[32:35], v31 offset:96
	ds_read_b128 v[36:39], v30 offset:3072
	s_add_i32 s9, s9, 8
	s_cmp_lt_i32 s9, s3
	v_add_f64 v[60:61], v[74:75], v[60:61]
	v_fma_f64 v[74:75], v[5:6], v[22:23], v[98:99]
	v_fma_f64 v[52:53], v[52:53], v[48:49], -v[40:41]
	v_fma_f64 v[48:49], v[54:55], v[48:49], v[42:43]
	v_add_f64 v[54:55], v[58:59], v[92:93]
	v_add_f64 v[58:59], v[94:95], v[62:63]
	;; [unrolled: 1-line block ×7, first 2 shown]
	ds_read_b128 v[40:43], v30 offset:3328
	ds_read_b128 v[44:47], v31 offset:2144
	v_fma_f64 v[68:69], v[3:4], v[18:19], -v[72:73]
	v_fma_f64 v[70:71], v[5:6], v[18:19], v[76:77]
	v_fma_f64 v[72:73], v[3:4], v[22:23], -v[78:79]
	v_fma_f64 v[76:77], v[14:15], v[18:19], -v[100:101]
	v_fma_f64 v[78:79], v[16:17], v[18:19], v[20:21]
	v_fma_f64 v[82:83], v[14:15], v[22:23], -v[102:103]
	s_waitcnt lgkmcnt(2)
	v_mul_f64 v[84:85], v[34:35], v[38:39]
	v_fma_f64 v[86:87], v[16:17], v[22:23], v[24:25]
	v_mul_f64 v[88:89], v[32:33], v[38:39]
	v_add_f64 v[50:51], v[60:61], v[50:51]
	ds_read_b128 v[3:6], v31 offset:112
	ds_read_b128 v[14:17], v31 offset:2160
	;; [unrolled: 1-line block ×4, first 2 shown]
	s_waitcnt lgkmcnt(0)
	v_add_f64 v[54:55], v[54:55], v[80:81]
	v_add_f64 v[58:59], v[90:91], v[58:59]
	;; [unrolled: 1-line block ×4, first 2 shown]
	v_mul_f64 v[92:93], v[34:35], v[42:43]
	v_mul_f64 v[94:95], v[32:33], v[42:43]
	v_mul_f64 v[98:99], v[46:47], v[38:39]
	v_mul_f64 v[38:39], v[44:45], v[38:39]
	v_add_f64 v[60:61], v[110:111], v[66:67]
	v_add_f64 v[7:8], v[7:8], v[52:53]
	;; [unrolled: 1-line block ×3, first 2 shown]
	v_mul_f64 v[52:53], v[46:47], v[42:43]
	v_mul_f64 v[42:43], v[44:45], v[42:43]
	s_barrier
	v_fma_f64 v[56:57], v[32:33], v[36:37], -v[84:85]
	buffer_gl0_inv
	v_fma_f64 v[66:67], v[34:35], v[36:37], v[88:89]
	v_add_f64 v[50:51], v[50:51], v[76:77]
	v_fma_f64 v[32:33], v[32:33], v[40:41], -v[92:93]
	v_fma_f64 v[34:35], v[34:35], v[40:41], v[94:95]
	v_fma_f64 v[80:81], v[44:45], v[36:37], -v[98:99]
	v_fma_f64 v[36:37], v[46:47], v[36:37], v[38:39]
	v_add_f64 v[38:39], v[54:55], v[68:69]
	v_add_f64 v[54:55], v[70:71], v[58:59]
	;; [unrolled: 1-line block ×7, first 2 shown]
	v_fma_f64 v[44:45], v[44:45], v[40:41], -v[52:53]
	v_fma_f64 v[40:41], v[46:47], v[40:41], v[42:43]
	v_mul_f64 v[42:43], v[5:6], v[20:21]
	v_mul_f64 v[46:47], v[3:4], v[20:21]
	;; [unrolled: 1-line block ×8, first 2 shown]
	v_add_f64 v[50:51], v[50:51], v[80:81]
	v_add_f64 v[38:39], v[38:39], v[56:57]
	;; [unrolled: 1-line block ×8, first 2 shown]
	v_fma_f64 v[42:43], v[3:4], v[18:19], -v[42:43]
	v_fma_f64 v[44:45], v[5:6], v[18:19], v[46:47]
	v_fma_f64 v[3:4], v[3:4], v[22:23], -v[52:53]
	v_fma_f64 v[5:6], v[5:6], v[22:23], v[64:65]
	v_fma_f64 v[46:47], v[14:15], v[18:19], -v[68:69]
	v_fma_f64 v[48:49], v[16:17], v[18:19], v[20:21]
	v_fma_f64 v[52:53], v[14:15], v[22:23], -v[70:71]
	v_fma_f64 v[56:57], v[16:17], v[22:23], v[24:25]
	v_add_f64 v[22:23], v[38:39], v[42:43]
	v_add_f64 v[24:25], v[44:45], v[54:55]
	;; [unrolled: 1-line block ×8, first 2 shown]
	s_cbranch_scc0 .LBB415_15
.LBB415_7:                              ; =>This Inner Loop Header: Depth=1
	v_add_nc_u32_e32 v3, s9, v27
	v_cmp_le_i32_e32 vcc_lo, s3, v3
	s_or_b32 s18, s1, vcc_lo
	s_and_saveexec_b32 s19, s18
	s_xor_b32 s18, exec_lo, s19
	s_cbranch_execz .LBB415_9
; %bb.8:                                ;   in Loop: Header=BB415_7 Depth=1
	v_mov_b32_e32 v3, v2
	v_mov_b32_e32 v4, v2
	;; [unrolled: 1-line block ×3, first 2 shown]
	ds_write_b128 v28, v[2:5]
.LBB415_9:                              ;   in Loop: Header=BB415_7 Depth=1
	s_andn2_saveexec_b32 s18, s18
	s_cbranch_execz .LBB415_11
; %bb.10:                               ;   in Loop: Header=BB415_7 Depth=1
	flat_load_dwordx4 v[32:35], v[10:11]
	s_waitcnt vmcnt(0) lgkmcnt(0)
	ds_write2_b64 v28, v[32:33], v[34:35] offset1:1
.LBB415_11:                             ;   in Loop: Header=BB415_7 Depth=1
	s_or_b32 exec_lo, exec_lo, s18
	v_add_nc_u32_e32 v3, s9, v26
	v_cmp_le_i32_e32 vcc_lo, s3, v3
	s_or_b32 s18, vcc_lo, s0
	s_and_saveexec_b32 s19, s18
	s_xor_b32 s18, exec_lo, s19
	s_cbranch_execz .LBB415_13
; %bb.12:                               ;   in Loop: Header=BB415_7 Depth=1
	v_mov_b32_e32 v3, v2
	v_mov_b32_e32 v4, v2
	;; [unrolled: 1-line block ×3, first 2 shown]
	ds_write_b128 v29, v[2:5]
.LBB415_13:                             ;   in Loop: Header=BB415_7 Depth=1
	s_andn2_saveexec_b32 s18, s18
	s_cbranch_execz .LBB415_6
; %bb.14:                               ;   in Loop: Header=BB415_7 Depth=1
	flat_load_dwordx4 v[32:35], v[12:13]
	s_waitcnt vmcnt(0) lgkmcnt(0)
	ds_write2_b64 v29, v[32:33], v[34:35] offset1:1
	s_branch .LBB415_6
.LBB415_15:
	s_clause 0x1
	s_load_dword s3, s[4:5], 0x60
	s_load_dwordx2 s[4:5], s[4:5], 0x68
	v_cmp_neq_f64_e64 s6, s[14:15], 0
	v_add_nc_u32_e32 v27, s31, v1
	v_add_nc_u32_e32 v4, s8, v0
	v_cmp_gt_i32_e64 s0, s2, v27
	v_cmp_le_i32_e32 vcc_lo, v4, v27
	v_ashrrev_i32_e32 v5, 31, v4
	s_waitcnt lgkmcnt(0)
	v_mad_i64_i32 v[1:2], null, v27, s3, 0
	s_lshl_b64 s[4:5], s[4:5], 4
	s_add_u32 s4, s10, s4
	s_addc_u32 s5, s11, s5
	s_xor_b32 s7, s30, -1
	s_or_b32 s6, s6, s7
	v_lshlrev_b64 v[0:1], 4, v[1:2]
	v_cndmask_b32_e64 v26, 0, 1, s6
	s_and_b32 s7, s0, vcc_lo
	v_add_co_u32 v12, s1, s4, v0
	v_add_co_ci_u32_e64 v13, null, s5, v1, s1
	s_and_saveexec_b32 s1, s7
	s_cbranch_execz .LBB415_19
; %bb.16:
	v_mul_f64 v[0:1], s[22:23], v[24:25]
	v_mul_f64 v[2:3], s[20:21], v[24:25]
	v_lshlrev_b64 v[10:11], 4, v[4:5]
	v_add_co_u32 v10, vcc_lo, v12, v10
	v_add_co_ci_u32_e64 v11, null, v13, v11, vcc_lo
	s_andn2_b32 vcc_lo, exec_lo, s6
	v_fma_f64 v[0:1], s[20:21], v[22:23], -v[0:1]
	v_fma_f64 v[2:3], s[22:23], v[22:23], v[2:3]
	s_cbranch_vccnz .LBB415_18
; %bb.17:
	flat_load_dwordx4 v[22:25], v[10:11]
	s_waitcnt vmcnt(0) lgkmcnt(0)
	v_mul_f64 v[28:29], s[16:17], v[24:25]
	v_mul_f64 v[24:25], s[14:15], v[24:25]
	v_fma_f64 v[28:29], s[14:15], v[22:23], -v[28:29]
	v_fma_f64 v[22:23], s[16:17], v[22:23], v[24:25]
	v_add_f64 v[0:1], v[0:1], v[28:29]
	v_add_f64 v[2:3], v[2:3], v[22:23]
.LBB415_18:
	flat_store_dwordx4 v[10:11], v[0:3]
.LBB415_19:
	s_or_b32 exec_lo, exec_lo, s1
	v_add_nc_u32_e32 v10, 16, v4
	v_cmp_le_i32_e32 vcc_lo, v10, v27
	v_ashrrev_i32_e32 v11, 31, v10
	s_and_b32 s0, s0, vcc_lo
	s_and_saveexec_b32 s1, s0
	s_cbranch_execz .LBB415_23
; %bb.20:
	v_mul_f64 v[0:1], s[22:23], v[20:21]
	v_mul_f64 v[2:3], s[20:21], v[20:21]
	v_cmp_ne_u32_e32 vcc_lo, 1, v26
	s_and_b32 vcc_lo, exec_lo, vcc_lo
	v_fma_f64 v[0:1], s[20:21], v[18:19], -v[0:1]
	v_fma_f64 v[2:3], s[22:23], v[18:19], v[2:3]
	v_lshlrev_b64 v[18:19], 4, v[10:11]
	v_add_co_u32 v12, s0, v12, v18
	v_add_co_ci_u32_e64 v13, null, v13, v19, s0
	s_cbranch_vccnz .LBB415_22
; %bb.21:
	flat_load_dwordx4 v[18:21], v[12:13]
	s_waitcnt vmcnt(0) lgkmcnt(0)
	v_mul_f64 v[22:23], s[16:17], v[20:21]
	v_mul_f64 v[20:21], s[14:15], v[20:21]
	v_fma_f64 v[22:23], s[14:15], v[18:19], -v[22:23]
	v_fma_f64 v[18:19], s[16:17], v[18:19], v[20:21]
	v_add_f64 v[0:1], v[0:1], v[22:23]
	v_add_f64 v[2:3], v[2:3], v[18:19]
.LBB415_22:
	flat_store_dwordx4 v[12:13], v[0:3]
.LBB415_23:
	s_or_b32 exec_lo, exec_lo, s1
	v_add_nc_u32_e32 v18, 16, v27
	v_mad_i64_i32 v[0:1], null, v18, s3, 0
	v_cmp_gt_i32_e64 s0, s2, v18
	v_cmp_le_i32_e32 vcc_lo, v4, v18
	v_lshlrev_b64 v[0:1], 4, v[0:1]
	v_add_co_u32 v12, s1, s4, v0
	v_add_co_ci_u32_e64 v13, null, s5, v1, s1
	s_and_b32 s1, s0, vcc_lo
	s_and_saveexec_b32 s2, s1
	s_cbranch_execz .LBB415_27
; %bb.24:
	v_mul_f64 v[0:1], s[22:23], v[16:17]
	v_mul_f64 v[2:3], s[20:21], v[16:17]
	v_lshlrev_b64 v[4:5], 4, v[4:5]
	v_cmp_ne_u32_e32 vcc_lo, 1, v26
	s_and_b32 vcc_lo, exec_lo, vcc_lo
	v_add_co_u32 v4, s1, v12, v4
	v_add_co_ci_u32_e64 v5, null, v13, v5, s1
	v_fma_f64 v[0:1], s[20:21], v[14:15], -v[0:1]
	v_fma_f64 v[2:3], s[22:23], v[14:15], v[2:3]
	s_cbranch_vccnz .LBB415_26
; %bb.25:
	flat_load_dwordx4 v[14:17], v[4:5]
	s_waitcnt vmcnt(0) lgkmcnt(0)
	v_mul_f64 v[19:20], s[16:17], v[16:17]
	v_mul_f64 v[16:17], s[14:15], v[16:17]
	v_fma_f64 v[19:20], s[14:15], v[14:15], -v[19:20]
	v_fma_f64 v[14:15], s[16:17], v[14:15], v[16:17]
	v_add_f64 v[0:1], v[0:1], v[19:20]
	v_add_f64 v[2:3], v[2:3], v[14:15]
.LBB415_26:
	flat_store_dwordx4 v[4:5], v[0:3]
.LBB415_27:
	s_or_b32 exec_lo, exec_lo, s2
	v_cmp_le_i32_e32 vcc_lo, v10, v18
	s_and_b32 s0, s0, vcc_lo
	s_and_saveexec_b32 s1, s0
	s_cbranch_execz .LBB415_32
; %bb.28:
	v_mul_f64 v[0:1], s[22:23], v[6:7]
	v_mul_f64 v[2:3], s[20:21], v[6:7]
	v_lshlrev_b64 v[4:5], 4, v[10:11]
	v_cmp_ne_u32_e32 vcc_lo, 1, v26
	s_and_b32 vcc_lo, exec_lo, vcc_lo
	v_add_co_u32 v4, s0, v12, v4
	v_add_co_ci_u32_e64 v5, null, v13, v5, s0
	v_fma_f64 v[0:1], s[20:21], v[8:9], -v[0:1]
	v_fma_f64 v[2:3], s[22:23], v[8:9], v[2:3]
	s_cbranch_vccnz .LBB415_30
; %bb.29:
	flat_load_dwordx4 v[6:9], v[4:5]
	s_waitcnt vmcnt(0) lgkmcnt(0)
	v_mul_f64 v[10:11], s[16:17], v[8:9]
	v_mul_f64 v[8:9], s[14:15], v[8:9]
	v_fma_f64 v[10:11], s[14:15], v[6:7], -v[10:11]
	v_fma_f64 v[6:7], s[16:17], v[6:7], v[8:9]
	v_add_f64 v[0:1], v[0:1], v[10:11]
	v_add_f64 v[2:3], v[2:3], v[6:7]
.LBB415_30:
	flat_store_dwordx4 v[4:5], v[0:3]
	s_endpgm
.LBB415_31:
.LBB415_32:
	s_endpgm
	.section	.rodata,"a",@progbits
	.p2align	6, 0x0
	.amdhsa_kernel _ZL29rocblas_internal_gemmt_kernelIiLi16ELi32ELi8ELc78ELc84ELc85ELb0ELb0E19rocblas_complex_numIdES1_PKPKS1_PKPS1_EviT_T9_T10_S9_lSB_S9_lSA_T11_S9_li
		.amdhsa_group_segment_fixed_size 8192
		.amdhsa_private_segment_fixed_size 0
		.amdhsa_kernarg_size 116
		.amdhsa_user_sgpr_count 6
		.amdhsa_user_sgpr_private_segment_buffer 1
		.amdhsa_user_sgpr_dispatch_ptr 0
		.amdhsa_user_sgpr_queue_ptr 0
		.amdhsa_user_sgpr_kernarg_segment_ptr 1
		.amdhsa_user_sgpr_dispatch_id 0
		.amdhsa_user_sgpr_flat_scratch_init 0
		.amdhsa_user_sgpr_private_segment_size 0
		.amdhsa_wavefront_size32 1
		.amdhsa_uses_dynamic_stack 0
		.amdhsa_system_sgpr_private_segment_wavefront_offset 0
		.amdhsa_system_sgpr_workgroup_id_x 1
		.amdhsa_system_sgpr_workgroup_id_y 1
		.amdhsa_system_sgpr_workgroup_id_z 1
		.amdhsa_system_sgpr_workgroup_info 0
		.amdhsa_system_vgpr_workitem_id 1
		.amdhsa_next_free_vgpr 128
		.amdhsa_next_free_sgpr 36
		.amdhsa_reserve_vcc 1
		.amdhsa_reserve_flat_scratch 0
		.amdhsa_float_round_mode_32 0
		.amdhsa_float_round_mode_16_64 0
		.amdhsa_float_denorm_mode_32 3
		.amdhsa_float_denorm_mode_16_64 3
		.amdhsa_dx10_clamp 1
		.amdhsa_ieee_mode 1
		.amdhsa_fp16_overflow 0
		.amdhsa_workgroup_processor_mode 1
		.amdhsa_memory_ordered 1
		.amdhsa_forward_progress 1
		.amdhsa_shared_vgpr_count 0
		.amdhsa_exception_fp_ieee_invalid_op 0
		.amdhsa_exception_fp_denorm_src 0
		.amdhsa_exception_fp_ieee_div_zero 0
		.amdhsa_exception_fp_ieee_overflow 0
		.amdhsa_exception_fp_ieee_underflow 0
		.amdhsa_exception_fp_ieee_inexact 0
		.amdhsa_exception_int_div_zero 0
	.end_amdhsa_kernel
	.section	.text._ZL29rocblas_internal_gemmt_kernelIiLi16ELi32ELi8ELc78ELc84ELc85ELb0ELb0E19rocblas_complex_numIdES1_PKPKS1_PKPS1_EviT_T9_T10_S9_lSB_S9_lSA_T11_S9_li,"axG",@progbits,_ZL29rocblas_internal_gemmt_kernelIiLi16ELi32ELi8ELc78ELc84ELc85ELb0ELb0E19rocblas_complex_numIdES1_PKPKS1_PKPS1_EviT_T9_T10_S9_lSB_S9_lSA_T11_S9_li,comdat
.Lfunc_end415:
	.size	_ZL29rocblas_internal_gemmt_kernelIiLi16ELi32ELi8ELc78ELc84ELc85ELb0ELb0E19rocblas_complex_numIdES1_PKPKS1_PKPS1_EviT_T9_T10_S9_lSB_S9_lSA_T11_S9_li, .Lfunc_end415-_ZL29rocblas_internal_gemmt_kernelIiLi16ELi32ELi8ELc78ELc84ELc85ELb0ELb0E19rocblas_complex_numIdES1_PKPKS1_PKPS1_EviT_T9_T10_S9_lSB_S9_lSA_T11_S9_li
                                        ; -- End function
	.set _ZL29rocblas_internal_gemmt_kernelIiLi16ELi32ELi8ELc78ELc84ELc85ELb0ELb0E19rocblas_complex_numIdES1_PKPKS1_PKPS1_EviT_T9_T10_S9_lSB_S9_lSA_T11_S9_li.num_vgpr, 128
	.set _ZL29rocblas_internal_gemmt_kernelIiLi16ELi32ELi8ELc78ELc84ELc85ELb0ELb0E19rocblas_complex_numIdES1_PKPKS1_PKPS1_EviT_T9_T10_S9_lSB_S9_lSA_T11_S9_li.num_agpr, 0
	.set _ZL29rocblas_internal_gemmt_kernelIiLi16ELi32ELi8ELc78ELc84ELc85ELb0ELb0E19rocblas_complex_numIdES1_PKPKS1_PKPS1_EviT_T9_T10_S9_lSB_S9_lSA_T11_S9_li.numbered_sgpr, 36
	.set _ZL29rocblas_internal_gemmt_kernelIiLi16ELi32ELi8ELc78ELc84ELc85ELb0ELb0E19rocblas_complex_numIdES1_PKPKS1_PKPS1_EviT_T9_T10_S9_lSB_S9_lSA_T11_S9_li.num_named_barrier, 0
	.set _ZL29rocblas_internal_gemmt_kernelIiLi16ELi32ELi8ELc78ELc84ELc85ELb0ELb0E19rocblas_complex_numIdES1_PKPKS1_PKPS1_EviT_T9_T10_S9_lSB_S9_lSA_T11_S9_li.private_seg_size, 0
	.set _ZL29rocblas_internal_gemmt_kernelIiLi16ELi32ELi8ELc78ELc84ELc85ELb0ELb0E19rocblas_complex_numIdES1_PKPKS1_PKPS1_EviT_T9_T10_S9_lSB_S9_lSA_T11_S9_li.uses_vcc, 1
	.set _ZL29rocblas_internal_gemmt_kernelIiLi16ELi32ELi8ELc78ELc84ELc85ELb0ELb0E19rocblas_complex_numIdES1_PKPKS1_PKPS1_EviT_T9_T10_S9_lSB_S9_lSA_T11_S9_li.uses_flat_scratch, 0
	.set _ZL29rocblas_internal_gemmt_kernelIiLi16ELi32ELi8ELc78ELc84ELc85ELb0ELb0E19rocblas_complex_numIdES1_PKPKS1_PKPS1_EviT_T9_T10_S9_lSB_S9_lSA_T11_S9_li.has_dyn_sized_stack, 0
	.set _ZL29rocblas_internal_gemmt_kernelIiLi16ELi32ELi8ELc78ELc84ELc85ELb0ELb0E19rocblas_complex_numIdES1_PKPKS1_PKPS1_EviT_T9_T10_S9_lSB_S9_lSA_T11_S9_li.has_recursion, 0
	.set _ZL29rocblas_internal_gemmt_kernelIiLi16ELi32ELi8ELc78ELc84ELc85ELb0ELb0E19rocblas_complex_numIdES1_PKPKS1_PKPS1_EviT_T9_T10_S9_lSB_S9_lSA_T11_S9_li.has_indirect_call, 0
	.section	.AMDGPU.csdata,"",@progbits
; Kernel info:
; codeLenInByte = 3540
; TotalNumSgprs: 38
; NumVgprs: 128
; ScratchSize: 0
; MemoryBound: 0
; FloatMode: 240
; IeeeMode: 1
; LDSByteSize: 8192 bytes/workgroup (compile time only)
; SGPRBlocks: 0
; VGPRBlocks: 15
; NumSGPRsForWavesPerEU: 38
; NumVGPRsForWavesPerEU: 128
; Occupancy: 8
; WaveLimiterHint : 1
; COMPUTE_PGM_RSRC2:SCRATCH_EN: 0
; COMPUTE_PGM_RSRC2:USER_SGPR: 6
; COMPUTE_PGM_RSRC2:TRAP_HANDLER: 0
; COMPUTE_PGM_RSRC2:TGID_X_EN: 1
; COMPUTE_PGM_RSRC2:TGID_Y_EN: 1
; COMPUTE_PGM_RSRC2:TGID_Z_EN: 1
; COMPUTE_PGM_RSRC2:TIDIG_COMP_CNT: 1
	.section	.text._ZL29rocblas_internal_gemmt_kernelIiLi16ELi32ELi8ELc78ELc67ELc85ELb0ELb1E19rocblas_complex_numIdES1_PKPKS1_PKPS1_EviT_T9_T10_S9_lSB_S9_lSA_T11_S9_li,"axG",@progbits,_ZL29rocblas_internal_gemmt_kernelIiLi16ELi32ELi8ELc78ELc67ELc85ELb0ELb1E19rocblas_complex_numIdES1_PKPKS1_PKPS1_EviT_T9_T10_S9_lSB_S9_lSA_T11_S9_li,comdat
	.globl	_ZL29rocblas_internal_gemmt_kernelIiLi16ELi32ELi8ELc78ELc67ELc85ELb0ELb1E19rocblas_complex_numIdES1_PKPKS1_PKPS1_EviT_T9_T10_S9_lSB_S9_lSA_T11_S9_li ; -- Begin function _ZL29rocblas_internal_gemmt_kernelIiLi16ELi32ELi8ELc78ELc67ELc85ELb0ELb1E19rocblas_complex_numIdES1_PKPKS1_PKPS1_EviT_T9_T10_S9_lSB_S9_lSA_T11_S9_li
	.p2align	8
	.type	_ZL29rocblas_internal_gemmt_kernelIiLi16ELi32ELi8ELc78ELc67ELc85ELb0ELb1E19rocblas_complex_numIdES1_PKPKS1_PKPS1_EviT_T9_T10_S9_lSB_S9_lSA_T11_S9_li,@function
_ZL29rocblas_internal_gemmt_kernelIiLi16ELi32ELi8ELc78ELc67ELc85ELb0ELb1E19rocblas_complex_numIdES1_PKPKS1_PKPS1_EviT_T9_T10_S9_lSB_S9_lSA_T11_S9_li: ; @_ZL29rocblas_internal_gemmt_kernelIiLi16ELi32ELi8ELc78ELc67ELc85ELb0ELb1E19rocblas_complex_numIdES1_PKPKS1_PKPS1_EviT_T9_T10_S9_lSB_S9_lSA_T11_S9_li
; %bb.0:
	s_clause 0x2
	s_load_dwordx8 s[12:19], s[4:5], 0x40
	s_load_dwordx2 s[2:3], s[4:5], 0x0
	s_load_dwordx4 s[20:23], s[4:5], 0x8
	s_waitcnt lgkmcnt(0)
	v_cmp_eq_f64_e64 s0, s[14:15], 1.0
	v_cmp_eq_f64_e64 s30, s[16:17], 0
	s_and_b32 s0, s0, s30
	s_andn2_b32 vcc_lo, exec_lo, s0
	s_mov_b32 s0, -1
	s_cbranch_vccnz .LBB416_3
; %bb.1:
	s_cmp_lg_u32 s3, 0
	s_cbranch_scc0 .LBB416_29
; %bb.2:
	v_cmp_neq_f64_e64 s0, s[20:21], 0
	v_cmp_neq_f64_e64 s1, s[22:23], 0
	s_or_b32 s0, s0, s1
.LBB416_3:
	s_and_b32 vcc_lo, exec_lo, s0
	s_cbranch_vccz .LBB416_30
; %bb.4:
	v_cmp_eq_f64_e64 s24, s[20:21], 0
	v_cmp_eq_f64_e64 s25, s[22:23], 0
	s_mov_b32 s9, 0
	v_mov_b32_e32 v23, 0
	s_lshl_b64 s[28:29], s[8:9], 3
	v_mov_b32_e32 v25, 0
	s_add_u32 s0, s18, s28
	s_addc_u32 s1, s19, s29
	s_lshl_b32 s8, s6, 5
	s_load_dwordx2 s[10:11], s[0:1], 0x0
	s_lshl_b32 s31, s7, 5
	v_mov_b32_e32 v19, 0
	v_mov_b32_e32 v21, 0
	v_mov_b32_e32 v15, 0
	v_mov_b32_e32 v17, 0
	v_mov_b32_e32 v9, 0
	v_mov_b32_e32 v7, 0
	v_mov_b32_e32 v24, 0
	v_mov_b32_e32 v26, 0
	v_mov_b32_e32 v20, 0
	v_mov_b32_e32 v22, 0
	v_mov_b32_e32 v16, 0
	v_mov_b32_e32 v18, 0
	s_and_b32 s0, s24, s25
	s_cmp_lt_i32 s3, 1
	v_mov_b32_e32 v10, 0
	s_cselect_b32 s1, -1, 0
	v_mov_b32_e32 v8, 0
	s_or_b32 s0, s0, s1
	s_and_b32 vcc_lo, exec_lo, s0
	s_cbranch_vccnz .LBB416_13
; %bb.5:
	s_clause 0x3
	s_load_dword s6, s[4:5], 0x20
	s_load_dword s18, s[4:5], 0x38
	s_load_dwordx4 s[24:27], s[4:5], 0x28
	s_load_dwordx2 s[34:35], s[4:5], 0x18
	v_lshl_add_u32 v2, v1, 4, v0
	v_and_b32_e32 v27, 7, v0
	v_mov_b32_e32 v17, 0
	v_mov_b32_e32 v15, 0
	;; [unrolled: 1-line block ×3, first 2 shown]
	v_and_b32_e32 v8, 31, v2
	v_lshrrev_b32_e32 v3, 3, v2
	v_lshrrev_b32_e32 v28, 5, v2
	v_lshlrev_b32_e32 v4, 4, v27
	v_mov_b32_e32 v19, 0
	v_or_b32_e32 v5, s8, v8
	v_lshlrev_b32_e32 v6, 4, v8
	v_add_nc_u32_e32 v2, s31, v3
	v_lshl_or_b32 v3, v3, 7, v4
	v_add_nc_u32_e32 v8, s8, v8
	v_cmp_gt_i32_e64 s0, s2, v5
	v_lshl_or_b32 v29, v28, 9, v6
	s_waitcnt lgkmcnt(0)
	v_mad_i64_i32 v[4:5], null, v28, s6, 0
	s_ashr_i32 s7, s6, 31
	s_ashr_i32 s19, s18, 31
	s_add_u32 s26, s26, s28
	s_addc_u32 s27, s27, s29
	s_add_u32 s28, s34, s28
	v_mad_i64_i32 v[6:7], null, s18, v27, 0
	s_addc_u32 s29, s35, s29
	s_load_dwordx2 s[26:27], s[26:27], 0x0
	s_load_dwordx2 s[28:29], s[28:29], 0x0
	v_lshlrev_b64 v[4:5], 4, v[4:5]
	v_ashrrev_i32_e32 v9, 31, v8
	s_lshl_b64 s[24:25], s[24:25], 4
	v_add_nc_u32_e32 v30, 0x1000, v3
	v_ashrrev_i32_e32 v3, 31, v2
	v_lshlrev_b64 v[6:7], 4, v[6:7]
	v_add_co_u32 v10, s1, v4, s24
	v_add_co_ci_u32_e64 v11, null, s25, v5, s1
	v_lshlrev_b64 v[4:5], 4, v[8:9]
	s_lshl_b64 s[12:13], s[12:13], 4
	v_cmp_gt_i32_e32 vcc_lo, s2, v2
	v_lshlrev_b64 v[2:3], 4, v[2:3]
	v_add_co_u32 v6, s1, v6, s12
	v_add_co_ci_u32_e64 v7, null, s13, v7, s1
	v_add_co_u32 v4, s1, v10, v4
	v_add_co_ci_u32_e64 v5, null, v11, v5, s1
	;; [unrolled: 2-line block ×3, first 2 shown]
	s_waitcnt lgkmcnt(0)
	v_add_co_u32 v11, s1, s28, v4
	v_add_co_ci_u32_e64 v12, null, s29, v5, s1
	v_add_co_u32 v13, s1, s26, v2
	v_mov_b32_e32 v7, 0
	v_mov_b32_e32 v9, 0
	;; [unrolled: 1-line block ×4, first 2 shown]
	v_lshlrev_b32_e32 v31, 4, v0
	v_lshl_add_u32 v32, v1, 7, 0x1000
	v_add_co_ci_u32_e64 v14, null, s27, v3, s1
	v_mov_b32_e32 v8, 0
	v_mov_b32_e32 v10, 0
	v_mov_b32_e32 v18, 0
	v_mov_b32_e32 v16, 0
	v_mov_b32_e32 v22, 0
	v_mov_b32_e32 v20, 0
	v_mov_b32_e32 v26, 0
	v_mov_b32_e32 v24, 0
	v_mov_b32_e32 v2, 0
	s_lshl_b64 s[6:7], s[6:7], 7
	s_lshl_b64 s[12:13], s[18:19], 7
	s_xor_b32 s1, s0, -1
	s_branch .LBB416_7
.LBB416_6:                              ;   in Loop: Header=BB416_7 Depth=1
	s_or_b32 exec_lo, exec_lo, s0
	ds_write_b128 v30, v[3:6]
	s_waitcnt lgkmcnt(0)
	s_barrier
	buffer_gl0_inv
	ds_read_b128 v[3:6], v32
	ds_read_b128 v[33:36], v31
	ds_read_b128 v[37:40], v31 offset:256
	ds_read_b128 v[41:44], v32 offset:2048
	;; [unrolled: 1-line block ×12, first 2 shown]
	v_add_co_u32 v11, s0, v11, s6
	v_add_co_ci_u32_e64 v12, null, s7, v12, s0
	v_add_co_u32 v13, s0, v13, s12
	v_add_co_ci_u32_e64 v14, null, s13, v14, s0
	s_waitcnt lgkmcnt(12)
	v_mul_f64 v[85:86], v[5:6], v[35:36]
	v_mul_f64 v[87:88], v[3:4], v[35:36]
	s_waitcnt lgkmcnt(11)
	v_mul_f64 v[89:90], v[5:6], v[39:40]
	v_mul_f64 v[91:92], v[3:4], v[39:40]
	;; [unrolled: 3-line block ×3, first 2 shown]
	v_mul_f64 v[95:96], v[43:44], v[39:40]
	v_mul_f64 v[39:40], v[41:42], v[39:40]
	s_waitcnt lgkmcnt(8)
	v_mul_f64 v[97:98], v[47:48], v[51:52]
	v_mul_f64 v[99:100], v[45:46], v[51:52]
	s_waitcnt lgkmcnt(7)
	;; [unrolled: 3-line block ×3, first 2 shown]
	v_mul_f64 v[105:106], v[59:60], v[51:52]
	v_mul_f64 v[51:52], v[57:58], v[51:52]
	;; [unrolled: 1-line block ×4, first 2 shown]
	s_waitcnt lgkmcnt(4)
	v_mul_f64 v[109:110], v[63:64], v[67:68]
	v_mul_f64 v[111:112], v[61:62], v[67:68]
	s_waitcnt lgkmcnt(3)
	v_mul_f64 v[113:114], v[63:64], v[71:72]
	v_mul_f64 v[115:116], v[61:62], v[71:72]
	;; [unrolled: 3-line block ×3, first 2 shown]
	v_fma_f64 v[85:86], v[3:4], v[33:34], -v[85:86]
	v_fma_f64 v[87:88], v[5:6], v[33:34], v[87:88]
	v_fma_f64 v[89:90], v[3:4], v[37:38], -v[89:90]
	v_fma_f64 v[91:92], v[5:6], v[37:38], v[91:92]
	;; [unrolled: 2-line block ×4, first 2 shown]
	v_mul_f64 v[123:124], v[75:76], v[71:72]
	v_mul_f64 v[71:72], v[73:74], v[71:72]
	v_fma_f64 v[97:98], v[45:46], v[49:50], -v[97:98]
	v_fma_f64 v[99:100], v[47:48], v[49:50], v[99:100]
	v_fma_f64 v[101:102], v[45:46], v[53:54], -v[101:102]
	v_fma_f64 v[103:104], v[47:48], v[53:54], v[103:104]
	;; [unrolled: 2-line block ×7, first 2 shown]
	v_add_f64 v[23:24], v[23:24], v[85:86]
	v_add_f64 v[25:26], v[87:88], v[25:26]
	;; [unrolled: 1-line block ×6, first 2 shown]
	v_fma_f64 v[73:74], v[73:74], v[69:70], -v[123:124]
	v_fma_f64 v[69:70], v[75:76], v[69:70], v[71:72]
	v_add_f64 v[71:72], v[15:16], v[93:94]
	v_add_f64 v[75:76], v[119:120], v[17:18]
	ds_read_b128 v[3:6], v31 offset:1536
	ds_read_b128 v[33:36], v31 offset:1792
	;; [unrolled: 1-line block ×7, first 2 shown]
	s_add_i32 s9, s9, 8
	s_cmp_lt_i32 s9, s3
	v_add_f64 v[97:98], v[23:24], v[97:98]
	v_add_f64 v[99:100], v[99:100], v[25:26]
	;; [unrolled: 1-line block ×6, first 2 shown]
	ds_read_b128 v[19:22], v31 offset:2560
	ds_read_b128 v[23:26], v31 offset:2816
	s_waitcnt lgkmcnt(8)
	v_mul_f64 v[109:110], v[79:80], v[5:6]
	v_mul_f64 v[111:112], v[77:78], v[5:6]
	s_waitcnt lgkmcnt(7)
	v_mul_f64 v[67:68], v[79:80], v[35:36]
	v_mul_f64 v[113:114], v[77:78], v[35:36]
	;; [unrolled: 1-line block ×6, first 2 shown]
	s_waitcnt lgkmcnt(4)
	v_mul_f64 v[95:96], v[39:40], v[47:48]
	v_add_f64 v[71:72], v[71:72], v[105:106]
	v_add_f64 v[75:76], v[125:126], v[75:76]
	v_mul_f64 v[93:94], v[37:38], v[43:44]
	ds_read_b128 v[5:8], v32 offset:80
	v_add_f64 v[55:56], v[97:98], v[55:56]
	v_add_f64 v[59:60], v[59:60], v[99:100]
	;; [unrolled: 1-line block ×6, first 2 shown]
	s_waitcnt lgkmcnt(2)
	v_mul_f64 v[99:100], v[17:18], v[21:22]
	s_waitcnt lgkmcnt(1)
	v_mul_f64 v[101:102], v[17:18], v[25:26]
	v_fma_f64 v[89:90], v[77:78], v[3:4], -v[109:110]
	v_fma_f64 v[91:92], v[79:80], v[3:4], v[111:112]
	v_fma_f64 v[67:68], v[77:78], v[33:34], -v[67:68]
	v_mul_f64 v[77:78], v[39:40], v[43:44]
	v_mul_f64 v[109:110], v[37:38], v[47:48]
	v_fma_f64 v[79:80], v[79:80], v[33:34], v[113:114]
	v_mul_f64 v[111:112], v[51:52], v[43:44]
	v_mul_f64 v[43:44], v[49:50], v[43:44]
	v_fma_f64 v[57:58], v[81:82], v[3:4], -v[115:116]
	v_fma_f64 v[3:4], v[83:84], v[3:4], v[117:118]
	v_fma_f64 v[81:82], v[81:82], v[33:34], -v[87:88]
	v_fma_f64 v[83:84], v[83:84], v[33:34], v[35:36]
	v_fma_f64 v[87:88], v[37:38], v[45:46], -v[95:96]
	v_mul_f64 v[95:96], v[51:52], v[47:48]
	v_mul_f64 v[47:48], v[49:50], v[47:48]
	v_add_f64 v[71:72], v[71:72], v[107:108]
	v_add_f64 v[65:66], v[65:66], v[75:76]
	v_fma_f64 v[85:86], v[39:40], v[41:42], v[93:94]
	s_waitcnt lgkmcnt(0)
	v_mul_f64 v[69:70], v[7:8], v[21:22]
	v_mul_f64 v[73:74], v[5:6], v[21:22]
	v_mul_f64 v[75:76], v[7:8], v[25:26]
	v_mul_f64 v[97:98], v[5:6], v[25:26]
	v_mul_f64 v[21:22], v[15:16], v[21:22]
	v_mul_f64 v[25:26], v[15:16], v[25:26]
	v_add_f64 v[55:56], v[55:56], v[89:90]
	v_fma_f64 v[77:78], v[37:38], v[41:42], -v[77:78]
	v_fma_f64 v[93:94], v[39:40], v[45:46], v[109:110]
	v_add_f64 v[59:60], v[91:92], v[59:60]
	v_fma_f64 v[105:106], v[49:50], v[41:42], -v[111:112]
	v_fma_f64 v[109:110], v[51:52], v[41:42], v[43:44]
	v_add_f64 v[61:62], v[61:62], v[67:68]
	v_add_f64 v[63:64], v[79:80], v[63:64]
	;; [unrolled: 1-line block ×4, first 2 shown]
	ds_read_b128 v[33:36], v32 offset:96
	ds_read_b128 v[37:40], v31 offset:3072
	v_fma_f64 v[49:50], v[49:50], v[45:46], -v[95:96]
	v_fma_f64 v[51:52], v[51:52], v[45:46], v[47:48]
	v_add_f64 v[57:58], v[71:72], v[57:58]
	v_add_f64 v[65:66], v[3:4], v[65:66]
	ds_read_b128 v[41:44], v31 offset:3328
	ds_read_b128 v[45:48], v32 offset:2144
	v_fma_f64 v[69:70], v[5:6], v[19:20], -v[69:70]
	v_fma_f64 v[71:72], v[7:8], v[19:20], v[73:74]
	v_fma_f64 v[73:74], v[5:6], v[23:24], -v[75:76]
	v_fma_f64 v[75:76], v[7:8], v[23:24], v[97:98]
	;; [unrolled: 2-line block ×4, first 2 shown]
	v_add_f64 v[55:56], v[55:56], v[77:78]
	v_add_f64 v[59:60], v[85:86], v[59:60]
	ds_read_b128 v[3:6], v32 offset:112
	ds_read_b128 v[7:10], v32 offset:2160
	v_add_f64 v[61:62], v[61:62], v[87:88]
	v_add_f64 v[63:64], v[93:94], v[63:64]
	s_waitcnt lgkmcnt(4)
	v_mul_f64 v[89:90], v[35:36], v[39:40]
	v_mul_f64 v[25:26], v[33:34], v[39:40]
	ds_read_b128 v[15:18], v31 offset:3584
	ds_read_b128 v[19:22], v31 offset:3840
	v_add_f64 v[49:50], v[67:68], v[49:50]
	s_waitcnt lgkmcnt(5)
	v_mul_f64 v[91:92], v[35:36], v[43:44]
	v_mul_f64 v[95:96], v[33:34], v[43:44]
	s_waitcnt lgkmcnt(4)
	v_mul_f64 v[97:98], v[47:48], v[39:40]
	v_mul_f64 v[39:40], v[45:46], v[39:40]
	v_add_f64 v[57:58], v[57:58], v[105:106]
	v_add_f64 v[65:66], v[109:110], v[65:66]
	;; [unrolled: 1-line block ×3, first 2 shown]
	v_mul_f64 v[53:54], v[47:48], v[43:44]
	v_mul_f64 v[43:44], v[45:46], v[43:44]
	s_waitcnt lgkmcnt(0)
	s_barrier
	buffer_gl0_inv
	v_fma_f64 v[67:68], v[33:34], v[37:38], -v[89:90]
	v_fma_f64 v[25:26], v[35:36], v[37:38], v[25:26]
	v_add_f64 v[49:50], v[49:50], v[83:84]
	v_fma_f64 v[33:34], v[33:34], v[41:42], -v[91:92]
	v_fma_f64 v[35:36], v[35:36], v[41:42], v[95:96]
	v_fma_f64 v[77:78], v[45:46], v[37:38], -v[97:98]
	v_fma_f64 v[37:38], v[47:48], v[37:38], v[39:40]
	v_add_f64 v[39:40], v[55:56], v[69:70]
	v_add_f64 v[55:56], v[71:72], v[59:60]
	v_add_f64 v[59:60], v[61:62], v[73:74]
	v_add_f64 v[61:62], v[75:76], v[63:64]
	v_add_f64 v[57:58], v[57:58], v[79:80]
	v_add_f64 v[63:64], v[81:82], v[65:66]
	v_add_f64 v[23:24], v[23:24], v[51:52]
	v_fma_f64 v[45:46], v[45:46], v[41:42], -v[53:54]
	v_fma_f64 v[41:42], v[47:48], v[41:42], v[43:44]
	v_mul_f64 v[43:44], v[5:6], v[17:18]
	v_mul_f64 v[47:48], v[3:4], v[17:18]
	;; [unrolled: 1-line block ×8, first 2 shown]
	v_add_f64 v[39:40], v[39:40], v[67:68]
	v_add_f64 v[25:26], v[25:26], v[55:56]
	;; [unrolled: 1-line block ×8, first 2 shown]
	v_fma_f64 v[23:24], v[3:4], v[15:16], -v[43:44]
	v_fma_f64 v[43:44], v[5:6], v[15:16], v[47:48]
	v_fma_f64 v[3:4], v[3:4], v[19:20], -v[51:52]
	v_fma_f64 v[5:6], v[5:6], v[19:20], v[53:54]
	;; [unrolled: 2-line block ×4, first 2 shown]
	v_add_f64 v[23:24], v[39:40], v[23:24]
	v_add_f64 v[25:26], v[43:44], v[25:26]
	;; [unrolled: 1-line block ×8, first 2 shown]
	s_cbranch_scc0 .LBB416_13
.LBB416_7:                              ; =>This Inner Loop Header: Depth=1
	v_add_nc_u32_e32 v3, s9, v28
	v_cmp_le_i32_e64 s0, s3, v3
	s_or_b32 s0, s1, s0
	s_and_saveexec_b32 s18, s0
	s_xor_b32 s0, exec_lo, s18
	s_cbranch_execz .LBB416_9
; %bb.8:                                ;   in Loop: Header=BB416_7 Depth=1
	v_mov_b32_e32 v3, v2
	v_mov_b32_e32 v4, v2
	;; [unrolled: 1-line block ×3, first 2 shown]
	ds_write_b128 v29, v[2:5]
.LBB416_9:                              ;   in Loop: Header=BB416_7 Depth=1
	s_andn2_saveexec_b32 s0, s0
	s_cbranch_execz .LBB416_11
; %bb.10:                               ;   in Loop: Header=BB416_7 Depth=1
	flat_load_dwordx4 v[3:6], v[11:12]
	s_waitcnt vmcnt(0) lgkmcnt(0)
	ds_write2_b64 v29, v[3:4], v[5:6] offset1:1
.LBB416_11:                             ;   in Loop: Header=BB416_7 Depth=1
	s_or_b32 exec_lo, exec_lo, s0
	v_add_nc_u32_e32 v3, s9, v27
	v_mov_b32_e32 v5, 0
	v_mov_b32_e32 v6, 0
	v_cmp_gt_i32_e64 s0, s3, v3
	v_mov_b32_e32 v3, 0
	v_mov_b32_e32 v4, 0
	s_and_b32 s18, s0, vcc_lo
	s_and_saveexec_b32 s0, s18
	s_cbranch_execz .LBB416_6
; %bb.12:                               ;   in Loop: Header=BB416_7 Depth=1
	flat_load_dwordx4 v[3:6], v[13:14]
	s_waitcnt vmcnt(0) lgkmcnt(0)
	v_xor_b32_e32 v6, 0x80000000, v6
	s_branch .LBB416_6
.LBB416_13:
	s_clause 0x1
	s_load_dword s3, s[4:5], 0x60
	s_load_dwordx2 s[4:5], s[4:5], 0x68
	v_cmp_neq_f64_e64 s6, s[14:15], 0
	v_add_nc_u32_e32 v27, s31, v1
	v_add_nc_u32_e32 v4, s8, v0
	v_cmp_gt_i32_e64 s0, s2, v27
	v_cmp_le_i32_e32 vcc_lo, v4, v27
	v_ashrrev_i32_e32 v5, 31, v4
	s_waitcnt lgkmcnt(0)
	v_mad_i64_i32 v[1:2], null, v27, s3, 0
	s_lshl_b64 s[4:5], s[4:5], 4
	s_add_u32 s4, s10, s4
	s_addc_u32 s5, s11, s5
	s_xor_b32 s7, s30, -1
	s_or_b32 s6, s6, s7
	v_lshlrev_b64 v[0:1], 4, v[1:2]
	v_cndmask_b32_e64 v6, 0, 1, s6
	s_and_b32 s7, s0, vcc_lo
	v_add_co_u32 v13, s1, s4, v0
	v_add_co_ci_u32_e64 v14, null, s5, v1, s1
	s_and_saveexec_b32 s1, s7
	s_cbranch_execz .LBB416_17
; %bb.14:
	v_mul_f64 v[0:1], s[22:23], v[25:26]
	v_mul_f64 v[2:3], s[20:21], v[25:26]
	v_lshlrev_b64 v[11:12], 4, v[4:5]
	v_add_co_u32 v11, vcc_lo, v13, v11
	v_add_co_ci_u32_e64 v12, null, v14, v12, vcc_lo
	s_andn2_b32 vcc_lo, exec_lo, s6
	v_fma_f64 v[0:1], s[20:21], v[23:24], -v[0:1]
	v_fma_f64 v[2:3], s[22:23], v[23:24], v[2:3]
	s_cbranch_vccnz .LBB416_16
; %bb.15:
	flat_load_dwordx4 v[23:26], v[11:12]
	s_waitcnt vmcnt(0) lgkmcnt(0)
	v_mul_f64 v[28:29], s[16:17], v[25:26]
	v_mul_f64 v[25:26], s[14:15], v[25:26]
	v_fma_f64 v[28:29], s[14:15], v[23:24], -v[28:29]
	v_fma_f64 v[23:24], s[16:17], v[23:24], v[25:26]
	v_add_f64 v[0:1], v[0:1], v[28:29]
	v_add_f64 v[2:3], v[2:3], v[23:24]
.LBB416_16:
	flat_store_dwordx4 v[11:12], v[0:3]
.LBB416_17:
	s_or_b32 exec_lo, exec_lo, s1
	v_add_nc_u32_e32 v11, 16, v4
	v_cmp_le_i32_e32 vcc_lo, v11, v27
	v_ashrrev_i32_e32 v12, 31, v11
	s_and_b32 s0, s0, vcc_lo
	s_and_saveexec_b32 s1, s0
	s_cbranch_execz .LBB416_21
; %bb.18:
	v_mul_f64 v[0:1], s[22:23], v[21:22]
	v_mul_f64 v[2:3], s[20:21], v[21:22]
	v_cmp_ne_u32_e32 vcc_lo, 1, v6
	s_and_b32 vcc_lo, exec_lo, vcc_lo
	v_fma_f64 v[0:1], s[20:21], v[19:20], -v[0:1]
	v_fma_f64 v[2:3], s[22:23], v[19:20], v[2:3]
	v_lshlrev_b64 v[19:20], 4, v[11:12]
	v_add_co_u32 v13, s0, v13, v19
	v_add_co_ci_u32_e64 v14, null, v14, v20, s0
	s_cbranch_vccnz .LBB416_20
; %bb.19:
	flat_load_dwordx4 v[19:22], v[13:14]
	s_waitcnt vmcnt(0) lgkmcnt(0)
	v_mul_f64 v[23:24], s[16:17], v[21:22]
	v_mul_f64 v[21:22], s[14:15], v[21:22]
	v_fma_f64 v[23:24], s[14:15], v[19:20], -v[23:24]
	v_fma_f64 v[19:20], s[16:17], v[19:20], v[21:22]
	v_add_f64 v[0:1], v[0:1], v[23:24]
	v_add_f64 v[2:3], v[2:3], v[19:20]
.LBB416_20:
	flat_store_dwordx4 v[13:14], v[0:3]
.LBB416_21:
	s_or_b32 exec_lo, exec_lo, s1
	v_add_nc_u32_e32 v19, 16, v27
	v_mad_i64_i32 v[0:1], null, v19, s3, 0
	v_cmp_gt_i32_e64 s0, s2, v19
	v_cmp_le_i32_e32 vcc_lo, v4, v19
	v_lshlrev_b64 v[0:1], 4, v[0:1]
	v_add_co_u32 v13, s1, s4, v0
	v_add_co_ci_u32_e64 v14, null, s5, v1, s1
	s_and_b32 s1, s0, vcc_lo
	s_and_saveexec_b32 s2, s1
	s_cbranch_execz .LBB416_25
; %bb.22:
	v_mul_f64 v[0:1], s[22:23], v[17:18]
	v_mul_f64 v[2:3], s[20:21], v[17:18]
	v_lshlrev_b64 v[4:5], 4, v[4:5]
	v_cmp_ne_u32_e32 vcc_lo, 1, v6
	s_and_b32 vcc_lo, exec_lo, vcc_lo
	v_add_co_u32 v4, s1, v13, v4
	v_add_co_ci_u32_e64 v5, null, v14, v5, s1
	v_fma_f64 v[0:1], s[20:21], v[15:16], -v[0:1]
	v_fma_f64 v[2:3], s[22:23], v[15:16], v[2:3]
	s_cbranch_vccnz .LBB416_24
; %bb.23:
	flat_load_dwordx4 v[15:18], v[4:5]
	s_waitcnt vmcnt(0) lgkmcnt(0)
	v_mul_f64 v[20:21], s[16:17], v[17:18]
	v_mul_f64 v[17:18], s[14:15], v[17:18]
	v_fma_f64 v[20:21], s[14:15], v[15:16], -v[20:21]
	v_fma_f64 v[15:16], s[16:17], v[15:16], v[17:18]
	v_add_f64 v[0:1], v[0:1], v[20:21]
	v_add_f64 v[2:3], v[2:3], v[15:16]
.LBB416_24:
	flat_store_dwordx4 v[4:5], v[0:3]
.LBB416_25:
	s_or_b32 exec_lo, exec_lo, s2
	v_cmp_le_i32_e32 vcc_lo, v11, v19
	s_and_b32 s0, s0, vcc_lo
	s_and_saveexec_b32 s1, s0
	s_cbranch_execz .LBB416_30
; %bb.26:
	v_mul_f64 v[0:1], s[22:23], v[7:8]
	v_mul_f64 v[2:3], s[20:21], v[7:8]
	v_lshlrev_b64 v[4:5], 4, v[11:12]
	v_cmp_ne_u32_e32 vcc_lo, 1, v6
	s_and_b32 vcc_lo, exec_lo, vcc_lo
	v_add_co_u32 v4, s0, v13, v4
	v_add_co_ci_u32_e64 v5, null, v14, v5, s0
	v_fma_f64 v[0:1], s[20:21], v[9:10], -v[0:1]
	v_fma_f64 v[2:3], s[22:23], v[9:10], v[2:3]
	s_cbranch_vccnz .LBB416_28
; %bb.27:
	flat_load_dwordx4 v[6:9], v[4:5]
	s_waitcnt vmcnt(0) lgkmcnt(0)
	v_mul_f64 v[10:11], s[16:17], v[8:9]
	v_mul_f64 v[8:9], s[14:15], v[8:9]
	v_fma_f64 v[10:11], s[14:15], v[6:7], -v[10:11]
	v_fma_f64 v[6:7], s[16:17], v[6:7], v[8:9]
	v_add_f64 v[0:1], v[0:1], v[10:11]
	v_add_f64 v[2:3], v[2:3], v[6:7]
.LBB416_28:
	flat_store_dwordx4 v[4:5], v[0:3]
	s_endpgm
.LBB416_29:
.LBB416_30:
	s_endpgm
	.section	.rodata,"a",@progbits
	.p2align	6, 0x0
	.amdhsa_kernel _ZL29rocblas_internal_gemmt_kernelIiLi16ELi32ELi8ELc78ELc67ELc85ELb0ELb1E19rocblas_complex_numIdES1_PKPKS1_PKPS1_EviT_T9_T10_S9_lSB_S9_lSA_T11_S9_li
		.amdhsa_group_segment_fixed_size 8192
		.amdhsa_private_segment_fixed_size 0
		.amdhsa_kernarg_size 116
		.amdhsa_user_sgpr_count 6
		.amdhsa_user_sgpr_private_segment_buffer 1
		.amdhsa_user_sgpr_dispatch_ptr 0
		.amdhsa_user_sgpr_queue_ptr 0
		.amdhsa_user_sgpr_kernarg_segment_ptr 1
		.amdhsa_user_sgpr_dispatch_id 0
		.amdhsa_user_sgpr_flat_scratch_init 0
		.amdhsa_user_sgpr_private_segment_size 0
		.amdhsa_wavefront_size32 1
		.amdhsa_uses_dynamic_stack 0
		.amdhsa_system_sgpr_private_segment_wavefront_offset 0
		.amdhsa_system_sgpr_workgroup_id_x 1
		.amdhsa_system_sgpr_workgroup_id_y 1
		.amdhsa_system_sgpr_workgroup_id_z 1
		.amdhsa_system_sgpr_workgroup_info 0
		.amdhsa_system_vgpr_workitem_id 1
		.amdhsa_next_free_vgpr 127
		.amdhsa_next_free_sgpr 36
		.amdhsa_reserve_vcc 1
		.amdhsa_reserve_flat_scratch 0
		.amdhsa_float_round_mode_32 0
		.amdhsa_float_round_mode_16_64 0
		.amdhsa_float_denorm_mode_32 3
		.amdhsa_float_denorm_mode_16_64 3
		.amdhsa_dx10_clamp 1
		.amdhsa_ieee_mode 1
		.amdhsa_fp16_overflow 0
		.amdhsa_workgroup_processor_mode 1
		.amdhsa_memory_ordered 1
		.amdhsa_forward_progress 1
		.amdhsa_shared_vgpr_count 0
		.amdhsa_exception_fp_ieee_invalid_op 0
		.amdhsa_exception_fp_denorm_src 0
		.amdhsa_exception_fp_ieee_div_zero 0
		.amdhsa_exception_fp_ieee_overflow 0
		.amdhsa_exception_fp_ieee_underflow 0
		.amdhsa_exception_fp_ieee_inexact 0
		.amdhsa_exception_int_div_zero 0
	.end_amdhsa_kernel
	.section	.text._ZL29rocblas_internal_gemmt_kernelIiLi16ELi32ELi8ELc78ELc67ELc85ELb0ELb1E19rocblas_complex_numIdES1_PKPKS1_PKPS1_EviT_T9_T10_S9_lSB_S9_lSA_T11_S9_li,"axG",@progbits,_ZL29rocblas_internal_gemmt_kernelIiLi16ELi32ELi8ELc78ELc67ELc85ELb0ELb1E19rocblas_complex_numIdES1_PKPKS1_PKPS1_EviT_T9_T10_S9_lSB_S9_lSA_T11_S9_li,comdat
.Lfunc_end416:
	.size	_ZL29rocblas_internal_gemmt_kernelIiLi16ELi32ELi8ELc78ELc67ELc85ELb0ELb1E19rocblas_complex_numIdES1_PKPKS1_PKPS1_EviT_T9_T10_S9_lSB_S9_lSA_T11_S9_li, .Lfunc_end416-_ZL29rocblas_internal_gemmt_kernelIiLi16ELi32ELi8ELc78ELc67ELc85ELb0ELb1E19rocblas_complex_numIdES1_PKPKS1_PKPS1_EviT_T9_T10_S9_lSB_S9_lSA_T11_S9_li
                                        ; -- End function
	.set _ZL29rocblas_internal_gemmt_kernelIiLi16ELi32ELi8ELc78ELc67ELc85ELb0ELb1E19rocblas_complex_numIdES1_PKPKS1_PKPS1_EviT_T9_T10_S9_lSB_S9_lSA_T11_S9_li.num_vgpr, 127
	.set _ZL29rocblas_internal_gemmt_kernelIiLi16ELi32ELi8ELc78ELc67ELc85ELb0ELb1E19rocblas_complex_numIdES1_PKPKS1_PKPS1_EviT_T9_T10_S9_lSB_S9_lSA_T11_S9_li.num_agpr, 0
	.set _ZL29rocblas_internal_gemmt_kernelIiLi16ELi32ELi8ELc78ELc67ELc85ELb0ELb1E19rocblas_complex_numIdES1_PKPKS1_PKPS1_EviT_T9_T10_S9_lSB_S9_lSA_T11_S9_li.numbered_sgpr, 36
	.set _ZL29rocblas_internal_gemmt_kernelIiLi16ELi32ELi8ELc78ELc67ELc85ELb0ELb1E19rocblas_complex_numIdES1_PKPKS1_PKPS1_EviT_T9_T10_S9_lSB_S9_lSA_T11_S9_li.num_named_barrier, 0
	.set _ZL29rocblas_internal_gemmt_kernelIiLi16ELi32ELi8ELc78ELc67ELc85ELb0ELb1E19rocblas_complex_numIdES1_PKPKS1_PKPS1_EviT_T9_T10_S9_lSB_S9_lSA_T11_S9_li.private_seg_size, 0
	.set _ZL29rocblas_internal_gemmt_kernelIiLi16ELi32ELi8ELc78ELc67ELc85ELb0ELb1E19rocblas_complex_numIdES1_PKPKS1_PKPS1_EviT_T9_T10_S9_lSB_S9_lSA_T11_S9_li.uses_vcc, 1
	.set _ZL29rocblas_internal_gemmt_kernelIiLi16ELi32ELi8ELc78ELc67ELc85ELb0ELb1E19rocblas_complex_numIdES1_PKPKS1_PKPS1_EviT_T9_T10_S9_lSB_S9_lSA_T11_S9_li.uses_flat_scratch, 0
	.set _ZL29rocblas_internal_gemmt_kernelIiLi16ELi32ELi8ELc78ELc67ELc85ELb0ELb1E19rocblas_complex_numIdES1_PKPKS1_PKPS1_EviT_T9_T10_S9_lSB_S9_lSA_T11_S9_li.has_dyn_sized_stack, 0
	.set _ZL29rocblas_internal_gemmt_kernelIiLi16ELi32ELi8ELc78ELc67ELc85ELb0ELb1E19rocblas_complex_numIdES1_PKPKS1_PKPS1_EviT_T9_T10_S9_lSB_S9_lSA_T11_S9_li.has_recursion, 0
	.set _ZL29rocblas_internal_gemmt_kernelIiLi16ELi32ELi8ELc78ELc67ELc85ELb0ELb1E19rocblas_complex_numIdES1_PKPKS1_PKPS1_EviT_T9_T10_S9_lSB_S9_lSA_T11_S9_li.has_indirect_call, 0
	.section	.AMDGPU.csdata,"",@progbits
; Kernel info:
; codeLenInByte = 3544
; TotalNumSgprs: 38
; NumVgprs: 127
; ScratchSize: 0
; MemoryBound: 1
; FloatMode: 240
; IeeeMode: 1
; LDSByteSize: 8192 bytes/workgroup (compile time only)
; SGPRBlocks: 0
; VGPRBlocks: 15
; NumSGPRsForWavesPerEU: 38
; NumVGPRsForWavesPerEU: 127
; Occupancy: 8
; WaveLimiterHint : 1
; COMPUTE_PGM_RSRC2:SCRATCH_EN: 0
; COMPUTE_PGM_RSRC2:USER_SGPR: 6
; COMPUTE_PGM_RSRC2:TRAP_HANDLER: 0
; COMPUTE_PGM_RSRC2:TGID_X_EN: 1
; COMPUTE_PGM_RSRC2:TGID_Y_EN: 1
; COMPUTE_PGM_RSRC2:TGID_Z_EN: 1
; COMPUTE_PGM_RSRC2:TIDIG_COMP_CNT: 1
	.section	.text._ZL29rocblas_internal_gemmt_kernelIiLi16ELi32ELi8ELc84ELc78ELc85ELb0ELb0E19rocblas_complex_numIdES1_PKPKS1_PKPS1_EviT_T9_T10_S9_lSB_S9_lSA_T11_S9_li,"axG",@progbits,_ZL29rocblas_internal_gemmt_kernelIiLi16ELi32ELi8ELc84ELc78ELc85ELb0ELb0E19rocblas_complex_numIdES1_PKPKS1_PKPS1_EviT_T9_T10_S9_lSB_S9_lSA_T11_S9_li,comdat
	.globl	_ZL29rocblas_internal_gemmt_kernelIiLi16ELi32ELi8ELc84ELc78ELc85ELb0ELb0E19rocblas_complex_numIdES1_PKPKS1_PKPS1_EviT_T9_T10_S9_lSB_S9_lSA_T11_S9_li ; -- Begin function _ZL29rocblas_internal_gemmt_kernelIiLi16ELi32ELi8ELc84ELc78ELc85ELb0ELb0E19rocblas_complex_numIdES1_PKPKS1_PKPS1_EviT_T9_T10_S9_lSB_S9_lSA_T11_S9_li
	.p2align	8
	.type	_ZL29rocblas_internal_gemmt_kernelIiLi16ELi32ELi8ELc84ELc78ELc85ELb0ELb0E19rocblas_complex_numIdES1_PKPKS1_PKPS1_EviT_T9_T10_S9_lSB_S9_lSA_T11_S9_li,@function
_ZL29rocblas_internal_gemmt_kernelIiLi16ELi32ELi8ELc84ELc78ELc85ELb0ELb0E19rocblas_complex_numIdES1_PKPKS1_PKPS1_EviT_T9_T10_S9_lSB_S9_lSA_T11_S9_li: ; @_ZL29rocblas_internal_gemmt_kernelIiLi16ELi32ELi8ELc84ELc78ELc85ELb0ELb0E19rocblas_complex_numIdES1_PKPKS1_PKPS1_EviT_T9_T10_S9_lSB_S9_lSA_T11_S9_li
; %bb.0:
	s_clause 0x2
	s_load_dwordx8 s[12:19], s[4:5], 0x40
	s_load_dwordx2 s[2:3], s[4:5], 0x0
	s_load_dwordx4 s[20:23], s[4:5], 0x8
	s_waitcnt lgkmcnt(0)
	v_cmp_eq_f64_e64 s0, s[14:15], 1.0
	v_cmp_eq_f64_e64 s28, s[16:17], 0
	s_and_b32 s0, s0, s28
	s_andn2_b32 vcc_lo, exec_lo, s0
	s_mov_b32 s0, -1
	s_cbranch_vccnz .LBB417_3
; %bb.1:
	s_cmp_lg_u32 s3, 0
	s_cbranch_scc0 .LBB417_31
; %bb.2:
	v_cmp_neq_f64_e64 s0, s[20:21], 0
	v_cmp_neq_f64_e64 s1, s[22:23], 0
	s_or_b32 s0, s0, s1
.LBB417_3:
	s_and_b32 vcc_lo, exec_lo, s0
	s_cbranch_vccz .LBB417_32
; %bb.4:
	v_cmp_eq_f64_e64 s24, s[20:21], 0
	v_cmp_eq_f64_e64 s25, s[22:23], 0
	s_mov_b32 s9, 0
	v_mov_b32_e32 v22, 0
	s_lshl_b64 s[0:1], s[8:9], 3
	v_mov_b32_e32 v24, 0
	s_add_u32 s10, s18, s0
	s_addc_u32 s11, s19, s1
	s_lshl_b32 s6, s6, 5
	s_load_dwordx2 s[10:11], s[10:11], 0x0
	s_lshl_b32 s7, s7, 5
	v_mov_b32_e32 v18, 0
	v_mov_b32_e32 v20, 0
	;; [unrolled: 1-line block ×12, first 2 shown]
	s_and_b32 s8, s24, s25
	s_cmp_lt_i32 s3, 1
	v_mov_b32_e32 v9, 0
	s_cselect_b32 s18, -1, 0
	v_mov_b32_e32 v7, 0
	s_or_b32 s8, s8, s18
	s_and_b32 vcc_lo, exec_lo, s8
	s_cbranch_vccnz .LBB417_15
; %bb.5:
	s_clause 0x3
	s_load_dwordx4 s[24:27], s[4:5], 0x28
	s_load_dword s8, s[4:5], 0x20
	s_load_dword s29, s[4:5], 0x38
	s_load_dwordx2 s[18:19], s[4:5], 0x18
	v_lshl_add_u32 v2, v1, 4, v0
	v_and_b32_e32 v26, 7, v0
	v_mov_b32_e32 v16, 0
	v_mov_b32_e32 v14, 0
	;; [unrolled: 1-line block ×3, first 2 shown]
	v_and_b32_e32 v3, 31, v2
	v_lshrrev_b32_e32 v4, 3, v2
	v_lshrrev_b32_e32 v27, 5, v2
	v_lshlrev_b32_e32 v6, 4, v26
	v_mov_b32_e32 v18, 0
	v_or_b32_e32 v2, s6, v3
	v_lshlrev_b32_e32 v8, 4, v3
	v_add_nc_u32_e32 v3, s6, v3
	v_add_nc_u32_e32 v7, s7, v4
	v_lshl_or_b32 v9, v4, 7, v6
	v_cmp_gt_i32_e32 vcc_lo, s2, v2
	v_lshl_or_b32 v28, v27, 9, v8
	s_waitcnt lgkmcnt(0)
	s_add_u32 s26, s26, s0
	v_mad_i64_i32 v[2:3], null, s8, v3, 0
	s_addc_u32 s27, s27, s1
	v_mad_i64_i32 v[4:5], null, s29, v7, 0
	s_add_u32 s0, s18, s0
	s_addc_u32 s1, s19, s1
	s_load_dwordx2 s[18:19], s[26:27], 0x0
	s_load_dwordx2 s[26:27], s[0:1], 0x0
	v_lshlrev_b64 v[2:3], 4, v[2:3]
	s_lshl_b64 s[24:25], s[24:25], 4
	v_cmp_gt_i32_e64 s0, s2, v7
	v_lshlrev_b64 v[4:5], 4, v[4:5]
	v_lshlrev_b32_e32 v7, 4, v27
	s_lshl_b64 s[12:13], s[12:13], 4
	v_add_co_u32 v2, s1, v2, s24
	v_add_co_ci_u32_e64 v3, null, s25, v3, s1
	v_add_co_u32 v4, s1, v4, s12
	v_add_co_ci_u32_e64 v5, null, s13, v5, s1
	;; [unrolled: 2-line block ×4, first 2 shown]
	s_waitcnt lgkmcnt(0)
	v_add_co_u32 v10, s1, s26, v2
	v_add_co_ci_u32_e64 v11, null, s27, v3, s1
	v_add_co_u32 v12, s1, s18, v4
	v_add_nc_u32_e32 v29, 0x1000, v9
	v_mov_b32_e32 v6, 0
	v_mov_b32_e32 v8, 0
	;; [unrolled: 1-line block ×4, first 2 shown]
	v_lshlrev_b32_e32 v30, 4, v0
	v_lshl_add_u32 v31, v1, 7, 0x1000
	v_add_co_ci_u32_e64 v13, null, s19, v5, s1
	v_mov_b32_e32 v7, 0
	v_mov_b32_e32 v9, 0
	;; [unrolled: 1-line block ×9, first 2 shown]
	s_xor_b32 s1, vcc_lo, -1
	s_xor_b32 s0, s0, -1
	s_branch .LBB417_7
.LBB417_6:                              ;   in Loop: Header=BB417_7 Depth=1
	s_or_b32 exec_lo, exec_lo, s8
	s_waitcnt lgkmcnt(0)
	s_barrier
	buffer_gl0_inv
	ds_read_b128 v[32:35], v31
	ds_read_b128 v[36:39], v30
	ds_read_b128 v[40:43], v30 offset:256
	ds_read_b128 v[44:47], v31 offset:2048
	;; [unrolled: 1-line block ×12, first 2 shown]
	v_add_co_u32 v10, vcc_lo, 0x80, v10
	v_add_co_ci_u32_e64 v11, null, 0, v11, vcc_lo
	v_add_co_u32 v12, vcc_lo, 0x80, v12
	v_add_co_ci_u32_e64 v13, null, 0, v13, vcc_lo
	s_waitcnt lgkmcnt(12)
	v_mul_f64 v[3:4], v[34:35], v[38:39]
	v_mul_f64 v[88:89], v[32:33], v[38:39]
	s_waitcnt lgkmcnt(11)
	v_mul_f64 v[90:91], v[34:35], v[42:43]
	v_mul_f64 v[92:93], v[32:33], v[42:43]
	;; [unrolled: 3-line block ×3, first 2 shown]
	v_mul_f64 v[96:97], v[46:47], v[42:43]
	v_mul_f64 v[42:43], v[44:45], v[42:43]
	s_waitcnt lgkmcnt(8)
	v_mul_f64 v[98:99], v[50:51], v[54:55]
	v_mul_f64 v[100:101], v[48:49], v[54:55]
	s_waitcnt lgkmcnt(7)
	;; [unrolled: 3-line block ×3, first 2 shown]
	v_mul_f64 v[106:107], v[62:63], v[54:55]
	v_mul_f64 v[54:55], v[60:61], v[54:55]
	;; [unrolled: 1-line block ×4, first 2 shown]
	s_waitcnt lgkmcnt(4)
	v_mul_f64 v[110:111], v[66:67], v[70:71]
	v_mul_f64 v[112:113], v[64:65], v[70:71]
	s_waitcnt lgkmcnt(3)
	v_mul_f64 v[114:115], v[66:67], v[74:75]
	v_mul_f64 v[116:117], v[64:65], v[74:75]
	;; [unrolled: 3-line block ×3, first 2 shown]
	v_fma_f64 v[3:4], v[32:33], v[36:37], -v[3:4]
	v_fma_f64 v[88:89], v[34:35], v[36:37], v[88:89]
	v_fma_f64 v[90:91], v[32:33], v[40:41], -v[90:91]
	v_fma_f64 v[92:93], v[34:35], v[40:41], v[92:93]
	;; [unrolled: 2-line block ×4, first 2 shown]
	v_mul_f64 v[124:125], v[78:79], v[74:75]
	v_mul_f64 v[74:75], v[76:77], v[74:75]
	ds_read_b128 v[32:35], v30 offset:1536
	ds_read_b128 v[36:39], v30 offset:1792
	v_fma_f64 v[98:99], v[48:49], v[52:53], -v[98:99]
	v_fma_f64 v[100:101], v[50:51], v[52:53], v[100:101]
	v_fma_f64 v[102:103], v[48:49], v[56:57], -v[102:103]
	v_fma_f64 v[104:105], v[50:51], v[56:57], v[104:105]
	;; [unrolled: 2-line block ×7, first 2 shown]
	v_add_f64 v[22:23], v[22:23], v[3:4]
	v_add_f64 v[24:25], v[88:89], v[24:25]
	;; [unrolled: 1-line block ×4, first 2 shown]
	s_waitcnt lgkmcnt(1)
	v_mul_f64 v[110:111], v[82:83], v[34:35]
	v_mul_f64 v[112:113], v[80:81], v[34:35]
	s_waitcnt lgkmcnt(0)
	v_mul_f64 v[70:71], v[82:83], v[38:39]
	v_fma_f64 v[76:77], v[76:77], v[72:73], -v[124:125]
	v_fma_f64 v[72:73], v[78:79], v[72:73], v[74:75]
	v_add_f64 v[74:75], v[14:15], v[94:95]
	v_add_f64 v[78:79], v[120:121], v[16:17]
	;; [unrolled: 1-line block ×4, first 2 shown]
	ds_read_b128 v[40:43], v31 offset:64
	ds_read_b128 v[44:47], v30 offset:2048
	;; [unrolled: 1-line block ×3, first 2 shown]
	v_mul_f64 v[114:115], v[80:81], v[38:39]
	v_mul_f64 v[116:117], v[86:87], v[34:35]
	;; [unrolled: 1-line block ×5, first 2 shown]
	ds_read_b128 v[52:55], v31 offset:2112
	ds_read_b128 v[14:17], v31 offset:2128
	v_add_f64 v[98:99], v[22:23], v[98:99]
	v_add_f64 v[100:101], v[100:101], v[24:25]
	;; [unrolled: 1-line block ×4, first 2 shown]
	v_fma_f64 v[92:93], v[80:81], v[32:33], -v[110:111]
	v_fma_f64 v[94:95], v[82:83], v[32:33], v[112:113]
	v_fma_f64 v[70:71], v[80:81], v[36:37], -v[70:71]
	ds_read_b128 v[18:21], v30 offset:2560
	ds_read_b128 v[3:6], v31 offset:80
	;; [unrolled: 1-line block ×3, first 2 shown]
	v_add_f64 v[74:75], v[74:75], v[106:107]
	s_waitcnt lgkmcnt(6)
	v_mul_f64 v[80:81], v[42:43], v[46:47]
	v_mul_f64 v[96:97], v[40:41], v[46:47]
	s_waitcnt lgkmcnt(5)
	v_mul_f64 v[110:111], v[42:43], v[50:51]
	v_mul_f64 v[112:113], v[40:41], v[50:51]
	v_add_f64 v[78:79], v[126:127], v[78:79]
	v_add_f64 v[7:8], v[8:9], v[60:61]
	;; [unrolled: 1-line block ×3, first 2 shown]
	v_fma_f64 v[82:83], v[82:83], v[36:37], v[114:115]
	s_waitcnt lgkmcnt(4)
	v_mul_f64 v[114:115], v[54:55], v[46:47]
	v_mul_f64 v[46:47], v[52:53], v[46:47]
	v_fma_f64 v[60:61], v[84:85], v[32:33], -v[116:117]
	v_fma_f64 v[88:89], v[86:87], v[32:33], v[34:35]
	v_fma_f64 v[84:85], v[84:85], v[36:37], -v[90:91]
	v_fma_f64 v[86:87], v[86:87], v[36:37], v[38:39]
	v_add_f64 v[58:59], v[98:99], v[58:59]
	v_add_f64 v[62:63], v[62:63], v[100:101]
	;; [unrolled: 1-line block ×4, first 2 shown]
	s_waitcnt lgkmcnt(0)
	v_mul_f64 v[98:99], v[3:4], v[24:25]
	v_mul_f64 v[100:101], v[16:17], v[20:21]
	v_mul_f64 v[102:103], v[16:17], v[24:25]
	v_add_f64 v[74:75], v[74:75], v[108:109]
	v_fma_f64 v[80:81], v[40:41], v[44:45], -v[80:81]
	v_fma_f64 v[90:91], v[42:43], v[44:45], v[96:97]
	v_fma_f64 v[96:97], v[40:41], v[48:49], -v[110:111]
	v_fma_f64 v[106:107], v[42:43], v[48:49], v[112:113]
	v_mul_f64 v[40:41], v[54:55], v[50:51]
	v_mul_f64 v[42:43], v[52:53], v[50:51]
	v_add_f64 v[68:69], v[68:69], v[78:79]
	v_add_f64 v[7:8], v[7:8], v[76:77]
	;; [unrolled: 1-line block ×3, first 2 shown]
	v_fma_f64 v[50:51], v[52:53], v[44:45], -v[114:115]
	v_fma_f64 v[110:111], v[54:55], v[44:45], v[46:47]
	v_mul_f64 v[72:73], v[5:6], v[20:21]
	v_mul_f64 v[76:77], v[3:4], v[20:21]
	;; [unrolled: 1-line block ×5, first 2 shown]
	ds_read_b128 v[32:35], v31 offset:96
	ds_read_b128 v[36:39], v30 offset:3072
	s_add_i32 s9, s9, 8
	s_cmp_lt_i32 s9, s3
	v_add_f64 v[60:61], v[74:75], v[60:61]
	v_fma_f64 v[74:75], v[5:6], v[22:23], v[98:99]
	v_fma_f64 v[52:53], v[52:53], v[48:49], -v[40:41]
	v_fma_f64 v[48:49], v[54:55], v[48:49], v[42:43]
	v_add_f64 v[54:55], v[58:59], v[92:93]
	v_add_f64 v[58:59], v[94:95], v[62:63]
	;; [unrolled: 1-line block ×7, first 2 shown]
	ds_read_b128 v[40:43], v30 offset:3328
	ds_read_b128 v[44:47], v31 offset:2144
	v_fma_f64 v[68:69], v[3:4], v[18:19], -v[72:73]
	v_fma_f64 v[70:71], v[5:6], v[18:19], v[76:77]
	v_fma_f64 v[72:73], v[3:4], v[22:23], -v[78:79]
	v_fma_f64 v[76:77], v[14:15], v[18:19], -v[100:101]
	v_fma_f64 v[78:79], v[16:17], v[18:19], v[20:21]
	v_fma_f64 v[82:83], v[14:15], v[22:23], -v[102:103]
	s_waitcnt lgkmcnt(2)
	v_mul_f64 v[84:85], v[34:35], v[38:39]
	v_fma_f64 v[86:87], v[16:17], v[22:23], v[24:25]
	v_mul_f64 v[88:89], v[32:33], v[38:39]
	v_add_f64 v[50:51], v[60:61], v[50:51]
	ds_read_b128 v[3:6], v31 offset:112
	ds_read_b128 v[14:17], v31 offset:2160
	;; [unrolled: 1-line block ×4, first 2 shown]
	s_waitcnt lgkmcnt(0)
	v_add_f64 v[54:55], v[54:55], v[80:81]
	v_add_f64 v[58:59], v[90:91], v[58:59]
	;; [unrolled: 1-line block ×4, first 2 shown]
	v_mul_f64 v[92:93], v[34:35], v[42:43]
	v_mul_f64 v[94:95], v[32:33], v[42:43]
	;; [unrolled: 1-line block ×4, first 2 shown]
	v_add_f64 v[60:61], v[110:111], v[66:67]
	v_add_f64 v[7:8], v[7:8], v[52:53]
	v_add_f64 v[48:49], v[48:49], v[56:57]
	v_mul_f64 v[52:53], v[46:47], v[42:43]
	v_mul_f64 v[42:43], v[44:45], v[42:43]
	s_barrier
	v_fma_f64 v[56:57], v[32:33], v[36:37], -v[84:85]
	buffer_gl0_inv
	v_fma_f64 v[66:67], v[34:35], v[36:37], v[88:89]
	v_add_f64 v[50:51], v[50:51], v[76:77]
	v_fma_f64 v[32:33], v[32:33], v[40:41], -v[92:93]
	v_fma_f64 v[34:35], v[34:35], v[40:41], v[94:95]
	v_fma_f64 v[80:81], v[44:45], v[36:37], -v[98:99]
	v_fma_f64 v[36:37], v[46:47], v[36:37], v[38:39]
	v_add_f64 v[38:39], v[54:55], v[68:69]
	v_add_f64 v[54:55], v[70:71], v[58:59]
	;; [unrolled: 1-line block ×7, first 2 shown]
	v_fma_f64 v[44:45], v[44:45], v[40:41], -v[52:53]
	v_fma_f64 v[40:41], v[46:47], v[40:41], v[42:43]
	v_mul_f64 v[42:43], v[5:6], v[20:21]
	v_mul_f64 v[46:47], v[3:4], v[20:21]
	;; [unrolled: 1-line block ×8, first 2 shown]
	v_add_f64 v[50:51], v[50:51], v[80:81]
	v_add_f64 v[38:39], v[38:39], v[56:57]
	;; [unrolled: 1-line block ×8, first 2 shown]
	v_fma_f64 v[42:43], v[3:4], v[18:19], -v[42:43]
	v_fma_f64 v[44:45], v[5:6], v[18:19], v[46:47]
	v_fma_f64 v[3:4], v[3:4], v[22:23], -v[52:53]
	v_fma_f64 v[5:6], v[5:6], v[22:23], v[64:65]
	v_fma_f64 v[46:47], v[14:15], v[18:19], -v[68:69]
	v_fma_f64 v[48:49], v[16:17], v[18:19], v[20:21]
	v_fma_f64 v[52:53], v[14:15], v[22:23], -v[70:71]
	v_fma_f64 v[56:57], v[16:17], v[22:23], v[24:25]
	v_add_f64 v[22:23], v[38:39], v[42:43]
	v_add_f64 v[24:25], v[44:45], v[54:55]
	v_add_f64 v[18:19], v[32:33], v[3:4]
	v_add_f64 v[20:21], v[5:6], v[34:35]
	v_add_f64 v[14:15], v[50:51], v[46:47]
	v_add_f64 v[16:17], v[48:49], v[36:37]
	v_add_f64 v[8:9], v[7:8], v[52:53]
	v_add_f64 v[6:7], v[56:57], v[40:41]
	s_cbranch_scc0 .LBB417_15
.LBB417_7:                              ; =>This Inner Loop Header: Depth=1
	v_add_nc_u32_e32 v3, s9, v27
	v_cmp_le_i32_e32 vcc_lo, s3, v3
	s_or_b32 s8, s1, vcc_lo
	s_and_saveexec_b32 s12, s8
	s_xor_b32 s8, exec_lo, s12
	s_cbranch_execz .LBB417_9
; %bb.8:                                ;   in Loop: Header=BB417_7 Depth=1
	v_mov_b32_e32 v3, v2
	v_mov_b32_e32 v4, v2
	;; [unrolled: 1-line block ×3, first 2 shown]
	ds_write_b128 v28, v[2:5]
.LBB417_9:                              ;   in Loop: Header=BB417_7 Depth=1
	s_andn2_saveexec_b32 s8, s8
	s_cbranch_execz .LBB417_11
; %bb.10:                               ;   in Loop: Header=BB417_7 Depth=1
	flat_load_dwordx4 v[32:35], v[10:11]
	s_waitcnt vmcnt(0) lgkmcnt(0)
	ds_write2_b64 v28, v[32:33], v[34:35] offset1:1
.LBB417_11:                             ;   in Loop: Header=BB417_7 Depth=1
	s_or_b32 exec_lo, exec_lo, s8
	v_add_nc_u32_e32 v3, s9, v26
	v_cmp_le_i32_e32 vcc_lo, s3, v3
	s_or_b32 s8, vcc_lo, s0
	s_and_saveexec_b32 s12, s8
	s_xor_b32 s8, exec_lo, s12
	s_cbranch_execz .LBB417_13
; %bb.12:                               ;   in Loop: Header=BB417_7 Depth=1
	v_mov_b32_e32 v3, v2
	v_mov_b32_e32 v4, v2
	;; [unrolled: 1-line block ×3, first 2 shown]
	ds_write_b128 v29, v[2:5]
.LBB417_13:                             ;   in Loop: Header=BB417_7 Depth=1
	s_andn2_saveexec_b32 s8, s8
	s_cbranch_execz .LBB417_6
; %bb.14:                               ;   in Loop: Header=BB417_7 Depth=1
	flat_load_dwordx4 v[32:35], v[12:13]
	s_waitcnt vmcnt(0) lgkmcnt(0)
	ds_write2_b64 v29, v[32:33], v[34:35] offset1:1
	s_branch .LBB417_6
.LBB417_15:
	s_clause 0x1
	s_load_dword s3, s[4:5], 0x60
	s_load_dwordx2 s[4:5], s[4:5], 0x68
	v_cmp_neq_f64_e64 s8, s[14:15], 0
	v_add_nc_u32_e32 v27, s7, v1
	v_add_nc_u32_e32 v4, s6, v0
	v_cmp_gt_i32_e64 s0, s2, v27
	v_cmp_le_i32_e32 vcc_lo, v4, v27
	v_ashrrev_i32_e32 v5, 31, v4
	s_waitcnt lgkmcnt(0)
	v_mad_i64_i32 v[1:2], null, v27, s3, 0
	s_lshl_b64 s[4:5], s[4:5], 4
	s_add_u32 s4, s10, s4
	s_addc_u32 s5, s11, s5
	s_xor_b32 s6, s28, -1
	s_and_b32 s7, s0, vcc_lo
	v_lshlrev_b64 v[0:1], 4, v[1:2]
	s_or_b32 s6, s8, s6
	v_cndmask_b32_e64 v26, 0, 1, s6
	v_add_co_u32 v12, s1, s4, v0
	v_add_co_ci_u32_e64 v13, null, s5, v1, s1
	s_and_saveexec_b32 s1, s7
	s_cbranch_execz .LBB417_19
; %bb.16:
	v_mul_f64 v[0:1], s[22:23], v[24:25]
	v_mul_f64 v[2:3], s[20:21], v[24:25]
	v_lshlrev_b64 v[10:11], 4, v[4:5]
	v_add_co_u32 v10, vcc_lo, v12, v10
	v_add_co_ci_u32_e64 v11, null, v13, v11, vcc_lo
	s_andn2_b32 vcc_lo, exec_lo, s6
	v_fma_f64 v[0:1], s[20:21], v[22:23], -v[0:1]
	v_fma_f64 v[2:3], s[22:23], v[22:23], v[2:3]
	s_cbranch_vccnz .LBB417_18
; %bb.17:
	flat_load_dwordx4 v[22:25], v[10:11]
	s_waitcnt vmcnt(0) lgkmcnt(0)
	v_mul_f64 v[28:29], s[16:17], v[24:25]
	v_mul_f64 v[24:25], s[14:15], v[24:25]
	v_fma_f64 v[28:29], s[14:15], v[22:23], -v[28:29]
	v_fma_f64 v[22:23], s[16:17], v[22:23], v[24:25]
	v_add_f64 v[0:1], v[0:1], v[28:29]
	v_add_f64 v[2:3], v[2:3], v[22:23]
.LBB417_18:
	flat_store_dwordx4 v[10:11], v[0:3]
.LBB417_19:
	s_or_b32 exec_lo, exec_lo, s1
	v_add_nc_u32_e32 v10, 16, v4
	v_cmp_le_i32_e32 vcc_lo, v10, v27
	v_ashrrev_i32_e32 v11, 31, v10
	s_and_b32 s0, s0, vcc_lo
	s_and_saveexec_b32 s1, s0
	s_cbranch_execz .LBB417_23
; %bb.20:
	v_mul_f64 v[0:1], s[22:23], v[20:21]
	v_mul_f64 v[2:3], s[20:21], v[20:21]
	v_cmp_ne_u32_e32 vcc_lo, 1, v26
	s_and_b32 vcc_lo, exec_lo, vcc_lo
	v_fma_f64 v[0:1], s[20:21], v[18:19], -v[0:1]
	v_fma_f64 v[2:3], s[22:23], v[18:19], v[2:3]
	v_lshlrev_b64 v[18:19], 4, v[10:11]
	v_add_co_u32 v12, s0, v12, v18
	v_add_co_ci_u32_e64 v13, null, v13, v19, s0
	s_cbranch_vccnz .LBB417_22
; %bb.21:
	flat_load_dwordx4 v[18:21], v[12:13]
	s_waitcnt vmcnt(0) lgkmcnt(0)
	v_mul_f64 v[22:23], s[16:17], v[20:21]
	v_mul_f64 v[20:21], s[14:15], v[20:21]
	v_fma_f64 v[22:23], s[14:15], v[18:19], -v[22:23]
	v_fma_f64 v[18:19], s[16:17], v[18:19], v[20:21]
	v_add_f64 v[0:1], v[0:1], v[22:23]
	v_add_f64 v[2:3], v[2:3], v[18:19]
.LBB417_22:
	flat_store_dwordx4 v[12:13], v[0:3]
.LBB417_23:
	s_or_b32 exec_lo, exec_lo, s1
	v_add_nc_u32_e32 v18, 16, v27
	v_mad_i64_i32 v[0:1], null, v18, s3, 0
	v_cmp_gt_i32_e64 s0, s2, v18
	v_cmp_le_i32_e32 vcc_lo, v4, v18
	v_lshlrev_b64 v[0:1], 4, v[0:1]
	v_add_co_u32 v12, s1, s4, v0
	v_add_co_ci_u32_e64 v13, null, s5, v1, s1
	s_and_b32 s1, s0, vcc_lo
	s_and_saveexec_b32 s2, s1
	s_cbranch_execz .LBB417_27
; %bb.24:
	v_mul_f64 v[0:1], s[22:23], v[16:17]
	v_mul_f64 v[2:3], s[20:21], v[16:17]
	v_lshlrev_b64 v[4:5], 4, v[4:5]
	v_cmp_ne_u32_e32 vcc_lo, 1, v26
	s_and_b32 vcc_lo, exec_lo, vcc_lo
	v_add_co_u32 v4, s1, v12, v4
	v_add_co_ci_u32_e64 v5, null, v13, v5, s1
	v_fma_f64 v[0:1], s[20:21], v[14:15], -v[0:1]
	v_fma_f64 v[2:3], s[22:23], v[14:15], v[2:3]
	s_cbranch_vccnz .LBB417_26
; %bb.25:
	flat_load_dwordx4 v[14:17], v[4:5]
	s_waitcnt vmcnt(0) lgkmcnt(0)
	v_mul_f64 v[19:20], s[16:17], v[16:17]
	v_mul_f64 v[16:17], s[14:15], v[16:17]
	v_fma_f64 v[19:20], s[14:15], v[14:15], -v[19:20]
	v_fma_f64 v[14:15], s[16:17], v[14:15], v[16:17]
	v_add_f64 v[0:1], v[0:1], v[19:20]
	v_add_f64 v[2:3], v[2:3], v[14:15]
.LBB417_26:
	flat_store_dwordx4 v[4:5], v[0:3]
.LBB417_27:
	s_or_b32 exec_lo, exec_lo, s2
	v_cmp_le_i32_e32 vcc_lo, v10, v18
	s_and_b32 s0, s0, vcc_lo
	s_and_saveexec_b32 s1, s0
	s_cbranch_execz .LBB417_32
; %bb.28:
	v_mul_f64 v[0:1], s[22:23], v[6:7]
	v_mul_f64 v[2:3], s[20:21], v[6:7]
	v_lshlrev_b64 v[4:5], 4, v[10:11]
	v_cmp_ne_u32_e32 vcc_lo, 1, v26
	s_and_b32 vcc_lo, exec_lo, vcc_lo
	v_add_co_u32 v4, s0, v12, v4
	v_add_co_ci_u32_e64 v5, null, v13, v5, s0
	v_fma_f64 v[0:1], s[20:21], v[8:9], -v[0:1]
	v_fma_f64 v[2:3], s[22:23], v[8:9], v[2:3]
	s_cbranch_vccnz .LBB417_30
; %bb.29:
	flat_load_dwordx4 v[6:9], v[4:5]
	s_waitcnt vmcnt(0) lgkmcnt(0)
	v_mul_f64 v[10:11], s[16:17], v[8:9]
	v_mul_f64 v[8:9], s[14:15], v[8:9]
	v_fma_f64 v[10:11], s[14:15], v[6:7], -v[10:11]
	v_fma_f64 v[6:7], s[16:17], v[6:7], v[8:9]
	v_add_f64 v[0:1], v[0:1], v[10:11]
	v_add_f64 v[2:3], v[2:3], v[6:7]
.LBB417_30:
	flat_store_dwordx4 v[4:5], v[0:3]
	s_endpgm
.LBB417_31:
.LBB417_32:
	s_endpgm
	.section	.rodata,"a",@progbits
	.p2align	6, 0x0
	.amdhsa_kernel _ZL29rocblas_internal_gemmt_kernelIiLi16ELi32ELi8ELc84ELc78ELc85ELb0ELb0E19rocblas_complex_numIdES1_PKPKS1_PKPS1_EviT_T9_T10_S9_lSB_S9_lSA_T11_S9_li
		.amdhsa_group_segment_fixed_size 8192
		.amdhsa_private_segment_fixed_size 0
		.amdhsa_kernarg_size 116
		.amdhsa_user_sgpr_count 6
		.amdhsa_user_sgpr_private_segment_buffer 1
		.amdhsa_user_sgpr_dispatch_ptr 0
		.amdhsa_user_sgpr_queue_ptr 0
		.amdhsa_user_sgpr_kernarg_segment_ptr 1
		.amdhsa_user_sgpr_dispatch_id 0
		.amdhsa_user_sgpr_flat_scratch_init 0
		.amdhsa_user_sgpr_private_segment_size 0
		.amdhsa_wavefront_size32 1
		.amdhsa_uses_dynamic_stack 0
		.amdhsa_system_sgpr_private_segment_wavefront_offset 0
		.amdhsa_system_sgpr_workgroup_id_x 1
		.amdhsa_system_sgpr_workgroup_id_y 1
		.amdhsa_system_sgpr_workgroup_id_z 1
		.amdhsa_system_sgpr_workgroup_info 0
		.amdhsa_system_vgpr_workitem_id 1
		.amdhsa_next_free_vgpr 128
		.amdhsa_next_free_sgpr 30
		.amdhsa_reserve_vcc 1
		.amdhsa_reserve_flat_scratch 0
		.amdhsa_float_round_mode_32 0
		.amdhsa_float_round_mode_16_64 0
		.amdhsa_float_denorm_mode_32 3
		.amdhsa_float_denorm_mode_16_64 3
		.amdhsa_dx10_clamp 1
		.amdhsa_ieee_mode 1
		.amdhsa_fp16_overflow 0
		.amdhsa_workgroup_processor_mode 1
		.amdhsa_memory_ordered 1
		.amdhsa_forward_progress 1
		.amdhsa_shared_vgpr_count 0
		.amdhsa_exception_fp_ieee_invalid_op 0
		.amdhsa_exception_fp_denorm_src 0
		.amdhsa_exception_fp_ieee_div_zero 0
		.amdhsa_exception_fp_ieee_overflow 0
		.amdhsa_exception_fp_ieee_underflow 0
		.amdhsa_exception_fp_ieee_inexact 0
		.amdhsa_exception_int_div_zero 0
	.end_amdhsa_kernel
	.section	.text._ZL29rocblas_internal_gemmt_kernelIiLi16ELi32ELi8ELc84ELc78ELc85ELb0ELb0E19rocblas_complex_numIdES1_PKPKS1_PKPS1_EviT_T9_T10_S9_lSB_S9_lSA_T11_S9_li,"axG",@progbits,_ZL29rocblas_internal_gemmt_kernelIiLi16ELi32ELi8ELc84ELc78ELc85ELb0ELb0E19rocblas_complex_numIdES1_PKPKS1_PKPS1_EviT_T9_T10_S9_lSB_S9_lSA_T11_S9_li,comdat
.Lfunc_end417:
	.size	_ZL29rocblas_internal_gemmt_kernelIiLi16ELi32ELi8ELc84ELc78ELc85ELb0ELb0E19rocblas_complex_numIdES1_PKPKS1_PKPS1_EviT_T9_T10_S9_lSB_S9_lSA_T11_S9_li, .Lfunc_end417-_ZL29rocblas_internal_gemmt_kernelIiLi16ELi32ELi8ELc84ELc78ELc85ELb0ELb0E19rocblas_complex_numIdES1_PKPKS1_PKPS1_EviT_T9_T10_S9_lSB_S9_lSA_T11_S9_li
                                        ; -- End function
	.set _ZL29rocblas_internal_gemmt_kernelIiLi16ELi32ELi8ELc84ELc78ELc85ELb0ELb0E19rocblas_complex_numIdES1_PKPKS1_PKPS1_EviT_T9_T10_S9_lSB_S9_lSA_T11_S9_li.num_vgpr, 128
	.set _ZL29rocblas_internal_gemmt_kernelIiLi16ELi32ELi8ELc84ELc78ELc85ELb0ELb0E19rocblas_complex_numIdES1_PKPKS1_PKPS1_EviT_T9_T10_S9_lSB_S9_lSA_T11_S9_li.num_agpr, 0
	.set _ZL29rocblas_internal_gemmt_kernelIiLi16ELi32ELi8ELc84ELc78ELc85ELb0ELb0E19rocblas_complex_numIdES1_PKPKS1_PKPS1_EviT_T9_T10_S9_lSB_S9_lSA_T11_S9_li.numbered_sgpr, 30
	.set _ZL29rocblas_internal_gemmt_kernelIiLi16ELi32ELi8ELc84ELc78ELc85ELb0ELb0E19rocblas_complex_numIdES1_PKPKS1_PKPS1_EviT_T9_T10_S9_lSB_S9_lSA_T11_S9_li.num_named_barrier, 0
	.set _ZL29rocblas_internal_gemmt_kernelIiLi16ELi32ELi8ELc84ELc78ELc85ELb0ELb0E19rocblas_complex_numIdES1_PKPKS1_PKPS1_EviT_T9_T10_S9_lSB_S9_lSA_T11_S9_li.private_seg_size, 0
	.set _ZL29rocblas_internal_gemmt_kernelIiLi16ELi32ELi8ELc84ELc78ELc85ELb0ELb0E19rocblas_complex_numIdES1_PKPKS1_PKPS1_EviT_T9_T10_S9_lSB_S9_lSA_T11_S9_li.uses_vcc, 1
	.set _ZL29rocblas_internal_gemmt_kernelIiLi16ELi32ELi8ELc84ELc78ELc85ELb0ELb0E19rocblas_complex_numIdES1_PKPKS1_PKPS1_EviT_T9_T10_S9_lSB_S9_lSA_T11_S9_li.uses_flat_scratch, 0
	.set _ZL29rocblas_internal_gemmt_kernelIiLi16ELi32ELi8ELc84ELc78ELc85ELb0ELb0E19rocblas_complex_numIdES1_PKPKS1_PKPS1_EviT_T9_T10_S9_lSB_S9_lSA_T11_S9_li.has_dyn_sized_stack, 0
	.set _ZL29rocblas_internal_gemmt_kernelIiLi16ELi32ELi8ELc84ELc78ELc85ELb0ELb0E19rocblas_complex_numIdES1_PKPKS1_PKPS1_EviT_T9_T10_S9_lSB_S9_lSA_T11_S9_li.has_recursion, 0
	.set _ZL29rocblas_internal_gemmt_kernelIiLi16ELi32ELi8ELc84ELc78ELc85ELb0ELb0E19rocblas_complex_numIdES1_PKPKS1_PKPS1_EviT_T9_T10_S9_lSB_S9_lSA_T11_S9_li.has_indirect_call, 0
	.section	.AMDGPU.csdata,"",@progbits
; Kernel info:
; codeLenInByte = 3512
; TotalNumSgprs: 32
; NumVgprs: 128
; ScratchSize: 0
; MemoryBound: 0
; FloatMode: 240
; IeeeMode: 1
; LDSByteSize: 8192 bytes/workgroup (compile time only)
; SGPRBlocks: 0
; VGPRBlocks: 15
; NumSGPRsForWavesPerEU: 32
; NumVGPRsForWavesPerEU: 128
; Occupancy: 8
; WaveLimiterHint : 1
; COMPUTE_PGM_RSRC2:SCRATCH_EN: 0
; COMPUTE_PGM_RSRC2:USER_SGPR: 6
; COMPUTE_PGM_RSRC2:TRAP_HANDLER: 0
; COMPUTE_PGM_RSRC2:TGID_X_EN: 1
; COMPUTE_PGM_RSRC2:TGID_Y_EN: 1
; COMPUTE_PGM_RSRC2:TGID_Z_EN: 1
; COMPUTE_PGM_RSRC2:TIDIG_COMP_CNT: 1
	.section	.text._ZL29rocblas_internal_gemmt_kernelIiLi16ELi32ELi8ELc84ELc84ELc85ELb0ELb0E19rocblas_complex_numIdES1_PKPKS1_PKPS1_EviT_T9_T10_S9_lSB_S9_lSA_T11_S9_li,"axG",@progbits,_ZL29rocblas_internal_gemmt_kernelIiLi16ELi32ELi8ELc84ELc84ELc85ELb0ELb0E19rocblas_complex_numIdES1_PKPKS1_PKPS1_EviT_T9_T10_S9_lSB_S9_lSA_T11_S9_li,comdat
	.globl	_ZL29rocblas_internal_gemmt_kernelIiLi16ELi32ELi8ELc84ELc84ELc85ELb0ELb0E19rocblas_complex_numIdES1_PKPKS1_PKPS1_EviT_T9_T10_S9_lSB_S9_lSA_T11_S9_li ; -- Begin function _ZL29rocblas_internal_gemmt_kernelIiLi16ELi32ELi8ELc84ELc84ELc85ELb0ELb0E19rocblas_complex_numIdES1_PKPKS1_PKPS1_EviT_T9_T10_S9_lSB_S9_lSA_T11_S9_li
	.p2align	8
	.type	_ZL29rocblas_internal_gemmt_kernelIiLi16ELi32ELi8ELc84ELc84ELc85ELb0ELb0E19rocblas_complex_numIdES1_PKPKS1_PKPS1_EviT_T9_T10_S9_lSB_S9_lSA_T11_S9_li,@function
_ZL29rocblas_internal_gemmt_kernelIiLi16ELi32ELi8ELc84ELc84ELc85ELb0ELb0E19rocblas_complex_numIdES1_PKPKS1_PKPS1_EviT_T9_T10_S9_lSB_S9_lSA_T11_S9_li: ; @_ZL29rocblas_internal_gemmt_kernelIiLi16ELi32ELi8ELc84ELc84ELc85ELb0ELb0E19rocblas_complex_numIdES1_PKPKS1_PKPS1_EviT_T9_T10_S9_lSB_S9_lSA_T11_S9_li
; %bb.0:
	s_clause 0x2
	s_load_dwordx8 s[12:19], s[4:5], 0x40
	s_load_dwordx2 s[2:3], s[4:5], 0x0
	s_load_dwordx4 s[20:23], s[4:5], 0x8
	s_waitcnt lgkmcnt(0)
	v_cmp_eq_f64_e64 s0, s[14:15], 1.0
	v_cmp_eq_f64_e64 s28, s[16:17], 0
	s_and_b32 s0, s0, s28
	s_andn2_b32 vcc_lo, exec_lo, s0
	s_mov_b32 s0, -1
	s_cbranch_vccnz .LBB418_3
; %bb.1:
	s_cmp_lg_u32 s3, 0
	s_cbranch_scc0 .LBB418_31
; %bb.2:
	v_cmp_neq_f64_e64 s0, s[20:21], 0
	v_cmp_neq_f64_e64 s1, s[22:23], 0
	s_or_b32 s0, s0, s1
.LBB418_3:
	s_and_b32 vcc_lo, exec_lo, s0
	s_cbranch_vccz .LBB418_32
; %bb.4:
	v_cmp_eq_f64_e64 s24, s[20:21], 0
	v_cmp_eq_f64_e64 s25, s[22:23], 0
	s_mov_b32 s9, 0
	v_mov_b32_e32 v22, 0
	s_lshl_b64 s[0:1], s[8:9], 3
	v_mov_b32_e32 v24, 0
	s_add_u32 s10, s18, s0
	s_addc_u32 s11, s19, s1
	s_lshl_b32 s8, s6, 5
	s_load_dwordx2 s[10:11], s[10:11], 0x0
	s_lshl_b32 s18, s7, 5
	v_mov_b32_e32 v18, 0
	v_mov_b32_e32 v20, 0
	;; [unrolled: 1-line block ×12, first 2 shown]
	s_and_b32 s6, s24, s25
	s_cmp_lt_i32 s3, 1
	v_mov_b32_e32 v9, 0
	s_cselect_b32 s7, -1, 0
	v_mov_b32_e32 v7, 0
	s_or_b32 s6, s6, s7
	s_and_b32 vcc_lo, exec_lo, s6
	s_cbranch_vccnz .LBB418_15
; %bb.5:
	s_clause 0x3
	s_load_dword s6, s[4:5], 0x38
	s_load_dwordx4 s[24:27], s[4:5], 0x28
	s_load_dword s19, s[4:5], 0x20
	s_load_dwordx2 s[30:31], s[4:5], 0x18
	v_lshl_add_u32 v2, v1, 4, v0
	v_and_b32_e32 v26, 7, v0
	v_mov_b32_e32 v16, 0
	v_mov_b32_e32 v14, 0
	;; [unrolled: 1-line block ×3, first 2 shown]
	v_and_b32_e32 v3, 31, v2
	v_lshrrev_b32_e32 v4, 3, v2
	v_lshlrev_b32_e32 v5, 4, v26
	v_lshrrev_b32_e32 v27, 5, v2
	v_mov_b32_e32 v18, 0
	v_or_b32_e32 v6, s8, v3
	v_lshlrev_b32_e32 v7, 4, v3
	v_add_nc_u32_e32 v3, s8, v3
	v_add_nc_u32_e32 v2, s18, v4
	v_lshl_or_b32 v8, v4, 7, v5
	v_cmp_gt_i32_e32 vcc_lo, s2, v6
	s_waitcnt lgkmcnt(0)
	s_ashr_i32 s7, s6, 31
	s_add_u32 s26, s26, s0
	v_mad_i64_i32 v[4:5], null, s19, v3, 0
	s_addc_u32 s27, s27, s1
	v_lshl_or_b32 v28, v27, 9, v7
	s_add_u32 s0, s30, s0
	v_mad_i64_i32 v[6:7], null, s6, v26, 0
	s_addc_u32 s1, s31, s1
	s_load_dwordx2 s[26:27], s[26:27], 0x0
	s_load_dwordx2 s[30:31], s[0:1], 0x0
	v_lshlrev_b64 v[4:5], 4, v[4:5]
	v_ashrrev_i32_e32 v3, 31, v2
	s_lshl_b64 s[24:25], s[24:25], 4
	v_add_nc_u32_e32 v29, 0x1000, v8
	v_lshlrev_b64 v[6:7], 4, v[6:7]
	v_lshlrev_b32_e32 v8, 4, v27
	v_add_co_u32 v4, s1, v4, s24
	s_lshl_b64 s[12:13], s[12:13], 4
	v_cmp_gt_i32_e64 s0, s2, v2
	v_lshlrev_b64 v[2:3], 4, v[2:3]
	v_add_co_ci_u32_e64 v5, null, s25, v5, s1
	v_add_co_u32 v6, s1, v6, s12
	v_add_co_ci_u32_e64 v7, null, s13, v7, s1
	v_add_co_u32 v4, s1, v4, v8
	v_add_co_ci_u32_e64 v5, null, 0, v5, s1
	v_add_co_u32 v2, s1, v6, v2
	v_add_co_ci_u32_e64 v3, null, v7, v3, s1
	s_waitcnt lgkmcnt(0)
	v_add_co_u32 v10, s1, s30, v4
	v_add_co_ci_u32_e64 v11, null, s31, v5, s1
	v_add_co_u32 v12, s1, s26, v2
	v_mov_b32_e32 v6, 0
	v_mov_b32_e32 v8, 0
	;; [unrolled: 1-line block ×4, first 2 shown]
	v_lshlrev_b32_e32 v30, 4, v0
	v_lshl_add_u32 v31, v1, 7, 0x1000
	v_add_co_ci_u32_e64 v13, null, s27, v3, s1
	v_mov_b32_e32 v7, 0
	v_mov_b32_e32 v9, 0
	;; [unrolled: 1-line block ×9, first 2 shown]
	s_lshl_b64 s[6:7], s[6:7], 7
	s_xor_b32 s1, vcc_lo, -1
	s_xor_b32 s0, s0, -1
	s_branch .LBB418_7
.LBB418_6:                              ;   in Loop: Header=BB418_7 Depth=1
	s_or_b32 exec_lo, exec_lo, s12
	s_waitcnt lgkmcnt(0)
	s_barrier
	buffer_gl0_inv
	ds_read_b128 v[32:35], v31
	ds_read_b128 v[36:39], v30
	ds_read_b128 v[40:43], v30 offset:256
	ds_read_b128 v[44:47], v31 offset:2048
	;; [unrolled: 1-line block ×12, first 2 shown]
	v_add_co_u32 v10, vcc_lo, 0x80, v10
	v_add_co_ci_u32_e64 v11, null, 0, v11, vcc_lo
	v_add_co_u32 v12, vcc_lo, v12, s6
	v_add_co_ci_u32_e64 v13, null, s7, v13, vcc_lo
	s_waitcnt lgkmcnt(12)
	v_mul_f64 v[3:4], v[34:35], v[38:39]
	v_mul_f64 v[88:89], v[32:33], v[38:39]
	s_waitcnt lgkmcnt(11)
	v_mul_f64 v[90:91], v[34:35], v[42:43]
	v_mul_f64 v[92:93], v[32:33], v[42:43]
	;; [unrolled: 3-line block ×3, first 2 shown]
	v_mul_f64 v[96:97], v[46:47], v[42:43]
	v_mul_f64 v[42:43], v[44:45], v[42:43]
	s_waitcnt lgkmcnt(8)
	v_mul_f64 v[98:99], v[50:51], v[54:55]
	v_mul_f64 v[100:101], v[48:49], v[54:55]
	s_waitcnt lgkmcnt(7)
	;; [unrolled: 3-line block ×3, first 2 shown]
	v_mul_f64 v[106:107], v[62:63], v[54:55]
	v_mul_f64 v[54:55], v[60:61], v[54:55]
	;; [unrolled: 1-line block ×4, first 2 shown]
	s_waitcnt lgkmcnt(4)
	v_mul_f64 v[110:111], v[66:67], v[70:71]
	v_mul_f64 v[112:113], v[64:65], v[70:71]
	s_waitcnt lgkmcnt(3)
	v_mul_f64 v[114:115], v[66:67], v[74:75]
	v_mul_f64 v[116:117], v[64:65], v[74:75]
	;; [unrolled: 3-line block ×3, first 2 shown]
	v_fma_f64 v[3:4], v[32:33], v[36:37], -v[3:4]
	v_fma_f64 v[88:89], v[34:35], v[36:37], v[88:89]
	v_fma_f64 v[90:91], v[32:33], v[40:41], -v[90:91]
	v_fma_f64 v[92:93], v[34:35], v[40:41], v[92:93]
	;; [unrolled: 2-line block ×4, first 2 shown]
	v_mul_f64 v[124:125], v[78:79], v[74:75]
	v_mul_f64 v[74:75], v[76:77], v[74:75]
	ds_read_b128 v[32:35], v30 offset:1536
	ds_read_b128 v[36:39], v30 offset:1792
	v_fma_f64 v[98:99], v[48:49], v[52:53], -v[98:99]
	v_fma_f64 v[100:101], v[50:51], v[52:53], v[100:101]
	v_fma_f64 v[102:103], v[48:49], v[56:57], -v[102:103]
	v_fma_f64 v[104:105], v[50:51], v[56:57], v[104:105]
	;; [unrolled: 2-line block ×7, first 2 shown]
	v_add_f64 v[22:23], v[22:23], v[3:4]
	v_add_f64 v[24:25], v[88:89], v[24:25]
	;; [unrolled: 1-line block ×4, first 2 shown]
	s_waitcnt lgkmcnt(1)
	v_mul_f64 v[110:111], v[82:83], v[34:35]
	v_mul_f64 v[112:113], v[80:81], v[34:35]
	s_waitcnt lgkmcnt(0)
	v_mul_f64 v[70:71], v[82:83], v[38:39]
	v_fma_f64 v[76:77], v[76:77], v[72:73], -v[124:125]
	v_fma_f64 v[72:73], v[78:79], v[72:73], v[74:75]
	v_add_f64 v[74:75], v[14:15], v[94:95]
	v_add_f64 v[78:79], v[120:121], v[16:17]
	;; [unrolled: 1-line block ×4, first 2 shown]
	ds_read_b128 v[40:43], v31 offset:64
	ds_read_b128 v[44:47], v30 offset:2048
	;; [unrolled: 1-line block ×3, first 2 shown]
	v_mul_f64 v[114:115], v[80:81], v[38:39]
	v_mul_f64 v[116:117], v[86:87], v[34:35]
	;; [unrolled: 1-line block ×5, first 2 shown]
	ds_read_b128 v[52:55], v31 offset:2112
	ds_read_b128 v[14:17], v31 offset:2128
	v_add_f64 v[98:99], v[22:23], v[98:99]
	v_add_f64 v[100:101], v[100:101], v[24:25]
	;; [unrolled: 1-line block ×4, first 2 shown]
	v_fma_f64 v[92:93], v[80:81], v[32:33], -v[110:111]
	v_fma_f64 v[94:95], v[82:83], v[32:33], v[112:113]
	v_fma_f64 v[70:71], v[80:81], v[36:37], -v[70:71]
	ds_read_b128 v[18:21], v30 offset:2560
	ds_read_b128 v[3:6], v31 offset:80
	;; [unrolled: 1-line block ×3, first 2 shown]
	v_add_f64 v[74:75], v[74:75], v[106:107]
	s_waitcnt lgkmcnt(6)
	v_mul_f64 v[80:81], v[42:43], v[46:47]
	v_mul_f64 v[96:97], v[40:41], v[46:47]
	s_waitcnt lgkmcnt(5)
	v_mul_f64 v[110:111], v[42:43], v[50:51]
	v_mul_f64 v[112:113], v[40:41], v[50:51]
	v_add_f64 v[78:79], v[126:127], v[78:79]
	v_add_f64 v[7:8], v[8:9], v[60:61]
	;; [unrolled: 1-line block ×3, first 2 shown]
	v_fma_f64 v[82:83], v[82:83], v[36:37], v[114:115]
	s_waitcnt lgkmcnt(4)
	v_mul_f64 v[114:115], v[54:55], v[46:47]
	v_mul_f64 v[46:47], v[52:53], v[46:47]
	v_fma_f64 v[60:61], v[84:85], v[32:33], -v[116:117]
	v_fma_f64 v[88:89], v[86:87], v[32:33], v[34:35]
	v_fma_f64 v[84:85], v[84:85], v[36:37], -v[90:91]
	v_fma_f64 v[86:87], v[86:87], v[36:37], v[38:39]
	v_add_f64 v[58:59], v[98:99], v[58:59]
	v_add_f64 v[62:63], v[62:63], v[100:101]
	;; [unrolled: 1-line block ×4, first 2 shown]
	s_waitcnt lgkmcnt(0)
	v_mul_f64 v[98:99], v[3:4], v[24:25]
	v_mul_f64 v[100:101], v[16:17], v[20:21]
	v_mul_f64 v[102:103], v[16:17], v[24:25]
	v_add_f64 v[74:75], v[74:75], v[108:109]
	v_fma_f64 v[80:81], v[40:41], v[44:45], -v[80:81]
	v_fma_f64 v[90:91], v[42:43], v[44:45], v[96:97]
	v_fma_f64 v[96:97], v[40:41], v[48:49], -v[110:111]
	v_fma_f64 v[106:107], v[42:43], v[48:49], v[112:113]
	v_mul_f64 v[40:41], v[54:55], v[50:51]
	v_mul_f64 v[42:43], v[52:53], v[50:51]
	v_add_f64 v[68:69], v[68:69], v[78:79]
	v_add_f64 v[7:8], v[7:8], v[76:77]
	;; [unrolled: 1-line block ×3, first 2 shown]
	v_fma_f64 v[50:51], v[52:53], v[44:45], -v[114:115]
	v_fma_f64 v[110:111], v[54:55], v[44:45], v[46:47]
	v_mul_f64 v[72:73], v[5:6], v[20:21]
	v_mul_f64 v[76:77], v[3:4], v[20:21]
	;; [unrolled: 1-line block ×5, first 2 shown]
	ds_read_b128 v[32:35], v31 offset:96
	ds_read_b128 v[36:39], v30 offset:3072
	s_add_i32 s9, s9, 8
	s_cmp_lt_i32 s9, s3
	v_add_f64 v[60:61], v[74:75], v[60:61]
	v_fma_f64 v[74:75], v[5:6], v[22:23], v[98:99]
	v_fma_f64 v[52:53], v[52:53], v[48:49], -v[40:41]
	v_fma_f64 v[48:49], v[54:55], v[48:49], v[42:43]
	v_add_f64 v[54:55], v[58:59], v[92:93]
	v_add_f64 v[58:59], v[94:95], v[62:63]
	;; [unrolled: 1-line block ×7, first 2 shown]
	ds_read_b128 v[40:43], v30 offset:3328
	ds_read_b128 v[44:47], v31 offset:2144
	v_fma_f64 v[68:69], v[3:4], v[18:19], -v[72:73]
	v_fma_f64 v[70:71], v[5:6], v[18:19], v[76:77]
	v_fma_f64 v[72:73], v[3:4], v[22:23], -v[78:79]
	v_fma_f64 v[76:77], v[14:15], v[18:19], -v[100:101]
	v_fma_f64 v[78:79], v[16:17], v[18:19], v[20:21]
	v_fma_f64 v[82:83], v[14:15], v[22:23], -v[102:103]
	s_waitcnt lgkmcnt(2)
	v_mul_f64 v[84:85], v[34:35], v[38:39]
	v_fma_f64 v[86:87], v[16:17], v[22:23], v[24:25]
	v_mul_f64 v[88:89], v[32:33], v[38:39]
	v_add_f64 v[50:51], v[60:61], v[50:51]
	ds_read_b128 v[3:6], v31 offset:112
	ds_read_b128 v[14:17], v31 offset:2160
	;; [unrolled: 1-line block ×4, first 2 shown]
	s_waitcnt lgkmcnt(0)
	v_add_f64 v[54:55], v[54:55], v[80:81]
	v_add_f64 v[58:59], v[90:91], v[58:59]
	;; [unrolled: 1-line block ×4, first 2 shown]
	v_mul_f64 v[92:93], v[34:35], v[42:43]
	v_mul_f64 v[94:95], v[32:33], v[42:43]
	v_mul_f64 v[98:99], v[46:47], v[38:39]
	v_mul_f64 v[38:39], v[44:45], v[38:39]
	v_add_f64 v[60:61], v[110:111], v[66:67]
	v_add_f64 v[7:8], v[7:8], v[52:53]
	;; [unrolled: 1-line block ×3, first 2 shown]
	v_mul_f64 v[52:53], v[46:47], v[42:43]
	v_mul_f64 v[42:43], v[44:45], v[42:43]
	s_barrier
	v_fma_f64 v[56:57], v[32:33], v[36:37], -v[84:85]
	buffer_gl0_inv
	v_fma_f64 v[66:67], v[34:35], v[36:37], v[88:89]
	v_add_f64 v[50:51], v[50:51], v[76:77]
	v_fma_f64 v[32:33], v[32:33], v[40:41], -v[92:93]
	v_fma_f64 v[34:35], v[34:35], v[40:41], v[94:95]
	v_fma_f64 v[80:81], v[44:45], v[36:37], -v[98:99]
	v_fma_f64 v[36:37], v[46:47], v[36:37], v[38:39]
	v_add_f64 v[38:39], v[54:55], v[68:69]
	v_add_f64 v[54:55], v[70:71], v[58:59]
	v_add_f64 v[58:59], v[62:63], v[72:73]
	v_add_f64 v[62:63], v[74:75], v[64:65]
	v_add_f64 v[60:61], v[78:79], v[60:61]
	v_add_f64 v[7:8], v[7:8], v[82:83]
	v_add_f64 v[48:49], v[86:87], v[48:49]
	v_fma_f64 v[44:45], v[44:45], v[40:41], -v[52:53]
	v_fma_f64 v[40:41], v[46:47], v[40:41], v[42:43]
	v_mul_f64 v[42:43], v[5:6], v[20:21]
	v_mul_f64 v[46:47], v[3:4], v[20:21]
	;; [unrolled: 1-line block ×8, first 2 shown]
	v_add_f64 v[50:51], v[50:51], v[80:81]
	v_add_f64 v[38:39], v[38:39], v[56:57]
	;; [unrolled: 1-line block ×8, first 2 shown]
	v_fma_f64 v[42:43], v[3:4], v[18:19], -v[42:43]
	v_fma_f64 v[44:45], v[5:6], v[18:19], v[46:47]
	v_fma_f64 v[3:4], v[3:4], v[22:23], -v[52:53]
	v_fma_f64 v[5:6], v[5:6], v[22:23], v[64:65]
	;; [unrolled: 2-line block ×4, first 2 shown]
	v_add_f64 v[22:23], v[38:39], v[42:43]
	v_add_f64 v[24:25], v[44:45], v[54:55]
	v_add_f64 v[18:19], v[32:33], v[3:4]
	v_add_f64 v[20:21], v[5:6], v[34:35]
	v_add_f64 v[14:15], v[50:51], v[46:47]
	v_add_f64 v[16:17], v[48:49], v[36:37]
	v_add_f64 v[8:9], v[7:8], v[52:53]
	v_add_f64 v[6:7], v[56:57], v[40:41]
	s_cbranch_scc0 .LBB418_15
.LBB418_7:                              ; =>This Inner Loop Header: Depth=1
	v_add_nc_u32_e32 v3, s9, v27
	v_cmp_le_i32_e32 vcc_lo, s3, v3
	s_or_b32 s12, s1, vcc_lo
	s_and_saveexec_b32 s13, s12
	s_xor_b32 s12, exec_lo, s13
	s_cbranch_execz .LBB418_9
; %bb.8:                                ;   in Loop: Header=BB418_7 Depth=1
	v_mov_b32_e32 v3, v2
	v_mov_b32_e32 v4, v2
	;; [unrolled: 1-line block ×3, first 2 shown]
	ds_write_b128 v28, v[2:5]
.LBB418_9:                              ;   in Loop: Header=BB418_7 Depth=1
	s_andn2_saveexec_b32 s12, s12
	s_cbranch_execz .LBB418_11
; %bb.10:                               ;   in Loop: Header=BB418_7 Depth=1
	flat_load_dwordx4 v[32:35], v[10:11]
	s_waitcnt vmcnt(0) lgkmcnt(0)
	ds_write2_b64 v28, v[32:33], v[34:35] offset1:1
.LBB418_11:                             ;   in Loop: Header=BB418_7 Depth=1
	s_or_b32 exec_lo, exec_lo, s12
	v_add_nc_u32_e32 v3, s9, v26
	v_cmp_le_i32_e32 vcc_lo, s3, v3
	s_or_b32 s12, vcc_lo, s0
	s_and_saveexec_b32 s13, s12
	s_xor_b32 s12, exec_lo, s13
	s_cbranch_execz .LBB418_13
; %bb.12:                               ;   in Loop: Header=BB418_7 Depth=1
	v_mov_b32_e32 v3, v2
	v_mov_b32_e32 v4, v2
	;; [unrolled: 1-line block ×3, first 2 shown]
	ds_write_b128 v29, v[2:5]
.LBB418_13:                             ;   in Loop: Header=BB418_7 Depth=1
	s_andn2_saveexec_b32 s12, s12
	s_cbranch_execz .LBB418_6
; %bb.14:                               ;   in Loop: Header=BB418_7 Depth=1
	flat_load_dwordx4 v[32:35], v[12:13]
	s_waitcnt vmcnt(0) lgkmcnt(0)
	ds_write2_b64 v29, v[32:33], v[34:35] offset1:1
	s_branch .LBB418_6
.LBB418_15:
	s_clause 0x1
	s_load_dword s3, s[4:5], 0x60
	s_load_dwordx2 s[4:5], s[4:5], 0x68
	v_cmp_neq_f64_e64 s6, s[14:15], 0
	v_add_nc_u32_e32 v27, s18, v1
	v_add_nc_u32_e32 v4, s8, v0
	v_cmp_gt_i32_e64 s0, s2, v27
	v_cmp_le_i32_e32 vcc_lo, v4, v27
	v_ashrrev_i32_e32 v5, 31, v4
	s_waitcnt lgkmcnt(0)
	v_mad_i64_i32 v[1:2], null, v27, s3, 0
	s_lshl_b64 s[4:5], s[4:5], 4
	s_add_u32 s4, s10, s4
	s_addc_u32 s5, s11, s5
	s_xor_b32 s7, s28, -1
	s_or_b32 s6, s6, s7
	v_lshlrev_b64 v[0:1], 4, v[1:2]
	v_cndmask_b32_e64 v26, 0, 1, s6
	s_and_b32 s7, s0, vcc_lo
	v_add_co_u32 v12, s1, s4, v0
	v_add_co_ci_u32_e64 v13, null, s5, v1, s1
	s_and_saveexec_b32 s1, s7
	s_cbranch_execz .LBB418_19
; %bb.16:
	v_mul_f64 v[0:1], s[22:23], v[24:25]
	v_mul_f64 v[2:3], s[20:21], v[24:25]
	v_lshlrev_b64 v[10:11], 4, v[4:5]
	v_add_co_u32 v10, vcc_lo, v12, v10
	v_add_co_ci_u32_e64 v11, null, v13, v11, vcc_lo
	s_andn2_b32 vcc_lo, exec_lo, s6
	v_fma_f64 v[0:1], s[20:21], v[22:23], -v[0:1]
	v_fma_f64 v[2:3], s[22:23], v[22:23], v[2:3]
	s_cbranch_vccnz .LBB418_18
; %bb.17:
	flat_load_dwordx4 v[22:25], v[10:11]
	s_waitcnt vmcnt(0) lgkmcnt(0)
	v_mul_f64 v[28:29], s[16:17], v[24:25]
	v_mul_f64 v[24:25], s[14:15], v[24:25]
	v_fma_f64 v[28:29], s[14:15], v[22:23], -v[28:29]
	v_fma_f64 v[22:23], s[16:17], v[22:23], v[24:25]
	v_add_f64 v[0:1], v[0:1], v[28:29]
	v_add_f64 v[2:3], v[2:3], v[22:23]
.LBB418_18:
	flat_store_dwordx4 v[10:11], v[0:3]
.LBB418_19:
	s_or_b32 exec_lo, exec_lo, s1
	v_add_nc_u32_e32 v10, 16, v4
	v_cmp_le_i32_e32 vcc_lo, v10, v27
	v_ashrrev_i32_e32 v11, 31, v10
	s_and_b32 s0, s0, vcc_lo
	s_and_saveexec_b32 s1, s0
	s_cbranch_execz .LBB418_23
; %bb.20:
	v_mul_f64 v[0:1], s[22:23], v[20:21]
	v_mul_f64 v[2:3], s[20:21], v[20:21]
	v_cmp_ne_u32_e32 vcc_lo, 1, v26
	s_and_b32 vcc_lo, exec_lo, vcc_lo
	v_fma_f64 v[0:1], s[20:21], v[18:19], -v[0:1]
	v_fma_f64 v[2:3], s[22:23], v[18:19], v[2:3]
	v_lshlrev_b64 v[18:19], 4, v[10:11]
	v_add_co_u32 v12, s0, v12, v18
	v_add_co_ci_u32_e64 v13, null, v13, v19, s0
	s_cbranch_vccnz .LBB418_22
; %bb.21:
	flat_load_dwordx4 v[18:21], v[12:13]
	s_waitcnt vmcnt(0) lgkmcnt(0)
	v_mul_f64 v[22:23], s[16:17], v[20:21]
	v_mul_f64 v[20:21], s[14:15], v[20:21]
	v_fma_f64 v[22:23], s[14:15], v[18:19], -v[22:23]
	v_fma_f64 v[18:19], s[16:17], v[18:19], v[20:21]
	v_add_f64 v[0:1], v[0:1], v[22:23]
	v_add_f64 v[2:3], v[2:3], v[18:19]
.LBB418_22:
	flat_store_dwordx4 v[12:13], v[0:3]
.LBB418_23:
	s_or_b32 exec_lo, exec_lo, s1
	v_add_nc_u32_e32 v18, 16, v27
	v_mad_i64_i32 v[0:1], null, v18, s3, 0
	v_cmp_gt_i32_e64 s0, s2, v18
	v_cmp_le_i32_e32 vcc_lo, v4, v18
	v_lshlrev_b64 v[0:1], 4, v[0:1]
	v_add_co_u32 v12, s1, s4, v0
	v_add_co_ci_u32_e64 v13, null, s5, v1, s1
	s_and_b32 s1, s0, vcc_lo
	s_and_saveexec_b32 s2, s1
	s_cbranch_execz .LBB418_27
; %bb.24:
	v_mul_f64 v[0:1], s[22:23], v[16:17]
	v_mul_f64 v[2:3], s[20:21], v[16:17]
	v_lshlrev_b64 v[4:5], 4, v[4:5]
	v_cmp_ne_u32_e32 vcc_lo, 1, v26
	s_and_b32 vcc_lo, exec_lo, vcc_lo
	v_add_co_u32 v4, s1, v12, v4
	v_add_co_ci_u32_e64 v5, null, v13, v5, s1
	v_fma_f64 v[0:1], s[20:21], v[14:15], -v[0:1]
	v_fma_f64 v[2:3], s[22:23], v[14:15], v[2:3]
	s_cbranch_vccnz .LBB418_26
; %bb.25:
	flat_load_dwordx4 v[14:17], v[4:5]
	s_waitcnt vmcnt(0) lgkmcnt(0)
	v_mul_f64 v[19:20], s[16:17], v[16:17]
	v_mul_f64 v[16:17], s[14:15], v[16:17]
	v_fma_f64 v[19:20], s[14:15], v[14:15], -v[19:20]
	v_fma_f64 v[14:15], s[16:17], v[14:15], v[16:17]
	v_add_f64 v[0:1], v[0:1], v[19:20]
	v_add_f64 v[2:3], v[2:3], v[14:15]
.LBB418_26:
	flat_store_dwordx4 v[4:5], v[0:3]
.LBB418_27:
	s_or_b32 exec_lo, exec_lo, s2
	v_cmp_le_i32_e32 vcc_lo, v10, v18
	s_and_b32 s0, s0, vcc_lo
	s_and_saveexec_b32 s1, s0
	s_cbranch_execz .LBB418_32
; %bb.28:
	v_mul_f64 v[0:1], s[22:23], v[6:7]
	v_mul_f64 v[2:3], s[20:21], v[6:7]
	v_lshlrev_b64 v[4:5], 4, v[10:11]
	v_cmp_ne_u32_e32 vcc_lo, 1, v26
	s_and_b32 vcc_lo, exec_lo, vcc_lo
	v_add_co_u32 v4, s0, v12, v4
	v_add_co_ci_u32_e64 v5, null, v13, v5, s0
	v_fma_f64 v[0:1], s[20:21], v[8:9], -v[0:1]
	v_fma_f64 v[2:3], s[22:23], v[8:9], v[2:3]
	s_cbranch_vccnz .LBB418_30
; %bb.29:
	flat_load_dwordx4 v[6:9], v[4:5]
	s_waitcnt vmcnt(0) lgkmcnt(0)
	v_mul_f64 v[10:11], s[16:17], v[8:9]
	v_mul_f64 v[8:9], s[14:15], v[8:9]
	v_fma_f64 v[10:11], s[14:15], v[6:7], -v[10:11]
	v_fma_f64 v[6:7], s[16:17], v[6:7], v[8:9]
	v_add_f64 v[0:1], v[0:1], v[10:11]
	v_add_f64 v[2:3], v[2:3], v[6:7]
.LBB418_30:
	flat_store_dwordx4 v[4:5], v[0:3]
	s_endpgm
.LBB418_31:
.LBB418_32:
	s_endpgm
	.section	.rodata,"a",@progbits
	.p2align	6, 0x0
	.amdhsa_kernel _ZL29rocblas_internal_gemmt_kernelIiLi16ELi32ELi8ELc84ELc84ELc85ELb0ELb0E19rocblas_complex_numIdES1_PKPKS1_PKPS1_EviT_T9_T10_S9_lSB_S9_lSA_T11_S9_li
		.amdhsa_group_segment_fixed_size 8192
		.amdhsa_private_segment_fixed_size 0
		.amdhsa_kernarg_size 116
		.amdhsa_user_sgpr_count 6
		.amdhsa_user_sgpr_private_segment_buffer 1
		.amdhsa_user_sgpr_dispatch_ptr 0
		.amdhsa_user_sgpr_queue_ptr 0
		.amdhsa_user_sgpr_kernarg_segment_ptr 1
		.amdhsa_user_sgpr_dispatch_id 0
		.amdhsa_user_sgpr_flat_scratch_init 0
		.amdhsa_user_sgpr_private_segment_size 0
		.amdhsa_wavefront_size32 1
		.amdhsa_uses_dynamic_stack 0
		.amdhsa_system_sgpr_private_segment_wavefront_offset 0
		.amdhsa_system_sgpr_workgroup_id_x 1
		.amdhsa_system_sgpr_workgroup_id_y 1
		.amdhsa_system_sgpr_workgroup_id_z 1
		.amdhsa_system_sgpr_workgroup_info 0
		.amdhsa_system_vgpr_workitem_id 1
		.amdhsa_next_free_vgpr 128
		.amdhsa_next_free_sgpr 32
		.amdhsa_reserve_vcc 1
		.amdhsa_reserve_flat_scratch 0
		.amdhsa_float_round_mode_32 0
		.amdhsa_float_round_mode_16_64 0
		.amdhsa_float_denorm_mode_32 3
		.amdhsa_float_denorm_mode_16_64 3
		.amdhsa_dx10_clamp 1
		.amdhsa_ieee_mode 1
		.amdhsa_fp16_overflow 0
		.amdhsa_workgroup_processor_mode 1
		.amdhsa_memory_ordered 1
		.amdhsa_forward_progress 1
		.amdhsa_shared_vgpr_count 0
		.amdhsa_exception_fp_ieee_invalid_op 0
		.amdhsa_exception_fp_denorm_src 0
		.amdhsa_exception_fp_ieee_div_zero 0
		.amdhsa_exception_fp_ieee_overflow 0
		.amdhsa_exception_fp_ieee_underflow 0
		.amdhsa_exception_fp_ieee_inexact 0
		.amdhsa_exception_int_div_zero 0
	.end_amdhsa_kernel
	.section	.text._ZL29rocblas_internal_gemmt_kernelIiLi16ELi32ELi8ELc84ELc84ELc85ELb0ELb0E19rocblas_complex_numIdES1_PKPKS1_PKPS1_EviT_T9_T10_S9_lSB_S9_lSA_T11_S9_li,"axG",@progbits,_ZL29rocblas_internal_gemmt_kernelIiLi16ELi32ELi8ELc84ELc84ELc85ELb0ELb0E19rocblas_complex_numIdES1_PKPKS1_PKPS1_EviT_T9_T10_S9_lSB_S9_lSA_T11_S9_li,comdat
.Lfunc_end418:
	.size	_ZL29rocblas_internal_gemmt_kernelIiLi16ELi32ELi8ELc84ELc84ELc85ELb0ELb0E19rocblas_complex_numIdES1_PKPKS1_PKPS1_EviT_T9_T10_S9_lSB_S9_lSA_T11_S9_li, .Lfunc_end418-_ZL29rocblas_internal_gemmt_kernelIiLi16ELi32ELi8ELc84ELc84ELc85ELb0ELb0E19rocblas_complex_numIdES1_PKPKS1_PKPS1_EviT_T9_T10_S9_lSB_S9_lSA_T11_S9_li
                                        ; -- End function
	.set _ZL29rocblas_internal_gemmt_kernelIiLi16ELi32ELi8ELc84ELc84ELc85ELb0ELb0E19rocblas_complex_numIdES1_PKPKS1_PKPS1_EviT_T9_T10_S9_lSB_S9_lSA_T11_S9_li.num_vgpr, 128
	.set _ZL29rocblas_internal_gemmt_kernelIiLi16ELi32ELi8ELc84ELc84ELc85ELb0ELb0E19rocblas_complex_numIdES1_PKPKS1_PKPS1_EviT_T9_T10_S9_lSB_S9_lSA_T11_S9_li.num_agpr, 0
	.set _ZL29rocblas_internal_gemmt_kernelIiLi16ELi32ELi8ELc84ELc84ELc85ELb0ELb0E19rocblas_complex_numIdES1_PKPKS1_PKPS1_EviT_T9_T10_S9_lSB_S9_lSA_T11_S9_li.numbered_sgpr, 32
	.set _ZL29rocblas_internal_gemmt_kernelIiLi16ELi32ELi8ELc84ELc84ELc85ELb0ELb0E19rocblas_complex_numIdES1_PKPKS1_PKPS1_EviT_T9_T10_S9_lSB_S9_lSA_T11_S9_li.num_named_barrier, 0
	.set _ZL29rocblas_internal_gemmt_kernelIiLi16ELi32ELi8ELc84ELc84ELc85ELb0ELb0E19rocblas_complex_numIdES1_PKPKS1_PKPS1_EviT_T9_T10_S9_lSB_S9_lSA_T11_S9_li.private_seg_size, 0
	.set _ZL29rocblas_internal_gemmt_kernelIiLi16ELi32ELi8ELc84ELc84ELc85ELb0ELb0E19rocblas_complex_numIdES1_PKPKS1_PKPS1_EviT_T9_T10_S9_lSB_S9_lSA_T11_S9_li.uses_vcc, 1
	.set _ZL29rocblas_internal_gemmt_kernelIiLi16ELi32ELi8ELc84ELc84ELc85ELb0ELb0E19rocblas_complex_numIdES1_PKPKS1_PKPS1_EviT_T9_T10_S9_lSB_S9_lSA_T11_S9_li.uses_flat_scratch, 0
	.set _ZL29rocblas_internal_gemmt_kernelIiLi16ELi32ELi8ELc84ELc84ELc85ELb0ELb0E19rocblas_complex_numIdES1_PKPKS1_PKPS1_EviT_T9_T10_S9_lSB_S9_lSA_T11_S9_li.has_dyn_sized_stack, 0
	.set _ZL29rocblas_internal_gemmt_kernelIiLi16ELi32ELi8ELc84ELc84ELc85ELb0ELb0E19rocblas_complex_numIdES1_PKPKS1_PKPS1_EviT_T9_T10_S9_lSB_S9_lSA_T11_S9_li.has_recursion, 0
	.set _ZL29rocblas_internal_gemmt_kernelIiLi16ELi32ELi8ELc84ELc84ELc85ELb0ELb0E19rocblas_complex_numIdES1_PKPKS1_PKPS1_EviT_T9_T10_S9_lSB_S9_lSA_T11_S9_li.has_indirect_call, 0
	.section	.AMDGPU.csdata,"",@progbits
; Kernel info:
; codeLenInByte = 3528
; TotalNumSgprs: 34
; NumVgprs: 128
; ScratchSize: 0
; MemoryBound: 0
; FloatMode: 240
; IeeeMode: 1
; LDSByteSize: 8192 bytes/workgroup (compile time only)
; SGPRBlocks: 0
; VGPRBlocks: 15
; NumSGPRsForWavesPerEU: 34
; NumVGPRsForWavesPerEU: 128
; Occupancy: 8
; WaveLimiterHint : 1
; COMPUTE_PGM_RSRC2:SCRATCH_EN: 0
; COMPUTE_PGM_RSRC2:USER_SGPR: 6
; COMPUTE_PGM_RSRC2:TRAP_HANDLER: 0
; COMPUTE_PGM_RSRC2:TGID_X_EN: 1
; COMPUTE_PGM_RSRC2:TGID_Y_EN: 1
; COMPUTE_PGM_RSRC2:TGID_Z_EN: 1
; COMPUTE_PGM_RSRC2:TIDIG_COMP_CNT: 1
	.section	.text._ZL29rocblas_internal_gemmt_kernelIiLi16ELi32ELi8ELc84ELc67ELc85ELb0ELb1E19rocblas_complex_numIdES1_PKPKS1_PKPS1_EviT_T9_T10_S9_lSB_S9_lSA_T11_S9_li,"axG",@progbits,_ZL29rocblas_internal_gemmt_kernelIiLi16ELi32ELi8ELc84ELc67ELc85ELb0ELb1E19rocblas_complex_numIdES1_PKPKS1_PKPS1_EviT_T9_T10_S9_lSB_S9_lSA_T11_S9_li,comdat
	.globl	_ZL29rocblas_internal_gemmt_kernelIiLi16ELi32ELi8ELc84ELc67ELc85ELb0ELb1E19rocblas_complex_numIdES1_PKPKS1_PKPS1_EviT_T9_T10_S9_lSB_S9_lSA_T11_S9_li ; -- Begin function _ZL29rocblas_internal_gemmt_kernelIiLi16ELi32ELi8ELc84ELc67ELc85ELb0ELb1E19rocblas_complex_numIdES1_PKPKS1_PKPS1_EviT_T9_T10_S9_lSB_S9_lSA_T11_S9_li
	.p2align	8
	.type	_ZL29rocblas_internal_gemmt_kernelIiLi16ELi32ELi8ELc84ELc67ELc85ELb0ELb1E19rocblas_complex_numIdES1_PKPKS1_PKPS1_EviT_T9_T10_S9_lSB_S9_lSA_T11_S9_li,@function
_ZL29rocblas_internal_gemmt_kernelIiLi16ELi32ELi8ELc84ELc67ELc85ELb0ELb1E19rocblas_complex_numIdES1_PKPKS1_PKPS1_EviT_T9_T10_S9_lSB_S9_lSA_T11_S9_li: ; @_ZL29rocblas_internal_gemmt_kernelIiLi16ELi32ELi8ELc84ELc67ELc85ELb0ELb1E19rocblas_complex_numIdES1_PKPKS1_PKPS1_EviT_T9_T10_S9_lSB_S9_lSA_T11_S9_li
; %bb.0:
	s_clause 0x2
	s_load_dwordx8 s[12:19], s[4:5], 0x40
	s_load_dwordx2 s[2:3], s[4:5], 0x0
	s_load_dwordx4 s[20:23], s[4:5], 0x8
	s_waitcnt lgkmcnt(0)
	v_cmp_eq_f64_e64 s0, s[14:15], 1.0
	v_cmp_eq_f64_e64 s30, s[16:17], 0
	s_and_b32 s0, s0, s30
	s_andn2_b32 vcc_lo, exec_lo, s0
	s_mov_b32 s0, -1
	s_cbranch_vccnz .LBB419_3
; %bb.1:
	s_cmp_lg_u32 s3, 0
	s_cbranch_scc0 .LBB419_29
; %bb.2:
	v_cmp_neq_f64_e64 s0, s[20:21], 0
	v_cmp_neq_f64_e64 s1, s[22:23], 0
	s_or_b32 s0, s0, s1
.LBB419_3:
	s_and_b32 vcc_lo, exec_lo, s0
	s_cbranch_vccz .LBB419_30
; %bb.4:
	v_cmp_eq_f64_e64 s24, s[20:21], 0
	v_cmp_eq_f64_e64 s25, s[22:23], 0
	s_mov_b32 s9, 0
	v_mov_b32_e32 v23, 0
	s_lshl_b64 s[28:29], s[8:9], 3
	v_mov_b32_e32 v25, 0
	s_add_u32 s0, s18, s28
	s_addc_u32 s1, s19, s29
	s_lshl_b32 s8, s6, 5
	s_load_dwordx2 s[10:11], s[0:1], 0x0
	s_lshl_b32 s18, s7, 5
	v_mov_b32_e32 v19, 0
	v_mov_b32_e32 v21, 0
	;; [unrolled: 1-line block ×12, first 2 shown]
	s_and_b32 s0, s24, s25
	s_cmp_lt_i32 s3, 1
	v_mov_b32_e32 v10, 0
	s_cselect_b32 s1, -1, 0
	v_mov_b32_e32 v8, 0
	s_or_b32 s0, s0, s1
	s_and_b32 vcc_lo, exec_lo, s0
	s_cbranch_vccnz .LBB419_13
; %bb.5:
	s_clause 0x3
	s_load_dword s6, s[4:5], 0x38
	s_load_dwordx4 s[24:27], s[4:5], 0x28
	s_load_dword s1, s[4:5], 0x20
	s_load_dwordx2 s[34:35], s[4:5], 0x18
	v_lshl_add_u32 v2, v1, 4, v0
	v_and_b32_e32 v27, 7, v0
	v_mov_b32_e32 v9, 0
	v_mov_b32_e32 v17, 0
	;; [unrolled: 1-line block ×3, first 2 shown]
	v_and_b32_e32 v3, 31, v2
	v_lshrrev_b32_e32 v4, 3, v2
	v_lshlrev_b32_e32 v5, 4, v27
	v_lshrrev_b32_e32 v28, 5, v2
	v_mov_b32_e32 v21, 0
	v_or_b32_e32 v6, s8, v3
	v_lshlrev_b32_e32 v7, 4, v3
	v_add_nc_u32_e32 v3, s8, v3
	v_add_nc_u32_e32 v2, s18, v4
	v_lshl_or_b32 v8, v4, 7, v5
	v_cmp_gt_i32_e64 s0, s2, v6
	s_waitcnt lgkmcnt(0)
	s_ashr_i32 s7, s6, 31
	s_add_u32 s26, s26, s28
	v_mad_i64_i32 v[4:5], null, s1, v3, 0
	s_addc_u32 s27, s27, s29
	v_lshl_or_b32 v29, v28, 9, v7
	s_add_u32 s28, s34, s28
	v_mad_i64_i32 v[6:7], null, s6, v27, 0
	s_addc_u32 s29, s35, s29
	s_load_dwordx2 s[26:27], s[26:27], 0x0
	s_load_dwordx2 s[28:29], s[28:29], 0x0
	v_lshlrev_b64 v[4:5], 4, v[4:5]
	v_ashrrev_i32_e32 v3, 31, v2
	s_lshl_b64 s[24:25], s[24:25], 4
	v_add_nc_u32_e32 v30, 0x1000, v8
	v_lshlrev_b64 v[6:7], 4, v[6:7]
	v_lshlrev_b32_e32 v8, 4, v28
	v_add_co_u32 v4, s1, v4, s24
	s_lshl_b64 s[12:13], s[12:13], 4
	v_cmp_gt_i32_e32 vcc_lo, s2, v2
	v_lshlrev_b64 v[2:3], 4, v[2:3]
	v_add_co_ci_u32_e64 v5, null, s25, v5, s1
	v_add_co_u32 v6, s1, v6, s12
	v_add_co_ci_u32_e64 v7, null, s13, v7, s1
	v_add_co_u32 v4, s1, v4, v8
	;; [unrolled: 2-line block ×3, first 2 shown]
	v_add_co_ci_u32_e64 v3, null, v7, v3, s1
	s_waitcnt lgkmcnt(0)
	v_add_co_u32 v11, s1, s28, v4
	v_add_co_ci_u32_e64 v12, null, s29, v5, s1
	v_add_co_u32 v13, s1, s26, v2
	v_mov_b32_e32 v7, 0
	v_mov_b32_e32 v19, 0
	;; [unrolled: 1-line block ×4, first 2 shown]
	v_lshlrev_b32_e32 v31, 4, v0
	v_lshl_add_u32 v32, v1, 7, 0x1000
	v_add_co_ci_u32_e64 v14, null, s27, v3, s1
	v_mov_b32_e32 v8, 0
	v_mov_b32_e32 v10, 0
	;; [unrolled: 1-line block ×9, first 2 shown]
	s_lshl_b64 s[6:7], s[6:7], 7
	s_xor_b32 s1, s0, -1
	s_branch .LBB419_7
.LBB419_6:                              ;   in Loop: Header=BB419_7 Depth=1
	s_or_b32 exec_lo, exec_lo, s0
	ds_write_b128 v30, v[3:6]
	s_waitcnt lgkmcnt(0)
	s_barrier
	buffer_gl0_inv
	ds_read_b128 v[3:6], v32
	ds_read_b128 v[33:36], v31
	ds_read_b128 v[37:40], v31 offset:256
	ds_read_b128 v[41:44], v32 offset:2048
	;; [unrolled: 1-line block ×12, first 2 shown]
	v_add_co_u32 v11, s0, 0x80, v11
	v_add_co_ci_u32_e64 v12, null, 0, v12, s0
	v_add_co_u32 v13, s0, v13, s6
	v_add_co_ci_u32_e64 v14, null, s7, v14, s0
	s_waitcnt lgkmcnt(12)
	v_mul_f64 v[85:86], v[5:6], v[35:36]
	v_mul_f64 v[87:88], v[3:4], v[35:36]
	s_waitcnt lgkmcnt(11)
	v_mul_f64 v[89:90], v[5:6], v[39:40]
	v_mul_f64 v[91:92], v[3:4], v[39:40]
	;; [unrolled: 3-line block ×3, first 2 shown]
	v_mul_f64 v[95:96], v[43:44], v[39:40]
	v_mul_f64 v[39:40], v[41:42], v[39:40]
	s_waitcnt lgkmcnt(8)
	v_mul_f64 v[97:98], v[47:48], v[51:52]
	v_mul_f64 v[99:100], v[45:46], v[51:52]
	s_waitcnt lgkmcnt(7)
	;; [unrolled: 3-line block ×3, first 2 shown]
	v_mul_f64 v[105:106], v[59:60], v[51:52]
	v_mul_f64 v[51:52], v[57:58], v[51:52]
	;; [unrolled: 1-line block ×4, first 2 shown]
	s_waitcnt lgkmcnt(4)
	v_mul_f64 v[109:110], v[63:64], v[67:68]
	v_mul_f64 v[111:112], v[61:62], v[67:68]
	s_waitcnt lgkmcnt(3)
	v_mul_f64 v[113:114], v[63:64], v[71:72]
	v_mul_f64 v[115:116], v[61:62], v[71:72]
	;; [unrolled: 3-line block ×3, first 2 shown]
	v_fma_f64 v[85:86], v[3:4], v[33:34], -v[85:86]
	v_fma_f64 v[87:88], v[5:6], v[33:34], v[87:88]
	v_fma_f64 v[89:90], v[3:4], v[37:38], -v[89:90]
	v_fma_f64 v[91:92], v[5:6], v[37:38], v[91:92]
	;; [unrolled: 2-line block ×4, first 2 shown]
	v_mul_f64 v[123:124], v[75:76], v[71:72]
	v_mul_f64 v[71:72], v[73:74], v[71:72]
	v_fma_f64 v[97:98], v[45:46], v[49:50], -v[97:98]
	v_fma_f64 v[99:100], v[47:48], v[49:50], v[99:100]
	v_fma_f64 v[101:102], v[45:46], v[53:54], -v[101:102]
	v_fma_f64 v[103:104], v[47:48], v[53:54], v[103:104]
	;; [unrolled: 2-line block ×7, first 2 shown]
	v_add_f64 v[23:24], v[23:24], v[85:86]
	v_add_f64 v[25:26], v[87:88], v[25:26]
	v_add_f64 v[19:20], v[19:20], v[89:90]
	v_add_f64 v[21:22], v[91:92], v[21:22]
	v_add_f64 v[9:10], v[9:10], v[95:96]
	v_add_f64 v[85:86], v[121:122], v[7:8]
	v_fma_f64 v[73:74], v[73:74], v[69:70], -v[123:124]
	v_fma_f64 v[69:70], v[75:76], v[69:70], v[71:72]
	v_add_f64 v[71:72], v[15:16], v[93:94]
	v_add_f64 v[75:76], v[119:120], v[17:18]
	ds_read_b128 v[3:6], v31 offset:1536
	ds_read_b128 v[33:36], v31 offset:1792
	ds_read_b128 v[37:40], v32 offset:64
	ds_read_b128 v[41:44], v31 offset:2048
	ds_read_b128 v[45:48], v31 offset:2304
	ds_read_b128 v[49:52], v32 offset:2112
	ds_read_b128 v[15:18], v32 offset:2128
	s_add_i32 s9, s9, 8
	s_cmp_lt_i32 s9, s3
	v_add_f64 v[97:98], v[23:24], v[97:98]
	v_add_f64 v[99:100], v[99:100], v[25:26]
	;; [unrolled: 1-line block ×6, first 2 shown]
	ds_read_b128 v[19:22], v31 offset:2560
	ds_read_b128 v[23:26], v31 offset:2816
	s_waitcnt lgkmcnt(8)
	v_mul_f64 v[109:110], v[79:80], v[5:6]
	v_mul_f64 v[111:112], v[77:78], v[5:6]
	s_waitcnt lgkmcnt(7)
	v_mul_f64 v[67:68], v[79:80], v[35:36]
	v_mul_f64 v[113:114], v[77:78], v[35:36]
	;; [unrolled: 1-line block ×6, first 2 shown]
	s_waitcnt lgkmcnt(4)
	v_mul_f64 v[95:96], v[39:40], v[47:48]
	v_add_f64 v[71:72], v[71:72], v[105:106]
	v_add_f64 v[75:76], v[125:126], v[75:76]
	v_mul_f64 v[93:94], v[37:38], v[43:44]
	ds_read_b128 v[5:8], v32 offset:80
	v_add_f64 v[55:56], v[97:98], v[55:56]
	v_add_f64 v[59:60], v[59:60], v[99:100]
	;; [unrolled: 1-line block ×6, first 2 shown]
	s_waitcnt lgkmcnt(2)
	v_mul_f64 v[99:100], v[17:18], v[21:22]
	s_waitcnt lgkmcnt(1)
	v_mul_f64 v[101:102], v[17:18], v[25:26]
	v_fma_f64 v[89:90], v[77:78], v[3:4], -v[109:110]
	v_fma_f64 v[91:92], v[79:80], v[3:4], v[111:112]
	v_fma_f64 v[67:68], v[77:78], v[33:34], -v[67:68]
	v_mul_f64 v[77:78], v[39:40], v[43:44]
	v_mul_f64 v[109:110], v[37:38], v[47:48]
	v_fma_f64 v[79:80], v[79:80], v[33:34], v[113:114]
	v_mul_f64 v[111:112], v[51:52], v[43:44]
	v_mul_f64 v[43:44], v[49:50], v[43:44]
	v_fma_f64 v[57:58], v[81:82], v[3:4], -v[115:116]
	v_fma_f64 v[3:4], v[83:84], v[3:4], v[117:118]
	v_fma_f64 v[81:82], v[81:82], v[33:34], -v[87:88]
	v_fma_f64 v[83:84], v[83:84], v[33:34], v[35:36]
	v_fma_f64 v[87:88], v[37:38], v[45:46], -v[95:96]
	v_mul_f64 v[95:96], v[51:52], v[47:48]
	v_mul_f64 v[47:48], v[49:50], v[47:48]
	v_add_f64 v[71:72], v[71:72], v[107:108]
	v_add_f64 v[65:66], v[65:66], v[75:76]
	v_fma_f64 v[85:86], v[39:40], v[41:42], v[93:94]
	s_waitcnt lgkmcnt(0)
	v_mul_f64 v[69:70], v[7:8], v[21:22]
	v_mul_f64 v[73:74], v[5:6], v[21:22]
	;; [unrolled: 1-line block ×6, first 2 shown]
	v_add_f64 v[55:56], v[55:56], v[89:90]
	v_fma_f64 v[77:78], v[37:38], v[41:42], -v[77:78]
	v_fma_f64 v[93:94], v[39:40], v[45:46], v[109:110]
	v_add_f64 v[59:60], v[91:92], v[59:60]
	v_fma_f64 v[105:106], v[49:50], v[41:42], -v[111:112]
	v_fma_f64 v[109:110], v[51:52], v[41:42], v[43:44]
	v_add_f64 v[61:62], v[61:62], v[67:68]
	v_add_f64 v[63:64], v[79:80], v[63:64]
	v_add_f64 v[67:68], v[9:10], v[81:82]
	v_add_f64 v[53:54], v[83:84], v[53:54]
	ds_read_b128 v[33:36], v32 offset:96
	ds_read_b128 v[37:40], v31 offset:3072
	v_fma_f64 v[49:50], v[49:50], v[45:46], -v[95:96]
	v_fma_f64 v[51:52], v[51:52], v[45:46], v[47:48]
	v_add_f64 v[57:58], v[71:72], v[57:58]
	v_add_f64 v[65:66], v[3:4], v[65:66]
	ds_read_b128 v[41:44], v31 offset:3328
	ds_read_b128 v[45:48], v32 offset:2144
	v_fma_f64 v[69:70], v[5:6], v[19:20], -v[69:70]
	v_fma_f64 v[71:72], v[7:8], v[19:20], v[73:74]
	v_fma_f64 v[73:74], v[5:6], v[23:24], -v[75:76]
	v_fma_f64 v[75:76], v[7:8], v[23:24], v[97:98]
	;; [unrolled: 2-line block ×4, first 2 shown]
	v_add_f64 v[55:56], v[55:56], v[77:78]
	v_add_f64 v[59:60], v[85:86], v[59:60]
	ds_read_b128 v[3:6], v32 offset:112
	ds_read_b128 v[7:10], v32 offset:2160
	v_add_f64 v[61:62], v[61:62], v[87:88]
	v_add_f64 v[63:64], v[93:94], v[63:64]
	s_waitcnt lgkmcnt(4)
	v_mul_f64 v[89:90], v[35:36], v[39:40]
	v_mul_f64 v[25:26], v[33:34], v[39:40]
	ds_read_b128 v[15:18], v31 offset:3584
	ds_read_b128 v[19:22], v31 offset:3840
	v_add_f64 v[49:50], v[67:68], v[49:50]
	s_waitcnt lgkmcnt(5)
	v_mul_f64 v[91:92], v[35:36], v[43:44]
	v_mul_f64 v[95:96], v[33:34], v[43:44]
	s_waitcnt lgkmcnt(4)
	v_mul_f64 v[97:98], v[47:48], v[39:40]
	v_mul_f64 v[39:40], v[45:46], v[39:40]
	v_add_f64 v[57:58], v[57:58], v[105:106]
	v_add_f64 v[65:66], v[109:110], v[65:66]
	v_add_f64 v[51:52], v[51:52], v[53:54]
	v_mul_f64 v[53:54], v[47:48], v[43:44]
	v_mul_f64 v[43:44], v[45:46], v[43:44]
	s_waitcnt lgkmcnt(0)
	s_barrier
	buffer_gl0_inv
	v_fma_f64 v[67:68], v[33:34], v[37:38], -v[89:90]
	v_fma_f64 v[25:26], v[35:36], v[37:38], v[25:26]
	v_add_f64 v[49:50], v[49:50], v[83:84]
	v_fma_f64 v[33:34], v[33:34], v[41:42], -v[91:92]
	v_fma_f64 v[35:36], v[35:36], v[41:42], v[95:96]
	v_fma_f64 v[77:78], v[45:46], v[37:38], -v[97:98]
	v_fma_f64 v[37:38], v[47:48], v[37:38], v[39:40]
	v_add_f64 v[39:40], v[55:56], v[69:70]
	v_add_f64 v[55:56], v[71:72], v[59:60]
	;; [unrolled: 1-line block ×7, first 2 shown]
	v_fma_f64 v[45:46], v[45:46], v[41:42], -v[53:54]
	v_fma_f64 v[41:42], v[47:48], v[41:42], v[43:44]
	v_mul_f64 v[43:44], v[5:6], v[17:18]
	v_mul_f64 v[47:48], v[3:4], v[17:18]
	;; [unrolled: 1-line block ×8, first 2 shown]
	v_add_f64 v[39:40], v[39:40], v[67:68]
	v_add_f64 v[25:26], v[25:26], v[55:56]
	;; [unrolled: 1-line block ×8, first 2 shown]
	v_fma_f64 v[23:24], v[3:4], v[15:16], -v[43:44]
	v_fma_f64 v[43:44], v[5:6], v[15:16], v[47:48]
	v_fma_f64 v[3:4], v[3:4], v[19:20], -v[51:52]
	v_fma_f64 v[5:6], v[5:6], v[19:20], v[53:54]
	;; [unrolled: 2-line block ×4, first 2 shown]
	v_add_f64 v[23:24], v[39:40], v[23:24]
	v_add_f64 v[25:26], v[43:44], v[25:26]
	;; [unrolled: 1-line block ×8, first 2 shown]
	s_cbranch_scc0 .LBB419_13
.LBB419_7:                              ; =>This Inner Loop Header: Depth=1
	v_add_nc_u32_e32 v3, s9, v28
	v_cmp_le_i32_e64 s0, s3, v3
	s_or_b32 s0, s1, s0
	s_and_saveexec_b32 s12, s0
	s_xor_b32 s0, exec_lo, s12
	s_cbranch_execz .LBB419_9
; %bb.8:                                ;   in Loop: Header=BB419_7 Depth=1
	v_mov_b32_e32 v3, v2
	v_mov_b32_e32 v4, v2
	;; [unrolled: 1-line block ×3, first 2 shown]
	ds_write_b128 v29, v[2:5]
.LBB419_9:                              ;   in Loop: Header=BB419_7 Depth=1
	s_andn2_saveexec_b32 s0, s0
	s_cbranch_execz .LBB419_11
; %bb.10:                               ;   in Loop: Header=BB419_7 Depth=1
	flat_load_dwordx4 v[3:6], v[11:12]
	s_waitcnt vmcnt(0) lgkmcnt(0)
	ds_write2_b64 v29, v[3:4], v[5:6] offset1:1
.LBB419_11:                             ;   in Loop: Header=BB419_7 Depth=1
	s_or_b32 exec_lo, exec_lo, s0
	v_add_nc_u32_e32 v3, s9, v27
	v_mov_b32_e32 v5, 0
	v_mov_b32_e32 v6, 0
	v_cmp_gt_i32_e64 s0, s3, v3
	v_mov_b32_e32 v3, 0
	v_mov_b32_e32 v4, 0
	s_and_b32 s12, s0, vcc_lo
	s_and_saveexec_b32 s0, s12
	s_cbranch_execz .LBB419_6
; %bb.12:                               ;   in Loop: Header=BB419_7 Depth=1
	flat_load_dwordx4 v[3:6], v[13:14]
	s_waitcnt vmcnt(0) lgkmcnt(0)
	v_xor_b32_e32 v6, 0x80000000, v6
	s_branch .LBB419_6
.LBB419_13:
	s_clause 0x1
	s_load_dword s3, s[4:5], 0x60
	s_load_dwordx2 s[4:5], s[4:5], 0x68
	v_cmp_neq_f64_e64 s6, s[14:15], 0
	v_add_nc_u32_e32 v27, s18, v1
	v_add_nc_u32_e32 v4, s8, v0
	v_cmp_gt_i32_e64 s0, s2, v27
	v_cmp_le_i32_e32 vcc_lo, v4, v27
	v_ashrrev_i32_e32 v5, 31, v4
	s_waitcnt lgkmcnt(0)
	v_mad_i64_i32 v[1:2], null, v27, s3, 0
	s_lshl_b64 s[4:5], s[4:5], 4
	s_add_u32 s4, s10, s4
	s_addc_u32 s5, s11, s5
	s_xor_b32 s7, s30, -1
	s_or_b32 s6, s6, s7
	v_lshlrev_b64 v[0:1], 4, v[1:2]
	v_cndmask_b32_e64 v6, 0, 1, s6
	s_and_b32 s7, s0, vcc_lo
	v_add_co_u32 v13, s1, s4, v0
	v_add_co_ci_u32_e64 v14, null, s5, v1, s1
	s_and_saveexec_b32 s1, s7
	s_cbranch_execz .LBB419_17
; %bb.14:
	v_mul_f64 v[0:1], s[22:23], v[25:26]
	v_mul_f64 v[2:3], s[20:21], v[25:26]
	v_lshlrev_b64 v[11:12], 4, v[4:5]
	v_add_co_u32 v11, vcc_lo, v13, v11
	v_add_co_ci_u32_e64 v12, null, v14, v12, vcc_lo
	s_andn2_b32 vcc_lo, exec_lo, s6
	v_fma_f64 v[0:1], s[20:21], v[23:24], -v[0:1]
	v_fma_f64 v[2:3], s[22:23], v[23:24], v[2:3]
	s_cbranch_vccnz .LBB419_16
; %bb.15:
	flat_load_dwordx4 v[23:26], v[11:12]
	s_waitcnt vmcnt(0) lgkmcnt(0)
	v_mul_f64 v[28:29], s[16:17], v[25:26]
	v_mul_f64 v[25:26], s[14:15], v[25:26]
	v_fma_f64 v[28:29], s[14:15], v[23:24], -v[28:29]
	v_fma_f64 v[23:24], s[16:17], v[23:24], v[25:26]
	v_add_f64 v[0:1], v[0:1], v[28:29]
	v_add_f64 v[2:3], v[2:3], v[23:24]
.LBB419_16:
	flat_store_dwordx4 v[11:12], v[0:3]
.LBB419_17:
	s_or_b32 exec_lo, exec_lo, s1
	v_add_nc_u32_e32 v11, 16, v4
	v_cmp_le_i32_e32 vcc_lo, v11, v27
	v_ashrrev_i32_e32 v12, 31, v11
	s_and_b32 s0, s0, vcc_lo
	s_and_saveexec_b32 s1, s0
	s_cbranch_execz .LBB419_21
; %bb.18:
	v_mul_f64 v[0:1], s[22:23], v[21:22]
	v_mul_f64 v[2:3], s[20:21], v[21:22]
	v_cmp_ne_u32_e32 vcc_lo, 1, v6
	s_and_b32 vcc_lo, exec_lo, vcc_lo
	v_fma_f64 v[0:1], s[20:21], v[19:20], -v[0:1]
	v_fma_f64 v[2:3], s[22:23], v[19:20], v[2:3]
	v_lshlrev_b64 v[19:20], 4, v[11:12]
	v_add_co_u32 v13, s0, v13, v19
	v_add_co_ci_u32_e64 v14, null, v14, v20, s0
	s_cbranch_vccnz .LBB419_20
; %bb.19:
	flat_load_dwordx4 v[19:22], v[13:14]
	s_waitcnt vmcnt(0) lgkmcnt(0)
	v_mul_f64 v[23:24], s[16:17], v[21:22]
	v_mul_f64 v[21:22], s[14:15], v[21:22]
	v_fma_f64 v[23:24], s[14:15], v[19:20], -v[23:24]
	v_fma_f64 v[19:20], s[16:17], v[19:20], v[21:22]
	v_add_f64 v[0:1], v[0:1], v[23:24]
	v_add_f64 v[2:3], v[2:3], v[19:20]
.LBB419_20:
	flat_store_dwordx4 v[13:14], v[0:3]
.LBB419_21:
	s_or_b32 exec_lo, exec_lo, s1
	v_add_nc_u32_e32 v19, 16, v27
	v_mad_i64_i32 v[0:1], null, v19, s3, 0
	v_cmp_gt_i32_e64 s0, s2, v19
	v_cmp_le_i32_e32 vcc_lo, v4, v19
	v_lshlrev_b64 v[0:1], 4, v[0:1]
	v_add_co_u32 v13, s1, s4, v0
	v_add_co_ci_u32_e64 v14, null, s5, v1, s1
	s_and_b32 s1, s0, vcc_lo
	s_and_saveexec_b32 s2, s1
	s_cbranch_execz .LBB419_25
; %bb.22:
	v_mul_f64 v[0:1], s[22:23], v[17:18]
	v_mul_f64 v[2:3], s[20:21], v[17:18]
	v_lshlrev_b64 v[4:5], 4, v[4:5]
	v_cmp_ne_u32_e32 vcc_lo, 1, v6
	s_and_b32 vcc_lo, exec_lo, vcc_lo
	v_add_co_u32 v4, s1, v13, v4
	v_add_co_ci_u32_e64 v5, null, v14, v5, s1
	v_fma_f64 v[0:1], s[20:21], v[15:16], -v[0:1]
	v_fma_f64 v[2:3], s[22:23], v[15:16], v[2:3]
	s_cbranch_vccnz .LBB419_24
; %bb.23:
	flat_load_dwordx4 v[15:18], v[4:5]
	s_waitcnt vmcnt(0) lgkmcnt(0)
	v_mul_f64 v[20:21], s[16:17], v[17:18]
	v_mul_f64 v[17:18], s[14:15], v[17:18]
	v_fma_f64 v[20:21], s[14:15], v[15:16], -v[20:21]
	v_fma_f64 v[15:16], s[16:17], v[15:16], v[17:18]
	v_add_f64 v[0:1], v[0:1], v[20:21]
	v_add_f64 v[2:3], v[2:3], v[15:16]
.LBB419_24:
	flat_store_dwordx4 v[4:5], v[0:3]
.LBB419_25:
	s_or_b32 exec_lo, exec_lo, s2
	v_cmp_le_i32_e32 vcc_lo, v11, v19
	s_and_b32 s0, s0, vcc_lo
	s_and_saveexec_b32 s1, s0
	s_cbranch_execz .LBB419_30
; %bb.26:
	v_mul_f64 v[0:1], s[22:23], v[7:8]
	v_mul_f64 v[2:3], s[20:21], v[7:8]
	v_lshlrev_b64 v[4:5], 4, v[11:12]
	v_cmp_ne_u32_e32 vcc_lo, 1, v6
	s_and_b32 vcc_lo, exec_lo, vcc_lo
	v_add_co_u32 v4, s0, v13, v4
	v_add_co_ci_u32_e64 v5, null, v14, v5, s0
	v_fma_f64 v[0:1], s[20:21], v[9:10], -v[0:1]
	v_fma_f64 v[2:3], s[22:23], v[9:10], v[2:3]
	s_cbranch_vccnz .LBB419_28
; %bb.27:
	flat_load_dwordx4 v[6:9], v[4:5]
	s_waitcnt vmcnt(0) lgkmcnt(0)
	v_mul_f64 v[10:11], s[16:17], v[8:9]
	v_mul_f64 v[8:9], s[14:15], v[8:9]
	v_fma_f64 v[10:11], s[14:15], v[6:7], -v[10:11]
	v_fma_f64 v[6:7], s[16:17], v[6:7], v[8:9]
	v_add_f64 v[0:1], v[0:1], v[10:11]
	v_add_f64 v[2:3], v[2:3], v[6:7]
.LBB419_28:
	flat_store_dwordx4 v[4:5], v[0:3]
	s_endpgm
.LBB419_29:
.LBB419_30:
	s_endpgm
	.section	.rodata,"a",@progbits
	.p2align	6, 0x0
	.amdhsa_kernel _ZL29rocblas_internal_gemmt_kernelIiLi16ELi32ELi8ELc84ELc67ELc85ELb0ELb1E19rocblas_complex_numIdES1_PKPKS1_PKPS1_EviT_T9_T10_S9_lSB_S9_lSA_T11_S9_li
		.amdhsa_group_segment_fixed_size 8192
		.amdhsa_private_segment_fixed_size 0
		.amdhsa_kernarg_size 116
		.amdhsa_user_sgpr_count 6
		.amdhsa_user_sgpr_private_segment_buffer 1
		.amdhsa_user_sgpr_dispatch_ptr 0
		.amdhsa_user_sgpr_queue_ptr 0
		.amdhsa_user_sgpr_kernarg_segment_ptr 1
		.amdhsa_user_sgpr_dispatch_id 0
		.amdhsa_user_sgpr_flat_scratch_init 0
		.amdhsa_user_sgpr_private_segment_size 0
		.amdhsa_wavefront_size32 1
		.amdhsa_uses_dynamic_stack 0
		.amdhsa_system_sgpr_private_segment_wavefront_offset 0
		.amdhsa_system_sgpr_workgroup_id_x 1
		.amdhsa_system_sgpr_workgroup_id_y 1
		.amdhsa_system_sgpr_workgroup_id_z 1
		.amdhsa_system_sgpr_workgroup_info 0
		.amdhsa_system_vgpr_workitem_id 1
		.amdhsa_next_free_vgpr 127
		.amdhsa_next_free_sgpr 36
		.amdhsa_reserve_vcc 1
		.amdhsa_reserve_flat_scratch 0
		.amdhsa_float_round_mode_32 0
		.amdhsa_float_round_mode_16_64 0
		.amdhsa_float_denorm_mode_32 3
		.amdhsa_float_denorm_mode_16_64 3
		.amdhsa_dx10_clamp 1
		.amdhsa_ieee_mode 1
		.amdhsa_fp16_overflow 0
		.amdhsa_workgroup_processor_mode 1
		.amdhsa_memory_ordered 1
		.amdhsa_forward_progress 1
		.amdhsa_shared_vgpr_count 0
		.amdhsa_exception_fp_ieee_invalid_op 0
		.amdhsa_exception_fp_denorm_src 0
		.amdhsa_exception_fp_ieee_div_zero 0
		.amdhsa_exception_fp_ieee_overflow 0
		.amdhsa_exception_fp_ieee_underflow 0
		.amdhsa_exception_fp_ieee_inexact 0
		.amdhsa_exception_int_div_zero 0
	.end_amdhsa_kernel
	.section	.text._ZL29rocblas_internal_gemmt_kernelIiLi16ELi32ELi8ELc84ELc67ELc85ELb0ELb1E19rocblas_complex_numIdES1_PKPKS1_PKPS1_EviT_T9_T10_S9_lSB_S9_lSA_T11_S9_li,"axG",@progbits,_ZL29rocblas_internal_gemmt_kernelIiLi16ELi32ELi8ELc84ELc67ELc85ELb0ELb1E19rocblas_complex_numIdES1_PKPKS1_PKPS1_EviT_T9_T10_S9_lSB_S9_lSA_T11_S9_li,comdat
.Lfunc_end419:
	.size	_ZL29rocblas_internal_gemmt_kernelIiLi16ELi32ELi8ELc84ELc67ELc85ELb0ELb1E19rocblas_complex_numIdES1_PKPKS1_PKPS1_EviT_T9_T10_S9_lSB_S9_lSA_T11_S9_li, .Lfunc_end419-_ZL29rocblas_internal_gemmt_kernelIiLi16ELi32ELi8ELc84ELc67ELc85ELb0ELb1E19rocblas_complex_numIdES1_PKPKS1_PKPS1_EviT_T9_T10_S9_lSB_S9_lSA_T11_S9_li
                                        ; -- End function
	.set _ZL29rocblas_internal_gemmt_kernelIiLi16ELi32ELi8ELc84ELc67ELc85ELb0ELb1E19rocblas_complex_numIdES1_PKPKS1_PKPS1_EviT_T9_T10_S9_lSB_S9_lSA_T11_S9_li.num_vgpr, 127
	.set _ZL29rocblas_internal_gemmt_kernelIiLi16ELi32ELi8ELc84ELc67ELc85ELb0ELb1E19rocblas_complex_numIdES1_PKPKS1_PKPS1_EviT_T9_T10_S9_lSB_S9_lSA_T11_S9_li.num_agpr, 0
	.set _ZL29rocblas_internal_gemmt_kernelIiLi16ELi32ELi8ELc84ELc67ELc85ELb0ELb1E19rocblas_complex_numIdES1_PKPKS1_PKPS1_EviT_T9_T10_S9_lSB_S9_lSA_T11_S9_li.numbered_sgpr, 36
	.set _ZL29rocblas_internal_gemmt_kernelIiLi16ELi32ELi8ELc84ELc67ELc85ELb0ELb1E19rocblas_complex_numIdES1_PKPKS1_PKPS1_EviT_T9_T10_S9_lSB_S9_lSA_T11_S9_li.num_named_barrier, 0
	.set _ZL29rocblas_internal_gemmt_kernelIiLi16ELi32ELi8ELc84ELc67ELc85ELb0ELb1E19rocblas_complex_numIdES1_PKPKS1_PKPS1_EviT_T9_T10_S9_lSB_S9_lSA_T11_S9_li.private_seg_size, 0
	.set _ZL29rocblas_internal_gemmt_kernelIiLi16ELi32ELi8ELc84ELc67ELc85ELb0ELb1E19rocblas_complex_numIdES1_PKPKS1_PKPS1_EviT_T9_T10_S9_lSB_S9_lSA_T11_S9_li.uses_vcc, 1
	.set _ZL29rocblas_internal_gemmt_kernelIiLi16ELi32ELi8ELc84ELc67ELc85ELb0ELb1E19rocblas_complex_numIdES1_PKPKS1_PKPS1_EviT_T9_T10_S9_lSB_S9_lSA_T11_S9_li.uses_flat_scratch, 0
	.set _ZL29rocblas_internal_gemmt_kernelIiLi16ELi32ELi8ELc84ELc67ELc85ELb0ELb1E19rocblas_complex_numIdES1_PKPKS1_PKPS1_EviT_T9_T10_S9_lSB_S9_lSA_T11_S9_li.has_dyn_sized_stack, 0
	.set _ZL29rocblas_internal_gemmt_kernelIiLi16ELi32ELi8ELc84ELc67ELc85ELb0ELb1E19rocblas_complex_numIdES1_PKPKS1_PKPS1_EviT_T9_T10_S9_lSB_S9_lSA_T11_S9_li.has_recursion, 0
	.set _ZL29rocblas_internal_gemmt_kernelIiLi16ELi32ELi8ELc84ELc67ELc85ELb0ELb1E19rocblas_complex_numIdES1_PKPKS1_PKPS1_EviT_T9_T10_S9_lSB_S9_lSA_T11_S9_li.has_indirect_call, 0
	.section	.AMDGPU.csdata,"",@progbits
; Kernel info:
; codeLenInByte = 3532
; TotalNumSgprs: 38
; NumVgprs: 127
; ScratchSize: 0
; MemoryBound: 1
; FloatMode: 240
; IeeeMode: 1
; LDSByteSize: 8192 bytes/workgroup (compile time only)
; SGPRBlocks: 0
; VGPRBlocks: 15
; NumSGPRsForWavesPerEU: 38
; NumVGPRsForWavesPerEU: 127
; Occupancy: 8
; WaveLimiterHint : 1
; COMPUTE_PGM_RSRC2:SCRATCH_EN: 0
; COMPUTE_PGM_RSRC2:USER_SGPR: 6
; COMPUTE_PGM_RSRC2:TRAP_HANDLER: 0
; COMPUTE_PGM_RSRC2:TGID_X_EN: 1
; COMPUTE_PGM_RSRC2:TGID_Y_EN: 1
; COMPUTE_PGM_RSRC2:TGID_Z_EN: 1
; COMPUTE_PGM_RSRC2:TIDIG_COMP_CNT: 1
	.section	.text._ZL29rocblas_internal_gemmt_kernelIiLi16ELi32ELi8ELc67ELc78ELc85ELb1ELb0E19rocblas_complex_numIdES1_PKPKS1_PKPS1_EviT_T9_T10_S9_lSB_S9_lSA_T11_S9_li,"axG",@progbits,_ZL29rocblas_internal_gemmt_kernelIiLi16ELi32ELi8ELc67ELc78ELc85ELb1ELb0E19rocblas_complex_numIdES1_PKPKS1_PKPS1_EviT_T9_T10_S9_lSB_S9_lSA_T11_S9_li,comdat
	.globl	_ZL29rocblas_internal_gemmt_kernelIiLi16ELi32ELi8ELc67ELc78ELc85ELb1ELb0E19rocblas_complex_numIdES1_PKPKS1_PKPS1_EviT_T9_T10_S9_lSB_S9_lSA_T11_S9_li ; -- Begin function _ZL29rocblas_internal_gemmt_kernelIiLi16ELi32ELi8ELc67ELc78ELc85ELb1ELb0E19rocblas_complex_numIdES1_PKPKS1_PKPS1_EviT_T9_T10_S9_lSB_S9_lSA_T11_S9_li
	.p2align	8
	.type	_ZL29rocblas_internal_gemmt_kernelIiLi16ELi32ELi8ELc67ELc78ELc85ELb1ELb0E19rocblas_complex_numIdES1_PKPKS1_PKPS1_EviT_T9_T10_S9_lSB_S9_lSA_T11_S9_li,@function
_ZL29rocblas_internal_gemmt_kernelIiLi16ELi32ELi8ELc67ELc78ELc85ELb1ELb0E19rocblas_complex_numIdES1_PKPKS1_PKPS1_EviT_T9_T10_S9_lSB_S9_lSA_T11_S9_li: ; @_ZL29rocblas_internal_gemmt_kernelIiLi16ELi32ELi8ELc67ELc78ELc85ELb1ELb0E19rocblas_complex_numIdES1_PKPKS1_PKPS1_EviT_T9_T10_S9_lSB_S9_lSA_T11_S9_li
; %bb.0:
	s_clause 0x2
	s_load_dwordx8 s[12:19], s[4:5], 0x40
	s_load_dwordx2 s[2:3], s[4:5], 0x0
	s_load_dwordx4 s[20:23], s[4:5], 0x8
	s_waitcnt lgkmcnt(0)
	v_cmp_eq_f64_e64 s0, s[14:15], 1.0
	v_cmp_eq_f64_e64 s28, s[16:17], 0
	s_and_b32 s0, s0, s28
	s_andn2_b32 vcc_lo, exec_lo, s0
	s_mov_b32 s0, -1
	s_cbranch_vccnz .LBB420_3
; %bb.1:
	s_cmp_lg_u32 s3, 0
	s_cbranch_scc0 .LBB420_29
; %bb.2:
	v_cmp_neq_f64_e64 s0, s[20:21], 0
	v_cmp_neq_f64_e64 s1, s[22:23], 0
	s_or_b32 s0, s0, s1
.LBB420_3:
	s_and_b32 vcc_lo, exec_lo, s0
	s_cbranch_vccz .LBB420_30
; %bb.4:
	v_cmp_eq_f64_e64 s24, s[20:21], 0
	v_cmp_eq_f64_e64 s25, s[22:23], 0
	s_mov_b32 s9, 0
	v_mov_b32_e32 v23, 0
	s_lshl_b64 s[0:1], s[8:9], 3
	v_mov_b32_e32 v25, 0
	s_add_u32 s10, s18, s0
	s_addc_u32 s11, s19, s1
	s_lshl_b32 s6, s6, 5
	s_load_dwordx2 s[10:11], s[10:11], 0x0
	s_lshl_b32 s7, s7, 5
	v_mov_b32_e32 v19, 0
	v_mov_b32_e32 v21, 0
	;; [unrolled: 1-line block ×12, first 2 shown]
	s_and_b32 s8, s24, s25
	s_cmp_lt_i32 s3, 1
	v_mov_b32_e32 v10, 0
	s_cselect_b32 s18, -1, 0
	v_mov_b32_e32 v8, 0
	s_or_b32 s8, s8, s18
	s_and_b32 vcc_lo, exec_lo, s8
	s_cbranch_vccnz .LBB420_13
; %bb.5:
	s_clause 0x3
	s_load_dwordx4 s[24:27], s[4:5], 0x28
	s_load_dword s8, s[4:5], 0x20
	s_load_dword s29, s[4:5], 0x38
	s_load_dwordx2 s[18:19], s[4:5], 0x18
	v_lshl_add_u32 v2, v1, 4, v0
	v_and_b32_e32 v27, 7, v0
	v_mov_b32_e32 v17, 0
	v_mov_b32_e32 v15, 0
	;; [unrolled: 1-line block ×3, first 2 shown]
	v_and_b32_e32 v3, 31, v2
	v_lshrrev_b32_e32 v4, 3, v2
	v_lshrrev_b32_e32 v28, 5, v2
	v_lshlrev_b32_e32 v6, 4, v27
	v_mov_b32_e32 v19, 0
	v_or_b32_e32 v2, s6, v3
	v_lshlrev_b32_e32 v8, 4, v3
	v_add_nc_u32_e32 v3, s6, v3
	v_add_nc_u32_e32 v7, s7, v4
	v_lshl_or_b32 v9, v4, 7, v6
	v_cmp_gt_i32_e32 vcc_lo, s2, v2
	v_lshl_or_b32 v29, v28, 9, v8
	s_waitcnt lgkmcnt(0)
	s_add_u32 s26, s26, s0
	v_mad_i64_i32 v[2:3], null, s8, v3, 0
	s_addc_u32 s27, s27, s1
	v_mad_i64_i32 v[4:5], null, s29, v7, 0
	s_add_u32 s0, s18, s0
	s_addc_u32 s1, s19, s1
	s_load_dwordx2 s[18:19], s[26:27], 0x0
	s_load_dwordx2 s[26:27], s[0:1], 0x0
	v_lshlrev_b64 v[2:3], 4, v[2:3]
	s_lshl_b64 s[24:25], s[24:25], 4
	v_cmp_gt_i32_e64 s0, s2, v7
	v_lshlrev_b64 v[4:5], 4, v[4:5]
	v_lshlrev_b32_e32 v7, 4, v28
	s_lshl_b64 s[12:13], s[12:13], 4
	v_add_co_u32 v2, s1, v2, s24
	v_add_co_ci_u32_e64 v3, null, s25, v3, s1
	v_add_co_u32 v4, s1, v4, s12
	v_add_co_ci_u32_e64 v5, null, s13, v5, s1
	;; [unrolled: 2-line block ×4, first 2 shown]
	s_waitcnt lgkmcnt(0)
	v_add_co_u32 v11, s1, s26, v2
	v_add_co_ci_u32_e64 v12, null, s27, v3, s1
	v_add_co_u32 v13, s1, s18, v4
	v_add_nc_u32_e32 v30, 0x1000, v9
	v_mov_b32_e32 v7, 0
	v_mov_b32_e32 v9, 0
	;; [unrolled: 1-line block ×4, first 2 shown]
	v_lshlrev_b32_e32 v31, 4, v0
	v_lshl_add_u32 v32, v1, 7, 0x1000
	v_add_co_ci_u32_e64 v14, null, s19, v5, s1
	v_mov_b32_e32 v8, 0
	v_mov_b32_e32 v10, 0
	;; [unrolled: 1-line block ×9, first 2 shown]
	s_xor_b32 s1, s0, -1
	s_branch .LBB420_7
.LBB420_6:                              ;   in Loop: Header=BB420_7 Depth=1
	s_or_b32 exec_lo, exec_lo, s0
	s_waitcnt lgkmcnt(0)
	s_barrier
	buffer_gl0_inv
	ds_read_b128 v[3:6], v32
	ds_read_b128 v[33:36], v31
	ds_read_b128 v[37:40], v31 offset:256
	ds_read_b128 v[41:44], v32 offset:2048
	;; [unrolled: 1-line block ×12, first 2 shown]
	v_add_co_u32 v11, s0, 0x80, v11
	v_add_co_ci_u32_e64 v12, null, 0, v12, s0
	v_add_co_u32 v13, s0, 0x80, v13
	v_add_co_ci_u32_e64 v14, null, 0, v14, s0
	s_waitcnt lgkmcnt(12)
	v_mul_f64 v[85:86], v[5:6], v[35:36]
	v_mul_f64 v[87:88], v[3:4], v[35:36]
	s_waitcnt lgkmcnt(11)
	v_mul_f64 v[89:90], v[5:6], v[39:40]
	v_mul_f64 v[91:92], v[3:4], v[39:40]
	s_waitcnt lgkmcnt(10)
	v_mul_f64 v[93:94], v[43:44], v[35:36]
	v_mul_f64 v[35:36], v[41:42], v[35:36]
	v_mul_f64 v[95:96], v[43:44], v[39:40]
	v_mul_f64 v[39:40], v[41:42], v[39:40]
	s_waitcnt lgkmcnt(8)
	v_mul_f64 v[97:98], v[47:48], v[51:52]
	v_mul_f64 v[99:100], v[45:46], v[51:52]
	s_waitcnt lgkmcnt(7)
	;; [unrolled: 3-line block ×3, first 2 shown]
	v_mul_f64 v[105:106], v[59:60], v[51:52]
	v_mul_f64 v[51:52], v[57:58], v[51:52]
	;; [unrolled: 1-line block ×4, first 2 shown]
	s_waitcnt lgkmcnt(4)
	v_mul_f64 v[109:110], v[63:64], v[67:68]
	v_mul_f64 v[111:112], v[61:62], v[67:68]
	s_waitcnt lgkmcnt(3)
	v_mul_f64 v[113:114], v[63:64], v[71:72]
	v_mul_f64 v[115:116], v[61:62], v[71:72]
	;; [unrolled: 3-line block ×3, first 2 shown]
	v_fma_f64 v[85:86], v[3:4], v[33:34], -v[85:86]
	v_fma_f64 v[87:88], v[5:6], v[33:34], v[87:88]
	v_fma_f64 v[89:90], v[3:4], v[37:38], -v[89:90]
	v_fma_f64 v[91:92], v[5:6], v[37:38], v[91:92]
	;; [unrolled: 2-line block ×4, first 2 shown]
	v_mul_f64 v[123:124], v[75:76], v[71:72]
	v_mul_f64 v[71:72], v[73:74], v[71:72]
	v_fma_f64 v[97:98], v[45:46], v[49:50], -v[97:98]
	v_fma_f64 v[99:100], v[47:48], v[49:50], v[99:100]
	v_fma_f64 v[101:102], v[45:46], v[53:54], -v[101:102]
	v_fma_f64 v[103:104], v[47:48], v[53:54], v[103:104]
	;; [unrolled: 2-line block ×7, first 2 shown]
	v_add_f64 v[23:24], v[23:24], v[85:86]
	v_add_f64 v[25:26], v[87:88], v[25:26]
	;; [unrolled: 1-line block ×6, first 2 shown]
	v_fma_f64 v[73:74], v[73:74], v[69:70], -v[123:124]
	v_fma_f64 v[69:70], v[75:76], v[69:70], v[71:72]
	v_add_f64 v[71:72], v[15:16], v[93:94]
	v_add_f64 v[75:76], v[119:120], v[17:18]
	ds_read_b128 v[3:6], v31 offset:1536
	ds_read_b128 v[33:36], v31 offset:1792
	;; [unrolled: 1-line block ×7, first 2 shown]
	s_add_i32 s9, s9, 8
	s_cmp_lt_i32 s9, s3
	v_add_f64 v[97:98], v[23:24], v[97:98]
	v_add_f64 v[99:100], v[99:100], v[25:26]
	;; [unrolled: 1-line block ×6, first 2 shown]
	ds_read_b128 v[19:22], v31 offset:2560
	ds_read_b128 v[23:26], v31 offset:2816
	s_waitcnt lgkmcnt(8)
	v_mul_f64 v[109:110], v[79:80], v[5:6]
	v_mul_f64 v[111:112], v[77:78], v[5:6]
	s_waitcnt lgkmcnt(7)
	v_mul_f64 v[67:68], v[79:80], v[35:36]
	v_mul_f64 v[113:114], v[77:78], v[35:36]
	;; [unrolled: 1-line block ×6, first 2 shown]
	s_waitcnt lgkmcnt(4)
	v_mul_f64 v[95:96], v[39:40], v[47:48]
	v_add_f64 v[71:72], v[71:72], v[105:106]
	v_add_f64 v[75:76], v[125:126], v[75:76]
	v_mul_f64 v[93:94], v[37:38], v[43:44]
	ds_read_b128 v[5:8], v32 offset:80
	v_add_f64 v[55:56], v[97:98], v[55:56]
	v_add_f64 v[59:60], v[59:60], v[99:100]
	;; [unrolled: 1-line block ×6, first 2 shown]
	s_waitcnt lgkmcnt(2)
	v_mul_f64 v[99:100], v[17:18], v[21:22]
	s_waitcnt lgkmcnt(1)
	v_mul_f64 v[101:102], v[17:18], v[25:26]
	v_fma_f64 v[89:90], v[77:78], v[3:4], -v[109:110]
	v_fma_f64 v[91:92], v[79:80], v[3:4], v[111:112]
	v_fma_f64 v[67:68], v[77:78], v[33:34], -v[67:68]
	v_mul_f64 v[77:78], v[39:40], v[43:44]
	v_mul_f64 v[109:110], v[37:38], v[47:48]
	v_fma_f64 v[79:80], v[79:80], v[33:34], v[113:114]
	v_mul_f64 v[111:112], v[51:52], v[43:44]
	v_mul_f64 v[43:44], v[49:50], v[43:44]
	v_fma_f64 v[57:58], v[81:82], v[3:4], -v[115:116]
	v_fma_f64 v[3:4], v[83:84], v[3:4], v[117:118]
	v_fma_f64 v[81:82], v[81:82], v[33:34], -v[87:88]
	v_fma_f64 v[83:84], v[83:84], v[33:34], v[35:36]
	v_fma_f64 v[87:88], v[37:38], v[45:46], -v[95:96]
	v_mul_f64 v[95:96], v[51:52], v[47:48]
	v_mul_f64 v[47:48], v[49:50], v[47:48]
	v_add_f64 v[71:72], v[71:72], v[107:108]
	v_add_f64 v[65:66], v[65:66], v[75:76]
	v_fma_f64 v[85:86], v[39:40], v[41:42], v[93:94]
	s_waitcnt lgkmcnt(0)
	v_mul_f64 v[69:70], v[7:8], v[21:22]
	v_mul_f64 v[73:74], v[5:6], v[21:22]
	;; [unrolled: 1-line block ×6, first 2 shown]
	v_add_f64 v[55:56], v[55:56], v[89:90]
	v_fma_f64 v[77:78], v[37:38], v[41:42], -v[77:78]
	v_fma_f64 v[93:94], v[39:40], v[45:46], v[109:110]
	v_add_f64 v[59:60], v[91:92], v[59:60]
	v_fma_f64 v[105:106], v[49:50], v[41:42], -v[111:112]
	v_fma_f64 v[109:110], v[51:52], v[41:42], v[43:44]
	v_add_f64 v[61:62], v[61:62], v[67:68]
	v_add_f64 v[63:64], v[79:80], v[63:64]
	;; [unrolled: 1-line block ×4, first 2 shown]
	ds_read_b128 v[33:36], v32 offset:96
	ds_read_b128 v[37:40], v31 offset:3072
	v_fma_f64 v[49:50], v[49:50], v[45:46], -v[95:96]
	v_fma_f64 v[51:52], v[51:52], v[45:46], v[47:48]
	v_add_f64 v[57:58], v[71:72], v[57:58]
	v_add_f64 v[65:66], v[3:4], v[65:66]
	ds_read_b128 v[41:44], v31 offset:3328
	ds_read_b128 v[45:48], v32 offset:2144
	v_fma_f64 v[69:70], v[5:6], v[19:20], -v[69:70]
	v_fma_f64 v[71:72], v[7:8], v[19:20], v[73:74]
	v_fma_f64 v[73:74], v[5:6], v[23:24], -v[75:76]
	v_fma_f64 v[75:76], v[7:8], v[23:24], v[97:98]
	v_fma_f64 v[79:80], v[15:16], v[19:20], -v[99:100]
	v_fma_f64 v[81:82], v[17:18], v[19:20], v[21:22]
	v_fma_f64 v[83:84], v[15:16], v[23:24], -v[101:102]
	v_fma_f64 v[23:24], v[17:18], v[23:24], v[25:26]
	v_add_f64 v[55:56], v[55:56], v[77:78]
	v_add_f64 v[59:60], v[85:86], v[59:60]
	ds_read_b128 v[3:6], v32 offset:112
	ds_read_b128 v[7:10], v32 offset:2160
	v_add_f64 v[61:62], v[61:62], v[87:88]
	v_add_f64 v[63:64], v[93:94], v[63:64]
	s_waitcnt lgkmcnt(4)
	v_mul_f64 v[89:90], v[35:36], v[39:40]
	v_mul_f64 v[25:26], v[33:34], v[39:40]
	ds_read_b128 v[15:18], v31 offset:3584
	ds_read_b128 v[19:22], v31 offset:3840
	v_add_f64 v[49:50], v[67:68], v[49:50]
	s_waitcnt lgkmcnt(5)
	v_mul_f64 v[91:92], v[35:36], v[43:44]
	v_mul_f64 v[95:96], v[33:34], v[43:44]
	s_waitcnt lgkmcnt(4)
	v_mul_f64 v[97:98], v[47:48], v[39:40]
	v_mul_f64 v[39:40], v[45:46], v[39:40]
	v_add_f64 v[57:58], v[57:58], v[105:106]
	v_add_f64 v[65:66], v[109:110], v[65:66]
	;; [unrolled: 1-line block ×3, first 2 shown]
	v_mul_f64 v[53:54], v[47:48], v[43:44]
	v_mul_f64 v[43:44], v[45:46], v[43:44]
	s_waitcnt lgkmcnt(0)
	s_barrier
	buffer_gl0_inv
	v_fma_f64 v[67:68], v[33:34], v[37:38], -v[89:90]
	v_fma_f64 v[25:26], v[35:36], v[37:38], v[25:26]
	v_add_f64 v[49:50], v[49:50], v[83:84]
	v_fma_f64 v[33:34], v[33:34], v[41:42], -v[91:92]
	v_fma_f64 v[35:36], v[35:36], v[41:42], v[95:96]
	v_fma_f64 v[77:78], v[45:46], v[37:38], -v[97:98]
	v_fma_f64 v[37:38], v[47:48], v[37:38], v[39:40]
	v_add_f64 v[39:40], v[55:56], v[69:70]
	v_add_f64 v[55:56], v[71:72], v[59:60]
	;; [unrolled: 1-line block ×7, first 2 shown]
	v_fma_f64 v[45:46], v[45:46], v[41:42], -v[53:54]
	v_fma_f64 v[41:42], v[47:48], v[41:42], v[43:44]
	v_mul_f64 v[43:44], v[5:6], v[17:18]
	v_mul_f64 v[47:48], v[3:4], v[17:18]
	;; [unrolled: 1-line block ×8, first 2 shown]
	v_add_f64 v[39:40], v[39:40], v[67:68]
	v_add_f64 v[25:26], v[25:26], v[55:56]
	;; [unrolled: 1-line block ×8, first 2 shown]
	v_fma_f64 v[23:24], v[3:4], v[15:16], -v[43:44]
	v_fma_f64 v[43:44], v[5:6], v[15:16], v[47:48]
	v_fma_f64 v[3:4], v[3:4], v[19:20], -v[51:52]
	v_fma_f64 v[5:6], v[5:6], v[19:20], v[53:54]
	;; [unrolled: 2-line block ×4, first 2 shown]
	v_add_f64 v[23:24], v[39:40], v[23:24]
	v_add_f64 v[25:26], v[43:44], v[25:26]
	;; [unrolled: 1-line block ×8, first 2 shown]
	s_cbranch_scc0 .LBB420_13
.LBB420_7:                              ; =>This Inner Loop Header: Depth=1
	v_add_nc_u32_e32 v3, s9, v28
	v_mov_b32_e32 v5, 0
	v_mov_b32_e32 v6, 0
	v_cmp_gt_i32_e64 s0, s3, v3
	v_mov_b32_e32 v3, 0
	v_mov_b32_e32 v4, 0
	s_and_b32 s8, vcc_lo, s0
	s_and_saveexec_b32 s0, s8
	s_cbranch_execz .LBB420_9
; %bb.8:                                ;   in Loop: Header=BB420_7 Depth=1
	flat_load_dwordx4 v[3:6], v[11:12]
	s_waitcnt vmcnt(0) lgkmcnt(0)
	v_xor_b32_e32 v6, 0x80000000, v6
.LBB420_9:                              ;   in Loop: Header=BB420_7 Depth=1
	s_or_b32 exec_lo, exec_lo, s0
	v_add_nc_u32_e32 v33, s9, v27
	ds_write_b128 v29, v[3:6]
	v_cmp_le_i32_e64 s0, s3, v33
	s_or_b32 s0, s0, s1
	s_and_saveexec_b32 s8, s0
	s_xor_b32 s0, exec_lo, s8
	s_cbranch_execz .LBB420_11
; %bb.10:                               ;   in Loop: Header=BB420_7 Depth=1
	v_mov_b32_e32 v3, v2
	v_mov_b32_e32 v4, v2
	;; [unrolled: 1-line block ×3, first 2 shown]
	ds_write_b128 v30, v[2:5]
.LBB420_11:                             ;   in Loop: Header=BB420_7 Depth=1
	s_andn2_saveexec_b32 s0, s0
	s_cbranch_execz .LBB420_6
; %bb.12:                               ;   in Loop: Header=BB420_7 Depth=1
	flat_load_dwordx4 v[3:6], v[13:14]
	s_waitcnt vmcnt(0) lgkmcnt(0)
	ds_write2_b64 v30, v[3:4], v[5:6] offset1:1
	s_branch .LBB420_6
.LBB420_13:
	s_clause 0x1
	s_load_dword s3, s[4:5], 0x60
	s_load_dwordx2 s[4:5], s[4:5], 0x68
	v_cmp_neq_f64_e64 s8, s[14:15], 0
	v_add_nc_u32_e32 v27, s7, v1
	v_add_nc_u32_e32 v4, s6, v0
	v_cmp_gt_i32_e64 s0, s2, v27
	v_cmp_le_i32_e32 vcc_lo, v4, v27
	v_ashrrev_i32_e32 v5, 31, v4
	s_waitcnt lgkmcnt(0)
	v_mad_i64_i32 v[1:2], null, v27, s3, 0
	s_lshl_b64 s[4:5], s[4:5], 4
	s_add_u32 s4, s10, s4
	s_addc_u32 s5, s11, s5
	s_xor_b32 s6, s28, -1
	s_and_b32 s7, s0, vcc_lo
	v_lshlrev_b64 v[0:1], 4, v[1:2]
	s_or_b32 s6, s8, s6
	v_cndmask_b32_e64 v6, 0, 1, s6
	v_add_co_u32 v13, s1, s4, v0
	v_add_co_ci_u32_e64 v14, null, s5, v1, s1
	s_and_saveexec_b32 s1, s7
	s_cbranch_execz .LBB420_17
; %bb.14:
	v_mul_f64 v[0:1], s[22:23], v[25:26]
	v_mul_f64 v[2:3], s[20:21], v[25:26]
	v_lshlrev_b64 v[11:12], 4, v[4:5]
	v_add_co_u32 v11, vcc_lo, v13, v11
	v_add_co_ci_u32_e64 v12, null, v14, v12, vcc_lo
	s_andn2_b32 vcc_lo, exec_lo, s6
	v_fma_f64 v[0:1], s[20:21], v[23:24], -v[0:1]
	v_fma_f64 v[2:3], s[22:23], v[23:24], v[2:3]
	s_cbranch_vccnz .LBB420_16
; %bb.15:
	flat_load_dwordx4 v[23:26], v[11:12]
	s_waitcnt vmcnt(0) lgkmcnt(0)
	v_mul_f64 v[28:29], s[16:17], v[25:26]
	v_mul_f64 v[25:26], s[14:15], v[25:26]
	v_fma_f64 v[28:29], s[14:15], v[23:24], -v[28:29]
	v_fma_f64 v[23:24], s[16:17], v[23:24], v[25:26]
	v_add_f64 v[0:1], v[0:1], v[28:29]
	v_add_f64 v[2:3], v[2:3], v[23:24]
.LBB420_16:
	flat_store_dwordx4 v[11:12], v[0:3]
.LBB420_17:
	s_or_b32 exec_lo, exec_lo, s1
	v_add_nc_u32_e32 v11, 16, v4
	v_cmp_le_i32_e32 vcc_lo, v11, v27
	v_ashrrev_i32_e32 v12, 31, v11
	s_and_b32 s0, s0, vcc_lo
	s_and_saveexec_b32 s1, s0
	s_cbranch_execz .LBB420_21
; %bb.18:
	v_mul_f64 v[0:1], s[22:23], v[21:22]
	v_mul_f64 v[2:3], s[20:21], v[21:22]
	v_cmp_ne_u32_e32 vcc_lo, 1, v6
	s_and_b32 vcc_lo, exec_lo, vcc_lo
	v_fma_f64 v[0:1], s[20:21], v[19:20], -v[0:1]
	v_fma_f64 v[2:3], s[22:23], v[19:20], v[2:3]
	v_lshlrev_b64 v[19:20], 4, v[11:12]
	v_add_co_u32 v13, s0, v13, v19
	v_add_co_ci_u32_e64 v14, null, v14, v20, s0
	s_cbranch_vccnz .LBB420_20
; %bb.19:
	flat_load_dwordx4 v[19:22], v[13:14]
	s_waitcnt vmcnt(0) lgkmcnt(0)
	v_mul_f64 v[23:24], s[16:17], v[21:22]
	v_mul_f64 v[21:22], s[14:15], v[21:22]
	v_fma_f64 v[23:24], s[14:15], v[19:20], -v[23:24]
	v_fma_f64 v[19:20], s[16:17], v[19:20], v[21:22]
	v_add_f64 v[0:1], v[0:1], v[23:24]
	v_add_f64 v[2:3], v[2:3], v[19:20]
.LBB420_20:
	flat_store_dwordx4 v[13:14], v[0:3]
.LBB420_21:
	s_or_b32 exec_lo, exec_lo, s1
	v_add_nc_u32_e32 v19, 16, v27
	v_mad_i64_i32 v[0:1], null, v19, s3, 0
	v_cmp_gt_i32_e64 s0, s2, v19
	v_cmp_le_i32_e32 vcc_lo, v4, v19
	v_lshlrev_b64 v[0:1], 4, v[0:1]
	v_add_co_u32 v13, s1, s4, v0
	v_add_co_ci_u32_e64 v14, null, s5, v1, s1
	s_and_b32 s1, s0, vcc_lo
	s_and_saveexec_b32 s2, s1
	s_cbranch_execz .LBB420_25
; %bb.22:
	v_mul_f64 v[0:1], s[22:23], v[17:18]
	v_mul_f64 v[2:3], s[20:21], v[17:18]
	v_lshlrev_b64 v[4:5], 4, v[4:5]
	v_cmp_ne_u32_e32 vcc_lo, 1, v6
	s_and_b32 vcc_lo, exec_lo, vcc_lo
	v_add_co_u32 v4, s1, v13, v4
	v_add_co_ci_u32_e64 v5, null, v14, v5, s1
	v_fma_f64 v[0:1], s[20:21], v[15:16], -v[0:1]
	v_fma_f64 v[2:3], s[22:23], v[15:16], v[2:3]
	s_cbranch_vccnz .LBB420_24
; %bb.23:
	flat_load_dwordx4 v[15:18], v[4:5]
	s_waitcnt vmcnt(0) lgkmcnt(0)
	v_mul_f64 v[20:21], s[16:17], v[17:18]
	v_mul_f64 v[17:18], s[14:15], v[17:18]
	v_fma_f64 v[20:21], s[14:15], v[15:16], -v[20:21]
	v_fma_f64 v[15:16], s[16:17], v[15:16], v[17:18]
	v_add_f64 v[0:1], v[0:1], v[20:21]
	v_add_f64 v[2:3], v[2:3], v[15:16]
.LBB420_24:
	flat_store_dwordx4 v[4:5], v[0:3]
.LBB420_25:
	s_or_b32 exec_lo, exec_lo, s2
	v_cmp_le_i32_e32 vcc_lo, v11, v19
	s_and_b32 s0, s0, vcc_lo
	s_and_saveexec_b32 s1, s0
	s_cbranch_execz .LBB420_30
; %bb.26:
	v_mul_f64 v[0:1], s[22:23], v[7:8]
	v_mul_f64 v[2:3], s[20:21], v[7:8]
	v_lshlrev_b64 v[4:5], 4, v[11:12]
	v_cmp_ne_u32_e32 vcc_lo, 1, v6
	s_and_b32 vcc_lo, exec_lo, vcc_lo
	v_add_co_u32 v4, s0, v13, v4
	v_add_co_ci_u32_e64 v5, null, v14, v5, s0
	v_fma_f64 v[0:1], s[20:21], v[9:10], -v[0:1]
	v_fma_f64 v[2:3], s[22:23], v[9:10], v[2:3]
	s_cbranch_vccnz .LBB420_28
; %bb.27:
	flat_load_dwordx4 v[6:9], v[4:5]
	s_waitcnt vmcnt(0) lgkmcnt(0)
	v_mul_f64 v[10:11], s[16:17], v[8:9]
	v_mul_f64 v[8:9], s[14:15], v[8:9]
	v_fma_f64 v[10:11], s[14:15], v[6:7], -v[10:11]
	v_fma_f64 v[6:7], s[16:17], v[6:7], v[8:9]
	v_add_f64 v[0:1], v[0:1], v[10:11]
	v_add_f64 v[2:3], v[2:3], v[6:7]
.LBB420_28:
	flat_store_dwordx4 v[4:5], v[0:3]
	s_endpgm
.LBB420_29:
.LBB420_30:
	s_endpgm
	.section	.rodata,"a",@progbits
	.p2align	6, 0x0
	.amdhsa_kernel _ZL29rocblas_internal_gemmt_kernelIiLi16ELi32ELi8ELc67ELc78ELc85ELb1ELb0E19rocblas_complex_numIdES1_PKPKS1_PKPS1_EviT_T9_T10_S9_lSB_S9_lSA_T11_S9_li
		.amdhsa_group_segment_fixed_size 8192
		.amdhsa_private_segment_fixed_size 0
		.amdhsa_kernarg_size 116
		.amdhsa_user_sgpr_count 6
		.amdhsa_user_sgpr_private_segment_buffer 1
		.amdhsa_user_sgpr_dispatch_ptr 0
		.amdhsa_user_sgpr_queue_ptr 0
		.amdhsa_user_sgpr_kernarg_segment_ptr 1
		.amdhsa_user_sgpr_dispatch_id 0
		.amdhsa_user_sgpr_flat_scratch_init 0
		.amdhsa_user_sgpr_private_segment_size 0
		.amdhsa_wavefront_size32 1
		.amdhsa_uses_dynamic_stack 0
		.amdhsa_system_sgpr_private_segment_wavefront_offset 0
		.amdhsa_system_sgpr_workgroup_id_x 1
		.amdhsa_system_sgpr_workgroup_id_y 1
		.amdhsa_system_sgpr_workgroup_id_z 1
		.amdhsa_system_sgpr_workgroup_info 0
		.amdhsa_system_vgpr_workitem_id 1
		.amdhsa_next_free_vgpr 127
		.amdhsa_next_free_sgpr 30
		.amdhsa_reserve_vcc 1
		.amdhsa_reserve_flat_scratch 0
		.amdhsa_float_round_mode_32 0
		.amdhsa_float_round_mode_16_64 0
		.amdhsa_float_denorm_mode_32 3
		.amdhsa_float_denorm_mode_16_64 3
		.amdhsa_dx10_clamp 1
		.amdhsa_ieee_mode 1
		.amdhsa_fp16_overflow 0
		.amdhsa_workgroup_processor_mode 1
		.amdhsa_memory_ordered 1
		.amdhsa_forward_progress 1
		.amdhsa_shared_vgpr_count 0
		.amdhsa_exception_fp_ieee_invalid_op 0
		.amdhsa_exception_fp_denorm_src 0
		.amdhsa_exception_fp_ieee_div_zero 0
		.amdhsa_exception_fp_ieee_overflow 0
		.amdhsa_exception_fp_ieee_underflow 0
		.amdhsa_exception_fp_ieee_inexact 0
		.amdhsa_exception_int_div_zero 0
	.end_amdhsa_kernel
	.section	.text._ZL29rocblas_internal_gemmt_kernelIiLi16ELi32ELi8ELc67ELc78ELc85ELb1ELb0E19rocblas_complex_numIdES1_PKPKS1_PKPS1_EviT_T9_T10_S9_lSB_S9_lSA_T11_S9_li,"axG",@progbits,_ZL29rocblas_internal_gemmt_kernelIiLi16ELi32ELi8ELc67ELc78ELc85ELb1ELb0E19rocblas_complex_numIdES1_PKPKS1_PKPS1_EviT_T9_T10_S9_lSB_S9_lSA_T11_S9_li,comdat
.Lfunc_end420:
	.size	_ZL29rocblas_internal_gemmt_kernelIiLi16ELi32ELi8ELc67ELc78ELc85ELb1ELb0E19rocblas_complex_numIdES1_PKPKS1_PKPS1_EviT_T9_T10_S9_lSB_S9_lSA_T11_S9_li, .Lfunc_end420-_ZL29rocblas_internal_gemmt_kernelIiLi16ELi32ELi8ELc67ELc78ELc85ELb1ELb0E19rocblas_complex_numIdES1_PKPKS1_PKPS1_EviT_T9_T10_S9_lSB_S9_lSA_T11_S9_li
                                        ; -- End function
	.set _ZL29rocblas_internal_gemmt_kernelIiLi16ELi32ELi8ELc67ELc78ELc85ELb1ELb0E19rocblas_complex_numIdES1_PKPKS1_PKPS1_EviT_T9_T10_S9_lSB_S9_lSA_T11_S9_li.num_vgpr, 127
	.set _ZL29rocblas_internal_gemmt_kernelIiLi16ELi32ELi8ELc67ELc78ELc85ELb1ELb0E19rocblas_complex_numIdES1_PKPKS1_PKPS1_EviT_T9_T10_S9_lSB_S9_lSA_T11_S9_li.num_agpr, 0
	.set _ZL29rocblas_internal_gemmt_kernelIiLi16ELi32ELi8ELc67ELc78ELc85ELb1ELb0E19rocblas_complex_numIdES1_PKPKS1_PKPS1_EviT_T9_T10_S9_lSB_S9_lSA_T11_S9_li.numbered_sgpr, 30
	.set _ZL29rocblas_internal_gemmt_kernelIiLi16ELi32ELi8ELc67ELc78ELc85ELb1ELb0E19rocblas_complex_numIdES1_PKPKS1_PKPS1_EviT_T9_T10_S9_lSB_S9_lSA_T11_S9_li.num_named_barrier, 0
	.set _ZL29rocblas_internal_gemmt_kernelIiLi16ELi32ELi8ELc67ELc78ELc85ELb1ELb0E19rocblas_complex_numIdES1_PKPKS1_PKPS1_EviT_T9_T10_S9_lSB_S9_lSA_T11_S9_li.private_seg_size, 0
	.set _ZL29rocblas_internal_gemmt_kernelIiLi16ELi32ELi8ELc67ELc78ELc85ELb1ELb0E19rocblas_complex_numIdES1_PKPKS1_PKPS1_EviT_T9_T10_S9_lSB_S9_lSA_T11_S9_li.uses_vcc, 1
	.set _ZL29rocblas_internal_gemmt_kernelIiLi16ELi32ELi8ELc67ELc78ELc85ELb1ELb0E19rocblas_complex_numIdES1_PKPKS1_PKPS1_EviT_T9_T10_S9_lSB_S9_lSA_T11_S9_li.uses_flat_scratch, 0
	.set _ZL29rocblas_internal_gemmt_kernelIiLi16ELi32ELi8ELc67ELc78ELc85ELb1ELb0E19rocblas_complex_numIdES1_PKPKS1_PKPS1_EviT_T9_T10_S9_lSB_S9_lSA_T11_S9_li.has_dyn_sized_stack, 0
	.set _ZL29rocblas_internal_gemmt_kernelIiLi16ELi32ELi8ELc67ELc78ELc85ELb1ELb0E19rocblas_complex_numIdES1_PKPKS1_PKPS1_EviT_T9_T10_S9_lSB_S9_lSA_T11_S9_li.has_recursion, 0
	.set _ZL29rocblas_internal_gemmt_kernelIiLi16ELi32ELi8ELc67ELc78ELc85ELb1ELb0E19rocblas_complex_numIdES1_PKPKS1_PKPS1_EviT_T9_T10_S9_lSB_S9_lSA_T11_S9_li.has_indirect_call, 0
	.section	.AMDGPU.csdata,"",@progbits
; Kernel info:
; codeLenInByte = 3516
; TotalNumSgprs: 32
; NumVgprs: 127
; ScratchSize: 0
; MemoryBound: 1
; FloatMode: 240
; IeeeMode: 1
; LDSByteSize: 8192 bytes/workgroup (compile time only)
; SGPRBlocks: 0
; VGPRBlocks: 15
; NumSGPRsForWavesPerEU: 32
; NumVGPRsForWavesPerEU: 127
; Occupancy: 8
; WaveLimiterHint : 1
; COMPUTE_PGM_RSRC2:SCRATCH_EN: 0
; COMPUTE_PGM_RSRC2:USER_SGPR: 6
; COMPUTE_PGM_RSRC2:TRAP_HANDLER: 0
; COMPUTE_PGM_RSRC2:TGID_X_EN: 1
; COMPUTE_PGM_RSRC2:TGID_Y_EN: 1
; COMPUTE_PGM_RSRC2:TGID_Z_EN: 1
; COMPUTE_PGM_RSRC2:TIDIG_COMP_CNT: 1
	.section	.text._ZL29rocblas_internal_gemmt_kernelIiLi16ELi32ELi8ELc67ELc84ELc85ELb1ELb0E19rocblas_complex_numIdES1_PKPKS1_PKPS1_EviT_T9_T10_S9_lSB_S9_lSA_T11_S9_li,"axG",@progbits,_ZL29rocblas_internal_gemmt_kernelIiLi16ELi32ELi8ELc67ELc84ELc85ELb1ELb0E19rocblas_complex_numIdES1_PKPKS1_PKPS1_EviT_T9_T10_S9_lSB_S9_lSA_T11_S9_li,comdat
	.globl	_ZL29rocblas_internal_gemmt_kernelIiLi16ELi32ELi8ELc67ELc84ELc85ELb1ELb0E19rocblas_complex_numIdES1_PKPKS1_PKPS1_EviT_T9_T10_S9_lSB_S9_lSA_T11_S9_li ; -- Begin function _ZL29rocblas_internal_gemmt_kernelIiLi16ELi32ELi8ELc67ELc84ELc85ELb1ELb0E19rocblas_complex_numIdES1_PKPKS1_PKPS1_EviT_T9_T10_S9_lSB_S9_lSA_T11_S9_li
	.p2align	8
	.type	_ZL29rocblas_internal_gemmt_kernelIiLi16ELi32ELi8ELc67ELc84ELc85ELb1ELb0E19rocblas_complex_numIdES1_PKPKS1_PKPS1_EviT_T9_T10_S9_lSB_S9_lSA_T11_S9_li,@function
_ZL29rocblas_internal_gemmt_kernelIiLi16ELi32ELi8ELc67ELc84ELc85ELb1ELb0E19rocblas_complex_numIdES1_PKPKS1_PKPS1_EviT_T9_T10_S9_lSB_S9_lSA_T11_S9_li: ; @_ZL29rocblas_internal_gemmt_kernelIiLi16ELi32ELi8ELc67ELc84ELc85ELb1ELb0E19rocblas_complex_numIdES1_PKPKS1_PKPS1_EviT_T9_T10_S9_lSB_S9_lSA_T11_S9_li
; %bb.0:
	s_clause 0x2
	s_load_dwordx8 s[12:19], s[4:5], 0x40
	s_load_dwordx2 s[2:3], s[4:5], 0x0
	s_load_dwordx4 s[20:23], s[4:5], 0x8
	s_waitcnt lgkmcnt(0)
	v_cmp_eq_f64_e64 s0, s[14:15], 1.0
	v_cmp_eq_f64_e64 s28, s[16:17], 0
	s_and_b32 s0, s0, s28
	s_andn2_b32 vcc_lo, exec_lo, s0
	s_mov_b32 s0, -1
	s_cbranch_vccnz .LBB421_3
; %bb.1:
	s_cmp_lg_u32 s3, 0
	s_cbranch_scc0 .LBB421_29
; %bb.2:
	v_cmp_neq_f64_e64 s0, s[20:21], 0
	v_cmp_neq_f64_e64 s1, s[22:23], 0
	s_or_b32 s0, s0, s1
.LBB421_3:
	s_and_b32 vcc_lo, exec_lo, s0
	s_cbranch_vccz .LBB421_30
; %bb.4:
	v_cmp_eq_f64_e64 s24, s[20:21], 0
	v_cmp_eq_f64_e64 s25, s[22:23], 0
	s_mov_b32 s9, 0
	v_mov_b32_e32 v23, 0
	s_lshl_b64 s[0:1], s[8:9], 3
	v_mov_b32_e32 v25, 0
	s_add_u32 s10, s18, s0
	s_addc_u32 s11, s19, s1
	s_lshl_b32 s8, s6, 5
	s_load_dwordx2 s[10:11], s[10:11], 0x0
	s_lshl_b32 s18, s7, 5
	v_mov_b32_e32 v19, 0
	v_mov_b32_e32 v21, 0
	v_mov_b32_e32 v15, 0
	v_mov_b32_e32 v17, 0
	v_mov_b32_e32 v9, 0
	v_mov_b32_e32 v7, 0
	v_mov_b32_e32 v24, 0
	v_mov_b32_e32 v26, 0
	v_mov_b32_e32 v20, 0
	v_mov_b32_e32 v22, 0
	v_mov_b32_e32 v16, 0
	v_mov_b32_e32 v18, 0
	s_and_b32 s6, s24, s25
	s_cmp_lt_i32 s3, 1
	v_mov_b32_e32 v10, 0
	s_cselect_b32 s7, -1, 0
	v_mov_b32_e32 v8, 0
	s_or_b32 s6, s6, s7
	s_and_b32 vcc_lo, exec_lo, s6
	s_cbranch_vccnz .LBB421_13
; %bb.5:
	s_clause 0x3
	s_load_dword s6, s[4:5], 0x38
	s_load_dwordx4 s[24:27], s[4:5], 0x28
	s_load_dword s19, s[4:5], 0x20
	s_load_dwordx2 s[30:31], s[4:5], 0x18
	v_lshl_add_u32 v2, v1, 4, v0
	v_and_b32_e32 v27, 7, v0
	v_mov_b32_e32 v9, 0
	v_mov_b32_e32 v17, 0
	;; [unrolled: 1-line block ×3, first 2 shown]
	v_and_b32_e32 v3, 31, v2
	v_lshrrev_b32_e32 v4, 3, v2
	v_lshlrev_b32_e32 v5, 4, v27
	v_lshrrev_b32_e32 v28, 5, v2
	v_mov_b32_e32 v21, 0
	v_or_b32_e32 v6, s8, v3
	v_lshlrev_b32_e32 v7, 4, v3
	v_add_nc_u32_e32 v3, s8, v3
	v_add_nc_u32_e32 v2, s18, v4
	v_lshl_or_b32 v8, v4, 7, v5
	v_cmp_gt_i32_e32 vcc_lo, s2, v6
	s_waitcnt lgkmcnt(0)
	s_ashr_i32 s7, s6, 31
	s_add_u32 s26, s26, s0
	v_mad_i64_i32 v[4:5], null, s19, v3, 0
	s_addc_u32 s27, s27, s1
	v_lshl_or_b32 v29, v28, 9, v7
	s_add_u32 s0, s30, s0
	v_mad_i64_i32 v[6:7], null, s6, v27, 0
	s_addc_u32 s1, s31, s1
	s_load_dwordx2 s[26:27], s[26:27], 0x0
	s_load_dwordx2 s[30:31], s[0:1], 0x0
	v_lshlrev_b64 v[4:5], 4, v[4:5]
	v_ashrrev_i32_e32 v3, 31, v2
	s_lshl_b64 s[24:25], s[24:25], 4
	v_add_nc_u32_e32 v30, 0x1000, v8
	v_lshlrev_b64 v[6:7], 4, v[6:7]
	v_lshlrev_b32_e32 v8, 4, v28
	v_add_co_u32 v4, s1, v4, s24
	s_lshl_b64 s[12:13], s[12:13], 4
	v_cmp_gt_i32_e64 s0, s2, v2
	v_lshlrev_b64 v[2:3], 4, v[2:3]
	v_add_co_ci_u32_e64 v5, null, s25, v5, s1
	v_add_co_u32 v6, s1, v6, s12
	v_add_co_ci_u32_e64 v7, null, s13, v7, s1
	v_add_co_u32 v4, s1, v4, v8
	;; [unrolled: 2-line block ×3, first 2 shown]
	v_add_co_ci_u32_e64 v3, null, v7, v3, s1
	s_waitcnt lgkmcnt(0)
	v_add_co_u32 v11, s1, s30, v4
	v_add_co_ci_u32_e64 v12, null, s31, v5, s1
	v_add_co_u32 v13, s1, s26, v2
	v_mov_b32_e32 v7, 0
	v_mov_b32_e32 v19, 0
	;; [unrolled: 1-line block ×4, first 2 shown]
	v_lshlrev_b32_e32 v31, 4, v0
	v_lshl_add_u32 v32, v1, 7, 0x1000
	v_add_co_ci_u32_e64 v14, null, s27, v3, s1
	v_mov_b32_e32 v8, 0
	v_mov_b32_e32 v10, 0
	v_mov_b32_e32 v18, 0
	v_mov_b32_e32 v16, 0
	v_mov_b32_e32 v22, 0
	v_mov_b32_e32 v20, 0
	v_mov_b32_e32 v26, 0
	v_mov_b32_e32 v24, 0
	v_mov_b32_e32 v2, 0
	s_lshl_b64 s[6:7], s[6:7], 7
	s_xor_b32 s1, s0, -1
	s_branch .LBB421_7
.LBB421_6:                              ;   in Loop: Header=BB421_7 Depth=1
	s_or_b32 exec_lo, exec_lo, s0
	s_waitcnt lgkmcnt(0)
	s_barrier
	buffer_gl0_inv
	ds_read_b128 v[3:6], v32
	ds_read_b128 v[33:36], v31
	ds_read_b128 v[37:40], v31 offset:256
	ds_read_b128 v[41:44], v32 offset:2048
	;; [unrolled: 1-line block ×12, first 2 shown]
	v_add_co_u32 v11, s0, 0x80, v11
	v_add_co_ci_u32_e64 v12, null, 0, v12, s0
	v_add_co_u32 v13, s0, v13, s6
	v_add_co_ci_u32_e64 v14, null, s7, v14, s0
	s_waitcnt lgkmcnt(12)
	v_mul_f64 v[85:86], v[5:6], v[35:36]
	v_mul_f64 v[87:88], v[3:4], v[35:36]
	s_waitcnt lgkmcnt(11)
	v_mul_f64 v[89:90], v[5:6], v[39:40]
	v_mul_f64 v[91:92], v[3:4], v[39:40]
	;; [unrolled: 3-line block ×3, first 2 shown]
	v_mul_f64 v[95:96], v[43:44], v[39:40]
	v_mul_f64 v[39:40], v[41:42], v[39:40]
	s_waitcnt lgkmcnt(8)
	v_mul_f64 v[97:98], v[47:48], v[51:52]
	v_mul_f64 v[99:100], v[45:46], v[51:52]
	s_waitcnt lgkmcnt(7)
	v_mul_f64 v[101:102], v[47:48], v[55:56]
	v_mul_f64 v[103:104], v[45:46], v[55:56]
	s_waitcnt lgkmcnt(6)
	v_mul_f64 v[105:106], v[59:60], v[51:52]
	v_mul_f64 v[51:52], v[57:58], v[51:52]
	;; [unrolled: 1-line block ×4, first 2 shown]
	s_waitcnt lgkmcnt(4)
	v_mul_f64 v[109:110], v[63:64], v[67:68]
	v_mul_f64 v[111:112], v[61:62], v[67:68]
	s_waitcnt lgkmcnt(3)
	v_mul_f64 v[113:114], v[63:64], v[71:72]
	v_mul_f64 v[115:116], v[61:62], v[71:72]
	s_waitcnt lgkmcnt(2)
	v_mul_f64 v[117:118], v[75:76], v[67:68]
	v_mul_f64 v[67:68], v[73:74], v[67:68]
	v_fma_f64 v[85:86], v[3:4], v[33:34], -v[85:86]
	v_fma_f64 v[87:88], v[5:6], v[33:34], v[87:88]
	v_fma_f64 v[89:90], v[3:4], v[37:38], -v[89:90]
	v_fma_f64 v[91:92], v[5:6], v[37:38], v[91:92]
	;; [unrolled: 2-line block ×4, first 2 shown]
	v_mul_f64 v[123:124], v[75:76], v[71:72]
	v_mul_f64 v[71:72], v[73:74], v[71:72]
	v_fma_f64 v[97:98], v[45:46], v[49:50], -v[97:98]
	v_fma_f64 v[99:100], v[47:48], v[49:50], v[99:100]
	v_fma_f64 v[101:102], v[45:46], v[53:54], -v[101:102]
	v_fma_f64 v[103:104], v[47:48], v[53:54], v[103:104]
	;; [unrolled: 2-line block ×7, first 2 shown]
	v_add_f64 v[23:24], v[23:24], v[85:86]
	v_add_f64 v[25:26], v[87:88], v[25:26]
	;; [unrolled: 1-line block ×6, first 2 shown]
	v_fma_f64 v[73:74], v[73:74], v[69:70], -v[123:124]
	v_fma_f64 v[69:70], v[75:76], v[69:70], v[71:72]
	v_add_f64 v[71:72], v[15:16], v[93:94]
	v_add_f64 v[75:76], v[119:120], v[17:18]
	ds_read_b128 v[3:6], v31 offset:1536
	ds_read_b128 v[33:36], v31 offset:1792
	;; [unrolled: 1-line block ×7, first 2 shown]
	s_add_i32 s9, s9, 8
	s_cmp_lt_i32 s9, s3
	v_add_f64 v[97:98], v[23:24], v[97:98]
	v_add_f64 v[99:100], v[99:100], v[25:26]
	;; [unrolled: 1-line block ×6, first 2 shown]
	ds_read_b128 v[19:22], v31 offset:2560
	ds_read_b128 v[23:26], v31 offset:2816
	s_waitcnt lgkmcnt(8)
	v_mul_f64 v[109:110], v[79:80], v[5:6]
	v_mul_f64 v[111:112], v[77:78], v[5:6]
	s_waitcnt lgkmcnt(7)
	v_mul_f64 v[67:68], v[79:80], v[35:36]
	v_mul_f64 v[113:114], v[77:78], v[35:36]
	;; [unrolled: 1-line block ×6, first 2 shown]
	s_waitcnt lgkmcnt(4)
	v_mul_f64 v[95:96], v[39:40], v[47:48]
	v_add_f64 v[71:72], v[71:72], v[105:106]
	v_add_f64 v[75:76], v[125:126], v[75:76]
	v_mul_f64 v[93:94], v[37:38], v[43:44]
	ds_read_b128 v[5:8], v32 offset:80
	v_add_f64 v[55:56], v[97:98], v[55:56]
	v_add_f64 v[59:60], v[59:60], v[99:100]
	;; [unrolled: 1-line block ×6, first 2 shown]
	s_waitcnt lgkmcnt(2)
	v_mul_f64 v[99:100], v[17:18], v[21:22]
	s_waitcnt lgkmcnt(1)
	v_mul_f64 v[101:102], v[17:18], v[25:26]
	v_fma_f64 v[89:90], v[77:78], v[3:4], -v[109:110]
	v_fma_f64 v[91:92], v[79:80], v[3:4], v[111:112]
	v_fma_f64 v[67:68], v[77:78], v[33:34], -v[67:68]
	v_mul_f64 v[77:78], v[39:40], v[43:44]
	v_mul_f64 v[109:110], v[37:38], v[47:48]
	v_fma_f64 v[79:80], v[79:80], v[33:34], v[113:114]
	v_mul_f64 v[111:112], v[51:52], v[43:44]
	v_mul_f64 v[43:44], v[49:50], v[43:44]
	v_fma_f64 v[57:58], v[81:82], v[3:4], -v[115:116]
	v_fma_f64 v[3:4], v[83:84], v[3:4], v[117:118]
	v_fma_f64 v[81:82], v[81:82], v[33:34], -v[87:88]
	v_fma_f64 v[83:84], v[83:84], v[33:34], v[35:36]
	v_fma_f64 v[87:88], v[37:38], v[45:46], -v[95:96]
	v_mul_f64 v[95:96], v[51:52], v[47:48]
	v_mul_f64 v[47:48], v[49:50], v[47:48]
	v_add_f64 v[71:72], v[71:72], v[107:108]
	v_add_f64 v[65:66], v[65:66], v[75:76]
	v_fma_f64 v[85:86], v[39:40], v[41:42], v[93:94]
	s_waitcnt lgkmcnt(0)
	v_mul_f64 v[69:70], v[7:8], v[21:22]
	v_mul_f64 v[73:74], v[5:6], v[21:22]
	;; [unrolled: 1-line block ×6, first 2 shown]
	v_add_f64 v[55:56], v[55:56], v[89:90]
	v_fma_f64 v[77:78], v[37:38], v[41:42], -v[77:78]
	v_fma_f64 v[93:94], v[39:40], v[45:46], v[109:110]
	v_add_f64 v[59:60], v[91:92], v[59:60]
	v_fma_f64 v[105:106], v[49:50], v[41:42], -v[111:112]
	v_fma_f64 v[109:110], v[51:52], v[41:42], v[43:44]
	v_add_f64 v[61:62], v[61:62], v[67:68]
	v_add_f64 v[63:64], v[79:80], v[63:64]
	;; [unrolled: 1-line block ×4, first 2 shown]
	ds_read_b128 v[33:36], v32 offset:96
	ds_read_b128 v[37:40], v31 offset:3072
	v_fma_f64 v[49:50], v[49:50], v[45:46], -v[95:96]
	v_fma_f64 v[51:52], v[51:52], v[45:46], v[47:48]
	v_add_f64 v[57:58], v[71:72], v[57:58]
	v_add_f64 v[65:66], v[3:4], v[65:66]
	ds_read_b128 v[41:44], v31 offset:3328
	ds_read_b128 v[45:48], v32 offset:2144
	v_fma_f64 v[69:70], v[5:6], v[19:20], -v[69:70]
	v_fma_f64 v[71:72], v[7:8], v[19:20], v[73:74]
	v_fma_f64 v[73:74], v[5:6], v[23:24], -v[75:76]
	v_fma_f64 v[75:76], v[7:8], v[23:24], v[97:98]
	;; [unrolled: 2-line block ×4, first 2 shown]
	v_add_f64 v[55:56], v[55:56], v[77:78]
	v_add_f64 v[59:60], v[85:86], v[59:60]
	ds_read_b128 v[3:6], v32 offset:112
	ds_read_b128 v[7:10], v32 offset:2160
	v_add_f64 v[61:62], v[61:62], v[87:88]
	v_add_f64 v[63:64], v[93:94], v[63:64]
	s_waitcnt lgkmcnt(4)
	v_mul_f64 v[89:90], v[35:36], v[39:40]
	v_mul_f64 v[25:26], v[33:34], v[39:40]
	ds_read_b128 v[15:18], v31 offset:3584
	ds_read_b128 v[19:22], v31 offset:3840
	v_add_f64 v[49:50], v[67:68], v[49:50]
	s_waitcnt lgkmcnt(5)
	v_mul_f64 v[91:92], v[35:36], v[43:44]
	v_mul_f64 v[95:96], v[33:34], v[43:44]
	s_waitcnt lgkmcnt(4)
	v_mul_f64 v[97:98], v[47:48], v[39:40]
	v_mul_f64 v[39:40], v[45:46], v[39:40]
	v_add_f64 v[57:58], v[57:58], v[105:106]
	v_add_f64 v[65:66], v[109:110], v[65:66]
	;; [unrolled: 1-line block ×3, first 2 shown]
	v_mul_f64 v[53:54], v[47:48], v[43:44]
	v_mul_f64 v[43:44], v[45:46], v[43:44]
	s_waitcnt lgkmcnt(0)
	s_barrier
	buffer_gl0_inv
	v_fma_f64 v[67:68], v[33:34], v[37:38], -v[89:90]
	v_fma_f64 v[25:26], v[35:36], v[37:38], v[25:26]
	v_add_f64 v[49:50], v[49:50], v[83:84]
	v_fma_f64 v[33:34], v[33:34], v[41:42], -v[91:92]
	v_fma_f64 v[35:36], v[35:36], v[41:42], v[95:96]
	v_fma_f64 v[77:78], v[45:46], v[37:38], -v[97:98]
	v_fma_f64 v[37:38], v[47:48], v[37:38], v[39:40]
	v_add_f64 v[39:40], v[55:56], v[69:70]
	v_add_f64 v[55:56], v[71:72], v[59:60]
	;; [unrolled: 1-line block ×7, first 2 shown]
	v_fma_f64 v[45:46], v[45:46], v[41:42], -v[53:54]
	v_fma_f64 v[41:42], v[47:48], v[41:42], v[43:44]
	v_mul_f64 v[43:44], v[5:6], v[17:18]
	v_mul_f64 v[47:48], v[3:4], v[17:18]
	;; [unrolled: 1-line block ×8, first 2 shown]
	v_add_f64 v[39:40], v[39:40], v[67:68]
	v_add_f64 v[25:26], v[25:26], v[55:56]
	;; [unrolled: 1-line block ×8, first 2 shown]
	v_fma_f64 v[23:24], v[3:4], v[15:16], -v[43:44]
	v_fma_f64 v[43:44], v[5:6], v[15:16], v[47:48]
	v_fma_f64 v[3:4], v[3:4], v[19:20], -v[51:52]
	v_fma_f64 v[5:6], v[5:6], v[19:20], v[53:54]
	v_fma_f64 v[47:48], v[7:8], v[15:16], -v[65:66]
	v_fma_f64 v[17:18], v[9:10], v[15:16], v[17:18]
	v_fma_f64 v[7:8], v[7:8], v[19:20], -v[69:70]
	v_fma_f64 v[49:50], v[9:10], v[19:20], v[21:22]
	v_add_f64 v[23:24], v[39:40], v[23:24]
	v_add_f64 v[25:26], v[43:44], v[25:26]
	;; [unrolled: 1-line block ×8, first 2 shown]
	s_cbranch_scc0 .LBB421_13
.LBB421_7:                              ; =>This Inner Loop Header: Depth=1
	v_add_nc_u32_e32 v3, s9, v28
	v_mov_b32_e32 v5, 0
	v_mov_b32_e32 v6, 0
	v_cmp_gt_i32_e64 s0, s3, v3
	v_mov_b32_e32 v3, 0
	v_mov_b32_e32 v4, 0
	s_and_b32 s12, vcc_lo, s0
	s_and_saveexec_b32 s0, s12
	s_cbranch_execz .LBB421_9
; %bb.8:                                ;   in Loop: Header=BB421_7 Depth=1
	flat_load_dwordx4 v[3:6], v[11:12]
	s_waitcnt vmcnt(0) lgkmcnt(0)
	v_xor_b32_e32 v6, 0x80000000, v6
.LBB421_9:                              ;   in Loop: Header=BB421_7 Depth=1
	s_or_b32 exec_lo, exec_lo, s0
	v_add_nc_u32_e32 v33, s9, v27
	ds_write_b128 v29, v[3:6]
	v_cmp_le_i32_e64 s0, s3, v33
	s_or_b32 s0, s0, s1
	s_and_saveexec_b32 s12, s0
	s_xor_b32 s0, exec_lo, s12
	s_cbranch_execz .LBB421_11
; %bb.10:                               ;   in Loop: Header=BB421_7 Depth=1
	v_mov_b32_e32 v3, v2
	v_mov_b32_e32 v4, v2
	;; [unrolled: 1-line block ×3, first 2 shown]
	ds_write_b128 v30, v[2:5]
.LBB421_11:                             ;   in Loop: Header=BB421_7 Depth=1
	s_andn2_saveexec_b32 s0, s0
	s_cbranch_execz .LBB421_6
; %bb.12:                               ;   in Loop: Header=BB421_7 Depth=1
	flat_load_dwordx4 v[3:6], v[13:14]
	s_waitcnt vmcnt(0) lgkmcnt(0)
	ds_write2_b64 v30, v[3:4], v[5:6] offset1:1
	s_branch .LBB421_6
.LBB421_13:
	s_clause 0x1
	s_load_dword s3, s[4:5], 0x60
	s_load_dwordx2 s[4:5], s[4:5], 0x68
	v_cmp_neq_f64_e64 s6, s[14:15], 0
	v_add_nc_u32_e32 v27, s18, v1
	v_add_nc_u32_e32 v4, s8, v0
	v_cmp_gt_i32_e64 s0, s2, v27
	v_cmp_le_i32_e32 vcc_lo, v4, v27
	v_ashrrev_i32_e32 v5, 31, v4
	s_waitcnt lgkmcnt(0)
	v_mad_i64_i32 v[1:2], null, v27, s3, 0
	s_lshl_b64 s[4:5], s[4:5], 4
	s_add_u32 s4, s10, s4
	s_addc_u32 s5, s11, s5
	s_xor_b32 s7, s28, -1
	s_or_b32 s6, s6, s7
	v_lshlrev_b64 v[0:1], 4, v[1:2]
	v_cndmask_b32_e64 v6, 0, 1, s6
	s_and_b32 s7, s0, vcc_lo
	v_add_co_u32 v13, s1, s4, v0
	v_add_co_ci_u32_e64 v14, null, s5, v1, s1
	s_and_saveexec_b32 s1, s7
	s_cbranch_execz .LBB421_17
; %bb.14:
	v_mul_f64 v[0:1], s[22:23], v[25:26]
	v_mul_f64 v[2:3], s[20:21], v[25:26]
	v_lshlrev_b64 v[11:12], 4, v[4:5]
	v_add_co_u32 v11, vcc_lo, v13, v11
	v_add_co_ci_u32_e64 v12, null, v14, v12, vcc_lo
	s_andn2_b32 vcc_lo, exec_lo, s6
	v_fma_f64 v[0:1], s[20:21], v[23:24], -v[0:1]
	v_fma_f64 v[2:3], s[22:23], v[23:24], v[2:3]
	s_cbranch_vccnz .LBB421_16
; %bb.15:
	flat_load_dwordx4 v[23:26], v[11:12]
	s_waitcnt vmcnt(0) lgkmcnt(0)
	v_mul_f64 v[28:29], s[16:17], v[25:26]
	v_mul_f64 v[25:26], s[14:15], v[25:26]
	v_fma_f64 v[28:29], s[14:15], v[23:24], -v[28:29]
	v_fma_f64 v[23:24], s[16:17], v[23:24], v[25:26]
	v_add_f64 v[0:1], v[0:1], v[28:29]
	v_add_f64 v[2:3], v[2:3], v[23:24]
.LBB421_16:
	flat_store_dwordx4 v[11:12], v[0:3]
.LBB421_17:
	s_or_b32 exec_lo, exec_lo, s1
	v_add_nc_u32_e32 v11, 16, v4
	v_cmp_le_i32_e32 vcc_lo, v11, v27
	v_ashrrev_i32_e32 v12, 31, v11
	s_and_b32 s0, s0, vcc_lo
	s_and_saveexec_b32 s1, s0
	s_cbranch_execz .LBB421_21
; %bb.18:
	v_mul_f64 v[0:1], s[22:23], v[21:22]
	v_mul_f64 v[2:3], s[20:21], v[21:22]
	v_cmp_ne_u32_e32 vcc_lo, 1, v6
	s_and_b32 vcc_lo, exec_lo, vcc_lo
	v_fma_f64 v[0:1], s[20:21], v[19:20], -v[0:1]
	v_fma_f64 v[2:3], s[22:23], v[19:20], v[2:3]
	v_lshlrev_b64 v[19:20], 4, v[11:12]
	v_add_co_u32 v13, s0, v13, v19
	v_add_co_ci_u32_e64 v14, null, v14, v20, s0
	s_cbranch_vccnz .LBB421_20
; %bb.19:
	flat_load_dwordx4 v[19:22], v[13:14]
	s_waitcnt vmcnt(0) lgkmcnt(0)
	v_mul_f64 v[23:24], s[16:17], v[21:22]
	v_mul_f64 v[21:22], s[14:15], v[21:22]
	v_fma_f64 v[23:24], s[14:15], v[19:20], -v[23:24]
	v_fma_f64 v[19:20], s[16:17], v[19:20], v[21:22]
	v_add_f64 v[0:1], v[0:1], v[23:24]
	v_add_f64 v[2:3], v[2:3], v[19:20]
.LBB421_20:
	flat_store_dwordx4 v[13:14], v[0:3]
.LBB421_21:
	s_or_b32 exec_lo, exec_lo, s1
	v_add_nc_u32_e32 v19, 16, v27
	v_mad_i64_i32 v[0:1], null, v19, s3, 0
	v_cmp_gt_i32_e64 s0, s2, v19
	v_cmp_le_i32_e32 vcc_lo, v4, v19
	v_lshlrev_b64 v[0:1], 4, v[0:1]
	v_add_co_u32 v13, s1, s4, v0
	v_add_co_ci_u32_e64 v14, null, s5, v1, s1
	s_and_b32 s1, s0, vcc_lo
	s_and_saveexec_b32 s2, s1
	s_cbranch_execz .LBB421_25
; %bb.22:
	v_mul_f64 v[0:1], s[22:23], v[17:18]
	v_mul_f64 v[2:3], s[20:21], v[17:18]
	v_lshlrev_b64 v[4:5], 4, v[4:5]
	v_cmp_ne_u32_e32 vcc_lo, 1, v6
	s_and_b32 vcc_lo, exec_lo, vcc_lo
	v_add_co_u32 v4, s1, v13, v4
	v_add_co_ci_u32_e64 v5, null, v14, v5, s1
	v_fma_f64 v[0:1], s[20:21], v[15:16], -v[0:1]
	v_fma_f64 v[2:3], s[22:23], v[15:16], v[2:3]
	s_cbranch_vccnz .LBB421_24
; %bb.23:
	flat_load_dwordx4 v[15:18], v[4:5]
	s_waitcnt vmcnt(0) lgkmcnt(0)
	v_mul_f64 v[20:21], s[16:17], v[17:18]
	v_mul_f64 v[17:18], s[14:15], v[17:18]
	v_fma_f64 v[20:21], s[14:15], v[15:16], -v[20:21]
	v_fma_f64 v[15:16], s[16:17], v[15:16], v[17:18]
	v_add_f64 v[0:1], v[0:1], v[20:21]
	v_add_f64 v[2:3], v[2:3], v[15:16]
.LBB421_24:
	flat_store_dwordx4 v[4:5], v[0:3]
.LBB421_25:
	s_or_b32 exec_lo, exec_lo, s2
	v_cmp_le_i32_e32 vcc_lo, v11, v19
	s_and_b32 s0, s0, vcc_lo
	s_and_saveexec_b32 s1, s0
	s_cbranch_execz .LBB421_30
; %bb.26:
	v_mul_f64 v[0:1], s[22:23], v[7:8]
	v_mul_f64 v[2:3], s[20:21], v[7:8]
	v_lshlrev_b64 v[4:5], 4, v[11:12]
	v_cmp_ne_u32_e32 vcc_lo, 1, v6
	s_and_b32 vcc_lo, exec_lo, vcc_lo
	v_add_co_u32 v4, s0, v13, v4
	v_add_co_ci_u32_e64 v5, null, v14, v5, s0
	v_fma_f64 v[0:1], s[20:21], v[9:10], -v[0:1]
	v_fma_f64 v[2:3], s[22:23], v[9:10], v[2:3]
	s_cbranch_vccnz .LBB421_28
; %bb.27:
	flat_load_dwordx4 v[6:9], v[4:5]
	s_waitcnt vmcnt(0) lgkmcnt(0)
	v_mul_f64 v[10:11], s[16:17], v[8:9]
	v_mul_f64 v[8:9], s[14:15], v[8:9]
	v_fma_f64 v[10:11], s[14:15], v[6:7], -v[10:11]
	v_fma_f64 v[6:7], s[16:17], v[6:7], v[8:9]
	v_add_f64 v[0:1], v[0:1], v[10:11]
	v_add_f64 v[2:3], v[2:3], v[6:7]
.LBB421_28:
	flat_store_dwordx4 v[4:5], v[0:3]
	s_endpgm
.LBB421_29:
.LBB421_30:
	s_endpgm
	.section	.rodata,"a",@progbits
	.p2align	6, 0x0
	.amdhsa_kernel _ZL29rocblas_internal_gemmt_kernelIiLi16ELi32ELi8ELc67ELc84ELc85ELb1ELb0E19rocblas_complex_numIdES1_PKPKS1_PKPS1_EviT_T9_T10_S9_lSB_S9_lSA_T11_S9_li
		.amdhsa_group_segment_fixed_size 8192
		.amdhsa_private_segment_fixed_size 0
		.amdhsa_kernarg_size 116
		.amdhsa_user_sgpr_count 6
		.amdhsa_user_sgpr_private_segment_buffer 1
		.amdhsa_user_sgpr_dispatch_ptr 0
		.amdhsa_user_sgpr_queue_ptr 0
		.amdhsa_user_sgpr_kernarg_segment_ptr 1
		.amdhsa_user_sgpr_dispatch_id 0
		.amdhsa_user_sgpr_flat_scratch_init 0
		.amdhsa_user_sgpr_private_segment_size 0
		.amdhsa_wavefront_size32 1
		.amdhsa_uses_dynamic_stack 0
		.amdhsa_system_sgpr_private_segment_wavefront_offset 0
		.amdhsa_system_sgpr_workgroup_id_x 1
		.amdhsa_system_sgpr_workgroup_id_y 1
		.amdhsa_system_sgpr_workgroup_id_z 1
		.amdhsa_system_sgpr_workgroup_info 0
		.amdhsa_system_vgpr_workitem_id 1
		.amdhsa_next_free_vgpr 127
		.amdhsa_next_free_sgpr 32
		.amdhsa_reserve_vcc 1
		.amdhsa_reserve_flat_scratch 0
		.amdhsa_float_round_mode_32 0
		.amdhsa_float_round_mode_16_64 0
		.amdhsa_float_denorm_mode_32 3
		.amdhsa_float_denorm_mode_16_64 3
		.amdhsa_dx10_clamp 1
		.amdhsa_ieee_mode 1
		.amdhsa_fp16_overflow 0
		.amdhsa_workgroup_processor_mode 1
		.amdhsa_memory_ordered 1
		.amdhsa_forward_progress 1
		.amdhsa_shared_vgpr_count 0
		.amdhsa_exception_fp_ieee_invalid_op 0
		.amdhsa_exception_fp_denorm_src 0
		.amdhsa_exception_fp_ieee_div_zero 0
		.amdhsa_exception_fp_ieee_overflow 0
		.amdhsa_exception_fp_ieee_underflow 0
		.amdhsa_exception_fp_ieee_inexact 0
		.amdhsa_exception_int_div_zero 0
	.end_amdhsa_kernel
	.section	.text._ZL29rocblas_internal_gemmt_kernelIiLi16ELi32ELi8ELc67ELc84ELc85ELb1ELb0E19rocblas_complex_numIdES1_PKPKS1_PKPS1_EviT_T9_T10_S9_lSB_S9_lSA_T11_S9_li,"axG",@progbits,_ZL29rocblas_internal_gemmt_kernelIiLi16ELi32ELi8ELc67ELc84ELc85ELb1ELb0E19rocblas_complex_numIdES1_PKPKS1_PKPS1_EviT_T9_T10_S9_lSB_S9_lSA_T11_S9_li,comdat
.Lfunc_end421:
	.size	_ZL29rocblas_internal_gemmt_kernelIiLi16ELi32ELi8ELc67ELc84ELc85ELb1ELb0E19rocblas_complex_numIdES1_PKPKS1_PKPS1_EviT_T9_T10_S9_lSB_S9_lSA_T11_S9_li, .Lfunc_end421-_ZL29rocblas_internal_gemmt_kernelIiLi16ELi32ELi8ELc67ELc84ELc85ELb1ELb0E19rocblas_complex_numIdES1_PKPKS1_PKPS1_EviT_T9_T10_S9_lSB_S9_lSA_T11_S9_li
                                        ; -- End function
	.set _ZL29rocblas_internal_gemmt_kernelIiLi16ELi32ELi8ELc67ELc84ELc85ELb1ELb0E19rocblas_complex_numIdES1_PKPKS1_PKPS1_EviT_T9_T10_S9_lSB_S9_lSA_T11_S9_li.num_vgpr, 127
	.set _ZL29rocblas_internal_gemmt_kernelIiLi16ELi32ELi8ELc67ELc84ELc85ELb1ELb0E19rocblas_complex_numIdES1_PKPKS1_PKPS1_EviT_T9_T10_S9_lSB_S9_lSA_T11_S9_li.num_agpr, 0
	.set _ZL29rocblas_internal_gemmt_kernelIiLi16ELi32ELi8ELc67ELc84ELc85ELb1ELb0E19rocblas_complex_numIdES1_PKPKS1_PKPS1_EviT_T9_T10_S9_lSB_S9_lSA_T11_S9_li.numbered_sgpr, 32
	.set _ZL29rocblas_internal_gemmt_kernelIiLi16ELi32ELi8ELc67ELc84ELc85ELb1ELb0E19rocblas_complex_numIdES1_PKPKS1_PKPS1_EviT_T9_T10_S9_lSB_S9_lSA_T11_S9_li.num_named_barrier, 0
	.set _ZL29rocblas_internal_gemmt_kernelIiLi16ELi32ELi8ELc67ELc84ELc85ELb1ELb0E19rocblas_complex_numIdES1_PKPKS1_PKPS1_EviT_T9_T10_S9_lSB_S9_lSA_T11_S9_li.private_seg_size, 0
	.set _ZL29rocblas_internal_gemmt_kernelIiLi16ELi32ELi8ELc67ELc84ELc85ELb1ELb0E19rocblas_complex_numIdES1_PKPKS1_PKPS1_EviT_T9_T10_S9_lSB_S9_lSA_T11_S9_li.uses_vcc, 1
	.set _ZL29rocblas_internal_gemmt_kernelIiLi16ELi32ELi8ELc67ELc84ELc85ELb1ELb0E19rocblas_complex_numIdES1_PKPKS1_PKPS1_EviT_T9_T10_S9_lSB_S9_lSA_T11_S9_li.uses_flat_scratch, 0
	.set _ZL29rocblas_internal_gemmt_kernelIiLi16ELi32ELi8ELc67ELc84ELc85ELb1ELb0E19rocblas_complex_numIdES1_PKPKS1_PKPS1_EviT_T9_T10_S9_lSB_S9_lSA_T11_S9_li.has_dyn_sized_stack, 0
	.set _ZL29rocblas_internal_gemmt_kernelIiLi16ELi32ELi8ELc67ELc84ELc85ELb1ELb0E19rocblas_complex_numIdES1_PKPKS1_PKPS1_EviT_T9_T10_S9_lSB_S9_lSA_T11_S9_li.has_recursion, 0
	.set _ZL29rocblas_internal_gemmt_kernelIiLi16ELi32ELi8ELc67ELc84ELc85ELb1ELb0E19rocblas_complex_numIdES1_PKPKS1_PKPS1_EviT_T9_T10_S9_lSB_S9_lSA_T11_S9_li.has_indirect_call, 0
	.section	.AMDGPU.csdata,"",@progbits
; Kernel info:
; codeLenInByte = 3532
; TotalNumSgprs: 34
; NumVgprs: 127
; ScratchSize: 0
; MemoryBound: 1
; FloatMode: 240
; IeeeMode: 1
; LDSByteSize: 8192 bytes/workgroup (compile time only)
; SGPRBlocks: 0
; VGPRBlocks: 15
; NumSGPRsForWavesPerEU: 34
; NumVGPRsForWavesPerEU: 127
; Occupancy: 8
; WaveLimiterHint : 1
; COMPUTE_PGM_RSRC2:SCRATCH_EN: 0
; COMPUTE_PGM_RSRC2:USER_SGPR: 6
; COMPUTE_PGM_RSRC2:TRAP_HANDLER: 0
; COMPUTE_PGM_RSRC2:TGID_X_EN: 1
; COMPUTE_PGM_RSRC2:TGID_Y_EN: 1
; COMPUTE_PGM_RSRC2:TGID_Z_EN: 1
; COMPUTE_PGM_RSRC2:TIDIG_COMP_CNT: 1
	.section	.text._ZL29rocblas_internal_gemmt_kernelIiLi16ELi32ELi8ELc67ELc67ELc85ELb1ELb1E19rocblas_complex_numIdES1_PKPKS1_PKPS1_EviT_T9_T10_S9_lSB_S9_lSA_T11_S9_li,"axG",@progbits,_ZL29rocblas_internal_gemmt_kernelIiLi16ELi32ELi8ELc67ELc67ELc85ELb1ELb1E19rocblas_complex_numIdES1_PKPKS1_PKPS1_EviT_T9_T10_S9_lSB_S9_lSA_T11_S9_li,comdat
	.globl	_ZL29rocblas_internal_gemmt_kernelIiLi16ELi32ELi8ELc67ELc67ELc85ELb1ELb1E19rocblas_complex_numIdES1_PKPKS1_PKPS1_EviT_T9_T10_S9_lSB_S9_lSA_T11_S9_li ; -- Begin function _ZL29rocblas_internal_gemmt_kernelIiLi16ELi32ELi8ELc67ELc67ELc85ELb1ELb1E19rocblas_complex_numIdES1_PKPKS1_PKPS1_EviT_T9_T10_S9_lSB_S9_lSA_T11_S9_li
	.p2align	8
	.type	_ZL29rocblas_internal_gemmt_kernelIiLi16ELi32ELi8ELc67ELc67ELc85ELb1ELb1E19rocblas_complex_numIdES1_PKPKS1_PKPS1_EviT_T9_T10_S9_lSB_S9_lSA_T11_S9_li,@function
_ZL29rocblas_internal_gemmt_kernelIiLi16ELi32ELi8ELc67ELc67ELc85ELb1ELb1E19rocblas_complex_numIdES1_PKPKS1_PKPS1_EviT_T9_T10_S9_lSB_S9_lSA_T11_S9_li: ; @_ZL29rocblas_internal_gemmt_kernelIiLi16ELi32ELi8ELc67ELc67ELc85ELb1ELb1E19rocblas_complex_numIdES1_PKPKS1_PKPS1_EviT_T9_T10_S9_lSB_S9_lSA_T11_S9_li
; %bb.0:
	s_clause 0x2
	s_load_dwordx8 s[12:19], s[4:5], 0x40
	s_load_dwordx2 s[2:3], s[4:5], 0x0
	s_load_dwordx4 s[20:23], s[4:5], 0x8
	s_waitcnt lgkmcnt(0)
	v_cmp_eq_f64_e64 s0, s[14:15], 1.0
	v_cmp_eq_f64_e64 s30, s[16:17], 0
	s_and_b32 s0, s0, s30
	s_andn2_b32 vcc_lo, exec_lo, s0
	s_mov_b32 s0, -1
	s_cbranch_vccnz .LBB422_3
; %bb.1:
	s_cmp_lg_u32 s3, 0
	s_cbranch_scc0 .LBB422_27
; %bb.2:
	v_cmp_neq_f64_e64 s0, s[20:21], 0
	v_cmp_neq_f64_e64 s1, s[22:23], 0
	s_or_b32 s0, s0, s1
.LBB422_3:
	s_and_b32 vcc_lo, exec_lo, s0
	s_cbranch_vccz .LBB422_28
; %bb.4:
	v_cmp_eq_f64_e64 s24, s[20:21], 0
	v_cmp_eq_f64_e64 s25, s[22:23], 0
	s_mov_b32 s9, 0
	v_mov_b32_e32 v26, 0
	s_lshl_b64 s[28:29], s[8:9], 3
	v_mov_b32_e32 v28, 0
	s_add_u32 s0, s18, s28
	s_addc_u32 s1, s19, s29
	s_lshl_b32 s8, s6, 5
	s_load_dwordx2 s[10:11], s[0:1], 0x0
	s_lshl_b32 s18, s7, 5
	v_mov_b32_e32 v22, 0
	v_mov_b32_e32 v24, 0
	v_mov_b32_e32 v16, 0
	v_mov_b32_e32 v18, 0
	v_mov_b32_e32 v12, 0
	v_mov_b32_e32 v10, 0
	v_mov_b32_e32 v27, 0
	v_mov_b32_e32 v29, 0
	v_mov_b32_e32 v23, 0
	v_mov_b32_e32 v25, 0
	v_mov_b32_e32 v17, 0
	v_mov_b32_e32 v19, 0
	s_and_b32 s0, s24, s25
	s_cmp_lt_i32 s3, 1
	v_mov_b32_e32 v13, 0
	s_cselect_b32 s1, -1, 0
	v_mov_b32_e32 v11, 0
	s_or_b32 s0, s0, s1
	s_and_b32 vcc_lo, exec_lo, s0
	s_cbranch_vccnz .LBB422_11
; %bb.5:
	s_clause 0x3
	s_load_dword s6, s[4:5], 0x38
	s_load_dword s1, s[4:5], 0x20
	s_load_dwordx4 s[24:27], s[4:5], 0x28
	s_load_dwordx2 s[34:35], s[4:5], 0x18
	v_lshl_add_u32 v2, v1, 4, v0
	v_and_b32_e32 v30, 7, v0
	v_mov_b32_e32 v12, 0
	v_mov_b32_e32 v18, 0
	;; [unrolled: 1-line block ×3, first 2 shown]
	v_and_b32_e32 v3, 31, v2
	v_lshrrev_b32_e32 v4, 3, v2
	v_lshlrev_b32_e32 v5, 4, v30
	v_lshrrev_b32_e32 v31, 5, v2
	v_mov_b32_e32 v24, 0
	v_or_b32_e32 v6, s8, v3
	v_lshlrev_b32_e32 v7, 4, v3
	v_add_nc_u32_e32 v3, s8, v3
	v_add_nc_u32_e32 v2, s18, v4
	v_lshl_or_b32 v8, v4, 7, v5
	v_cmp_gt_i32_e32 vcc_lo, s2, v6
	v_lshl_or_b32 v32, v31, 9, v7
	s_waitcnt lgkmcnt(0)
	v_mad_i64_i32 v[4:5], null, s1, v3, 0
	s_ashr_i32 s7, s6, 31
	s_add_u32 s26, s26, s28
	s_addc_u32 s27, s27, s29
	s_add_u32 s28, s34, s28
	s_addc_u32 s29, s35, s29
	s_load_dwordx2 s[26:27], s[26:27], 0x0
	s_load_dwordx2 s[28:29], s[28:29], 0x0
	v_lshlrev_b64 v[4:5], 4, v[4:5]
	v_mad_i64_i32 v[6:7], null, s6, v30, 0
	s_lshl_b64 s[24:25], s[24:25], 4
	v_add_nc_u32_e32 v33, 0x1000, v8
	v_lshlrev_b32_e32 v8, 4, v31
	v_add_co_u32 v9, s1, v4, s24
	v_ashrrev_i32_e32 v3, 31, v2
	v_add_co_ci_u32_e64 v10, null, s25, v5, s1
	v_lshlrev_b64 v[4:5], 4, v[6:7]
	v_add_co_u32 v6, s1, v9, v8
	s_lshl_b64 s[12:13], s[12:13], 4
	v_cmp_gt_i32_e64 s0, s2, v2
	v_lshlrev_b64 v[2:3], 4, v[2:3]
	v_add_co_ci_u32_e64 v7, null, 0, v10, s1
	v_add_co_u32 v4, s1, v4, s12
	v_add_co_ci_u32_e64 v5, null, s13, v5, s1
	s_waitcnt lgkmcnt(0)
	v_add_co_u32 v14, s1, s28, v6
	v_add_co_ci_u32_e64 v15, null, s29, v7, s1
	v_add_co_u32 v2, s1, v4, v2
	v_add_co_ci_u32_e64 v3, null, v5, v3, s1
	v_mov_b32_e32 v10, 0
	v_add_co_u32 v20, s1, s26, v2
	v_mov_b32_e32 v22, 0
	v_mov_b32_e32 v28, 0
	;; [unrolled: 1-line block ×3, first 2 shown]
	v_lshlrev_b32_e32 v34, 4, v0
	v_lshl_add_u32 v35, v1, 7, 0x1000
	v_mov_b32_e32 v11, 0
	v_mov_b32_e32 v13, 0
	;; [unrolled: 1-line block ×8, first 2 shown]
	v_add_co_ci_u32_e64 v21, null, s27, v3, s1
	s_lshl_b64 s[6:7], s[6:7], 7
	s_branch .LBB422_7
.LBB422_6:                              ;   in Loop: Header=BB422_7 Depth=1
	s_or_b32 exec_lo, exec_lo, s1
	ds_write_b128 v33, v[6:9]
	s_waitcnt lgkmcnt(0)
	s_barrier
	buffer_gl0_inv
	ds_read_b128 v[2:5], v35
	ds_read_b128 v[6:9], v34
	ds_read_b128 v[36:39], v34 offset:256
	ds_read_b128 v[40:43], v35 offset:2048
	;; [unrolled: 1-line block ×12, first 2 shown]
	v_add_co_u32 v14, s1, 0x80, v14
	v_add_co_ci_u32_e64 v15, null, 0, v15, s1
	v_add_co_u32 v20, s1, v20, s6
	v_add_co_ci_u32_e64 v21, null, s7, v21, s1
	s_waitcnt lgkmcnt(12)
	v_mul_f64 v[84:85], v[4:5], v[8:9]
	v_mul_f64 v[86:87], v[2:3], v[8:9]
	s_waitcnt lgkmcnt(11)
	v_mul_f64 v[88:89], v[4:5], v[38:39]
	v_mul_f64 v[90:91], v[2:3], v[38:39]
	;; [unrolled: 3-line block ×3, first 2 shown]
	v_mul_f64 v[94:95], v[42:43], v[38:39]
	v_mul_f64 v[38:39], v[40:41], v[38:39]
	s_waitcnt lgkmcnt(8)
	v_mul_f64 v[96:97], v[46:47], v[50:51]
	v_mul_f64 v[98:99], v[44:45], v[50:51]
	s_waitcnt lgkmcnt(7)
	;; [unrolled: 3-line block ×3, first 2 shown]
	v_mul_f64 v[104:105], v[58:59], v[50:51]
	v_mul_f64 v[50:51], v[56:57], v[50:51]
	;; [unrolled: 1-line block ×4, first 2 shown]
	s_waitcnt lgkmcnt(4)
	v_mul_f64 v[108:109], v[62:63], v[66:67]
	v_mul_f64 v[110:111], v[60:61], v[66:67]
	s_waitcnt lgkmcnt(3)
	v_mul_f64 v[112:113], v[62:63], v[70:71]
	v_mul_f64 v[114:115], v[60:61], v[70:71]
	;; [unrolled: 3-line block ×3, first 2 shown]
	v_fma_f64 v[84:85], v[2:3], v[6:7], -v[84:85]
	v_fma_f64 v[86:87], v[4:5], v[6:7], v[86:87]
	v_fma_f64 v[88:89], v[2:3], v[36:37], -v[88:89]
	v_fma_f64 v[90:91], v[4:5], v[36:37], v[90:91]
	;; [unrolled: 2-line block ×4, first 2 shown]
	v_mul_f64 v[122:123], v[74:75], v[70:71]
	v_mul_f64 v[70:71], v[72:73], v[70:71]
	ds_read_b128 v[2:5], v34 offset:1536
	ds_read_b128 v[6:9], v34 offset:1792
	v_fma_f64 v[96:97], v[44:45], v[48:49], -v[96:97]
	v_fma_f64 v[98:99], v[46:47], v[48:49], v[98:99]
	v_fma_f64 v[100:101], v[44:45], v[52:53], -v[100:101]
	v_fma_f64 v[102:103], v[46:47], v[52:53], v[102:103]
	;; [unrolled: 2-line block ×7, first 2 shown]
	v_add_f64 v[26:27], v[26:27], v[84:85]
	v_add_f64 v[28:29], v[86:87], v[28:29]
	;; [unrolled: 1-line block ×4, first 2 shown]
	s_waitcnt lgkmcnt(1)
	v_mul_f64 v[108:109], v[78:79], v[4:5]
	v_mul_f64 v[110:111], v[76:77], v[4:5]
	s_waitcnt lgkmcnt(0)
	v_mul_f64 v[66:67], v[78:79], v[8:9]
	v_fma_f64 v[72:73], v[72:73], v[68:69], -v[122:123]
	v_mul_f64 v[114:115], v[82:83], v[4:5]
	v_mul_f64 v[4:5], v[80:81], v[4:5]
	v_fma_f64 v[68:69], v[74:75], v[68:69], v[70:71]
	v_add_f64 v[70:71], v[16:17], v[92:93]
	v_add_f64 v[74:75], v[118:119], v[18:19]
	v_add_f64 v[12:13], v[12:13], v[94:95]
	v_add_f64 v[84:85], v[120:121], v[10:11]
	ds_read_b128 v[36:39], v35 offset:64
	ds_read_b128 v[40:43], v34 offset:2048
	;; [unrolled: 1-line block ×3, first 2 shown]
	v_mul_f64 v[112:113], v[76:77], v[8:9]
	v_mul_f64 v[86:87], v[82:83], v[8:9]
	;; [unrolled: 1-line block ×3, first 2 shown]
	ds_read_b128 v[48:51], v35 offset:2112
	ds_read_b128 v[16:19], v35 offset:2128
	v_add_f64 v[26:27], v[26:27], v[96:97]
	v_add_f64 v[28:29], v[98:99], v[28:29]
	;; [unrolled: 1-line block ×4, first 2 shown]
	v_fma_f64 v[88:89], v[76:77], v[2:3], -v[108:109]
	v_fma_f64 v[90:91], v[78:79], v[2:3], v[110:111]
	v_fma_f64 v[66:67], v[76:77], v[6:7], -v[66:67]
	ds_read_b128 v[8:11], v35 offset:80
	ds_read_b128 v[22:25], v34 offset:2816
	s_add_i32 s9, s9, 8
	v_add_f64 v[70:71], v[70:71], v[104:105]
	v_add_f64 v[74:75], v[124:125], v[74:75]
	s_waitcnt lgkmcnt(5)
	v_mul_f64 v[76:77], v[38:39], v[42:43]
	v_mul_f64 v[94:95], v[36:37], v[42:43]
	v_add_f64 v[12:13], v[12:13], v[56:57]
	v_add_f64 v[52:53], v[52:53], v[84:85]
	v_fma_f64 v[56:57], v[80:81], v[2:3], -v[114:115]
	v_fma_f64 v[84:85], v[82:83], v[2:3], v[4:5]
	ds_read_b128 v[2:5], v34 offset:2560
	s_waitcnt lgkmcnt(5)
	v_mul_f64 v[108:109], v[38:39], v[46:47]
	v_mul_f64 v[110:111], v[36:37], v[46:47]
	v_fma_f64 v[78:79], v[78:79], v[6:7], v[112:113]
	s_waitcnt lgkmcnt(4)
	v_mul_f64 v[112:113], v[50:51], v[42:43]
	v_mul_f64 v[42:43], v[48:49], v[42:43]
	v_fma_f64 v[80:81], v[80:81], v[6:7], -v[86:87]
	v_fma_f64 v[82:83], v[82:83], v[6:7], v[92:93]
	v_add_f64 v[54:55], v[26:27], v[54:55]
	v_add_f64 v[28:29], v[58:59], v[28:29]
	;; [unrolled: 1-line block ×4, first 2 shown]
	s_waitcnt lgkmcnt(1)
	v_mul_f64 v[102:103], v[18:19], v[24:25]
	v_mul_f64 v[104:105], v[16:17], v[24:25]
	v_add_f64 v[62:63], v[70:71], v[106:107]
	v_add_f64 v[64:65], v[64:65], v[74:75]
	v_fma_f64 v[76:77], v[36:37], v[40:41], -v[76:77]
	v_fma_f64 v[86:87], v[38:39], v[40:41], v[94:95]
	v_add_f64 v[12:13], v[12:13], v[72:73]
	v_add_f64 v[52:53], v[68:69], v[52:53]
	s_waitcnt lgkmcnt(0)
	v_mul_f64 v[68:69], v[10:11], v[4:5]
	v_mul_f64 v[70:71], v[8:9], v[4:5]
	;; [unrolled: 1-line block ×3, first 2 shown]
	v_fma_f64 v[92:93], v[36:37], v[44:45], -v[108:109]
	v_fma_f64 v[94:95], v[38:39], v[44:45], v[110:111]
	v_mul_f64 v[36:37], v[50:51], v[46:47]
	v_mul_f64 v[38:39], v[48:49], v[46:47]
	v_fma_f64 v[46:47], v[48:49], v[40:41], -v[112:113]
	v_fma_f64 v[100:101], v[50:51], v[40:41], v[42:43]
	v_mul_f64 v[74:75], v[8:9], v[24:25]
	v_mul_f64 v[96:97], v[18:19], v[4:5]
	;; [unrolled: 1-line block ×3, first 2 shown]
	v_add_f64 v[28:29], v[90:91], v[28:29]
	ds_read_b128 v[4:7], v35 offset:96
	ds_read_b128 v[24:27], v34 offset:3072
	s_cmp_lt_i32 s9, s3
	v_add_f64 v[56:57], v[62:63], v[56:57]
	v_add_f64 v[12:13], v[12:13], v[80:81]
	;; [unrolled: 1-line block ×3, first 2 shown]
	v_fma_f64 v[62:63], v[8:9], v[2:3], -v[68:69]
	v_fma_f64 v[48:49], v[48:49], v[44:45], -v[36:37]
	v_fma_f64 v[44:45], v[50:51], v[44:45], v[38:39]
	v_add_f64 v[50:51], v[54:55], v[88:89]
	v_add_f64 v[54:55], v[58:59], v[66:67]
	;; [unrolled: 1-line block ×4, first 2 shown]
	ds_read_b128 v[36:39], v34 offset:3328
	ds_read_b128 v[40:43], v35 offset:2144
	v_fma_f64 v[64:65], v[10:11], v[2:3], v[70:71]
	v_fma_f64 v[66:67], v[8:9], v[22:23], -v[72:73]
	v_fma_f64 v[68:69], v[10:11], v[22:23], v[74:75]
	v_fma_f64 v[70:71], v[16:17], v[2:3], -v[96:97]
	;; [unrolled: 2-line block ×3, first 2 shown]
	s_waitcnt lgkmcnt(2)
	v_mul_f64 v[74:75], v[6:7], v[26:27]
	v_fma_f64 v[22:23], v[18:19], v[22:23], v[104:105]
	v_mul_f64 v[78:79], v[4:5], v[26:27]
	v_add_f64 v[56:57], v[56:57], v[46:47]
	ds_read_b128 v[8:11], v35 offset:112
	ds_read_b128 v[16:19], v35 offset:2160
	v_add_f64 v[12:13], v[12:13], v[48:49]
	v_add_f64 v[48:49], v[44:45], v[52:53]
	;; [unrolled: 1-line block ×3, first 2 shown]
	s_waitcnt lgkmcnt(3)
	v_mul_f64 v[80:81], v[6:7], v[38:39]
	v_mul_f64 v[82:83], v[4:5], v[38:39]
	s_waitcnt lgkmcnt(2)
	v_mul_f64 v[84:85], v[42:43], v[26:27]
	v_mul_f64 v[88:89], v[40:41], v[26:27]
	v_add_f64 v[76:77], v[86:87], v[28:29]
	v_add_f64 v[54:55], v[54:55], v[92:93]
	;; [unrolled: 1-line block ×4, first 2 shown]
	v_mul_f64 v[52:53], v[42:43], v[38:39]
	v_mul_f64 v[38:39], v[40:41], v[38:39]
	ds_read_b128 v[26:29], v34 offset:3584
	ds_read_b128 v[44:47], v34 offset:3840
	v_fma_f64 v[74:75], v[4:5], v[24:25], -v[74:75]
	v_fma_f64 v[78:79], v[6:7], v[24:25], v[78:79]
	v_add_f64 v[56:57], v[56:57], v[70:71]
	s_waitcnt lgkmcnt(0)
	s_barrier
	buffer_gl0_inv
	v_add_f64 v[12:13], v[12:13], v[72:73]
	v_add_f64 v[22:23], v[22:23], v[48:49]
	;; [unrolled: 1-line block ×3, first 2 shown]
	v_fma_f64 v[4:5], v[4:5], v[36:37], -v[80:81]
	v_fma_f64 v[6:7], v[6:7], v[36:37], v[82:83]
	v_fma_f64 v[80:81], v[40:41], v[24:25], -v[84:85]
	v_fma_f64 v[24:25], v[42:43], v[24:25], v[88:89]
	v_add_f64 v[62:63], v[64:65], v[76:77]
	v_add_f64 v[54:55], v[54:55], v[66:67]
	;; [unrolled: 1-line block ×4, first 2 shown]
	v_fma_f64 v[40:41], v[40:41], v[36:37], -v[52:53]
	v_fma_f64 v[36:37], v[42:43], v[36:37], v[38:39]
	v_mul_f64 v[38:39], v[10:11], v[28:29]
	v_mul_f64 v[42:43], v[8:9], v[28:29]
	v_mul_f64 v[48:49], v[10:11], v[46:47]
	v_mul_f64 v[52:53], v[8:9], v[46:47]
	v_mul_f64 v[60:61], v[18:19], v[28:29]
	v_mul_f64 v[28:29], v[16:17], v[28:29]
	v_mul_f64 v[64:65], v[18:19], v[46:47]
	v_mul_f64 v[46:47], v[16:17], v[46:47]
	v_add_f64 v[50:51], v[50:51], v[74:75]
	v_add_f64 v[62:63], v[78:79], v[62:63]
	;; [unrolled: 1-line block ×8, first 2 shown]
	v_fma_f64 v[22:23], v[8:9], v[26:27], -v[38:39]
	v_fma_f64 v[24:25], v[10:11], v[26:27], v[42:43]
	v_fma_f64 v[8:9], v[8:9], v[44:45], -v[48:49]
	v_fma_f64 v[10:11], v[10:11], v[44:45], v[52:53]
	v_fma_f64 v[38:39], v[16:17], v[26:27], -v[60:61]
	v_fma_f64 v[40:41], v[18:19], v[26:27], v[28:29]
	v_fma_f64 v[42:43], v[16:17], v[44:45], -v[64:65]
	v_fma_f64 v[44:45], v[18:19], v[44:45], v[46:47]
	v_add_f64 v[26:27], v[50:51], v[22:23]
	v_add_f64 v[28:29], v[24:25], v[62:63]
	;; [unrolled: 1-line block ×8, first 2 shown]
	s_cbranch_scc0 .LBB422_11
.LBB422_7:                              ; =>This Inner Loop Header: Depth=1
	v_add_nc_u32_e32 v2, s9, v31
	v_mov_b32_e32 v4, 0
	v_mov_b32_e32 v5, 0
	v_cmp_gt_i32_e64 s1, s3, v2
	v_mov_b32_e32 v2, 0
	v_mov_b32_e32 v3, 0
	s_and_b32 s12, vcc_lo, s1
	s_and_saveexec_b32 s1, s12
	s_cbranch_execz .LBB422_9
; %bb.8:                                ;   in Loop: Header=BB422_7 Depth=1
	flat_load_dwordx4 v[2:5], v[14:15]
	s_waitcnt vmcnt(0) lgkmcnt(0)
	v_xor_b32_e32 v5, 0x80000000, v5
.LBB422_9:                              ;   in Loop: Header=BB422_7 Depth=1
	s_or_b32 exec_lo, exec_lo, s1
	v_add_nc_u32_e32 v6, s9, v30
	v_mov_b32_e32 v8, 0
	v_mov_b32_e32 v9, 0
	ds_write_b128 v32, v[2:5]
	v_cmp_gt_i32_e64 s1, s3, v6
	v_mov_b32_e32 v6, 0
	v_mov_b32_e32 v7, 0
	s_and_b32 s12, s1, s0
	s_and_saveexec_b32 s1, s12
	s_cbranch_execz .LBB422_6
; %bb.10:                               ;   in Loop: Header=BB422_7 Depth=1
	flat_load_dwordx4 v[6:9], v[20:21]
	s_waitcnt vmcnt(0) lgkmcnt(0)
	v_xor_b32_e32 v9, 0x80000000, v9
	s_branch .LBB422_6
.LBB422_11:
	s_clause 0x1
	s_load_dword s3, s[4:5], 0x60
	s_load_dwordx2 s[4:5], s[4:5], 0x68
	v_cmp_neq_f64_e64 s6, s[14:15], 0
	v_add_nc_u32_e32 v15, s18, v1
	v_add_nc_u32_e32 v4, s8, v0
	v_cmp_gt_i32_e64 s0, s2, v15
	v_cmp_le_i32_e32 vcc_lo, v4, v15
	v_ashrrev_i32_e32 v5, 31, v4
	s_waitcnt lgkmcnt(0)
	v_mad_i64_i32 v[1:2], null, v15, s3, 0
	s_lshl_b64 s[4:5], s[4:5], 4
	s_add_u32 s4, s10, s4
	s_addc_u32 s5, s11, s5
	s_xor_b32 s7, s30, -1
	s_or_b32 s6, s6, s7
	v_lshlrev_b64 v[0:1], 4, v[1:2]
	v_cndmask_b32_e64 v14, 0, 1, s6
	s_and_b32 s7, s0, vcc_lo
	v_add_co_u32 v8, s1, s4, v0
	v_add_co_ci_u32_e64 v9, null, s5, v1, s1
	s_and_saveexec_b32 s1, s7
	s_cbranch_execz .LBB422_15
; %bb.12:
	v_mul_f64 v[0:1], s[22:23], v[28:29]
	v_mul_f64 v[2:3], s[20:21], v[28:29]
	v_lshlrev_b64 v[6:7], 4, v[4:5]
	v_add_co_u32 v6, vcc_lo, v8, v6
	v_add_co_ci_u32_e64 v7, null, v9, v7, vcc_lo
	s_andn2_b32 vcc_lo, exec_lo, s6
	v_fma_f64 v[0:1], s[20:21], v[26:27], -v[0:1]
	v_fma_f64 v[2:3], s[22:23], v[26:27], v[2:3]
	s_cbranch_vccnz .LBB422_14
; %bb.13:
	flat_load_dwordx4 v[26:29], v[6:7]
	s_waitcnt vmcnt(0) lgkmcnt(0)
	v_mul_f64 v[20:21], s[16:17], v[28:29]
	v_mul_f64 v[28:29], s[14:15], v[28:29]
	v_fma_f64 v[20:21], s[14:15], v[26:27], -v[20:21]
	v_fma_f64 v[26:27], s[16:17], v[26:27], v[28:29]
	v_add_f64 v[0:1], v[0:1], v[20:21]
	v_add_f64 v[2:3], v[2:3], v[26:27]
.LBB422_14:
	flat_store_dwordx4 v[6:7], v[0:3]
.LBB422_15:
	s_or_b32 exec_lo, exec_lo, s1
	v_add_nc_u32_e32 v6, 16, v4
	v_cmp_le_i32_e32 vcc_lo, v6, v15
	v_ashrrev_i32_e32 v7, 31, v6
	s_and_b32 s0, s0, vcc_lo
	s_and_saveexec_b32 s1, s0
	s_cbranch_execz .LBB422_19
; %bb.16:
	v_mul_f64 v[0:1], s[22:23], v[24:25]
	v_mul_f64 v[2:3], s[20:21], v[24:25]
	v_lshlrev_b64 v[20:21], 4, v[6:7]
	v_cmp_ne_u32_e32 vcc_lo, 1, v14
	s_and_b32 vcc_lo, exec_lo, vcc_lo
	v_add_co_u32 v8, s0, v8, v20
	v_add_co_ci_u32_e64 v9, null, v9, v21, s0
	v_fma_f64 v[0:1], s[20:21], v[22:23], -v[0:1]
	v_fma_f64 v[2:3], s[22:23], v[22:23], v[2:3]
	s_cbranch_vccnz .LBB422_18
; %bb.17:
	flat_load_dwordx4 v[20:23], v[8:9]
	s_waitcnt vmcnt(0) lgkmcnt(0)
	v_mul_f64 v[24:25], s[16:17], v[22:23]
	v_mul_f64 v[22:23], s[14:15], v[22:23]
	v_fma_f64 v[24:25], s[14:15], v[20:21], -v[24:25]
	v_fma_f64 v[20:21], s[16:17], v[20:21], v[22:23]
	v_add_f64 v[0:1], v[0:1], v[24:25]
	v_add_f64 v[2:3], v[2:3], v[20:21]
.LBB422_18:
	flat_store_dwordx4 v[8:9], v[0:3]
.LBB422_19:
	s_or_b32 exec_lo, exec_lo, s1
	v_add_nc_u32_e32 v15, 16, v15
	v_mad_i64_i32 v[0:1], null, v15, s3, 0
	v_cmp_gt_i32_e64 s0, s2, v15
	v_cmp_le_i32_e32 vcc_lo, v4, v15
	v_lshlrev_b64 v[0:1], 4, v[0:1]
	v_add_co_u32 v8, s1, s4, v0
	v_add_co_ci_u32_e64 v9, null, s5, v1, s1
	s_and_b32 s1, s0, vcc_lo
	s_and_saveexec_b32 s2, s1
	s_cbranch_execz .LBB422_23
; %bb.20:
	v_mul_f64 v[0:1], s[22:23], v[18:19]
	v_mul_f64 v[2:3], s[20:21], v[18:19]
	v_lshlrev_b64 v[4:5], 4, v[4:5]
	v_cmp_ne_u32_e32 vcc_lo, 1, v14
	s_and_b32 vcc_lo, exec_lo, vcc_lo
	v_add_co_u32 v4, s1, v8, v4
	v_add_co_ci_u32_e64 v5, null, v9, v5, s1
	v_fma_f64 v[0:1], s[20:21], v[16:17], -v[0:1]
	v_fma_f64 v[2:3], s[22:23], v[16:17], v[2:3]
	s_cbranch_vccnz .LBB422_22
; %bb.21:
	flat_load_dwordx4 v[16:19], v[4:5]
	s_waitcnt vmcnt(0) lgkmcnt(0)
	v_mul_f64 v[20:21], s[16:17], v[18:19]
	v_mul_f64 v[18:19], s[14:15], v[18:19]
	v_fma_f64 v[20:21], s[14:15], v[16:17], -v[20:21]
	v_fma_f64 v[16:17], s[16:17], v[16:17], v[18:19]
	v_add_f64 v[0:1], v[0:1], v[20:21]
	v_add_f64 v[2:3], v[2:3], v[16:17]
.LBB422_22:
	flat_store_dwordx4 v[4:5], v[0:3]
.LBB422_23:
	s_or_b32 exec_lo, exec_lo, s2
	v_cmp_le_i32_e32 vcc_lo, v6, v15
	s_and_b32 s0, s0, vcc_lo
	s_and_saveexec_b32 s1, s0
	s_cbranch_execz .LBB422_28
; %bb.24:
	v_mul_f64 v[0:1], s[22:23], v[10:11]
	v_mul_f64 v[2:3], s[20:21], v[10:11]
	v_lshlrev_b64 v[4:5], 4, v[6:7]
	v_cmp_ne_u32_e32 vcc_lo, 1, v14
	s_and_b32 vcc_lo, exec_lo, vcc_lo
	v_add_co_u32 v4, s0, v8, v4
	v_add_co_ci_u32_e64 v5, null, v9, v5, s0
	v_fma_f64 v[0:1], s[20:21], v[12:13], -v[0:1]
	v_fma_f64 v[2:3], s[22:23], v[12:13], v[2:3]
	s_cbranch_vccnz .LBB422_26
; %bb.25:
	flat_load_dwordx4 v[6:9], v[4:5]
	s_waitcnt vmcnt(0) lgkmcnt(0)
	v_mul_f64 v[10:11], s[16:17], v[8:9]
	v_mul_f64 v[8:9], s[14:15], v[8:9]
	v_fma_f64 v[10:11], s[14:15], v[6:7], -v[10:11]
	v_fma_f64 v[6:7], s[16:17], v[6:7], v[8:9]
	v_add_f64 v[0:1], v[0:1], v[10:11]
	v_add_f64 v[2:3], v[2:3], v[6:7]
.LBB422_26:
	flat_store_dwordx4 v[4:5], v[0:3]
	s_endpgm
.LBB422_27:
.LBB422_28:
	s_endpgm
	.section	.rodata,"a",@progbits
	.p2align	6, 0x0
	.amdhsa_kernel _ZL29rocblas_internal_gemmt_kernelIiLi16ELi32ELi8ELc67ELc67ELc85ELb1ELb1E19rocblas_complex_numIdES1_PKPKS1_PKPS1_EviT_T9_T10_S9_lSB_S9_lSA_T11_S9_li
		.amdhsa_group_segment_fixed_size 8192
		.amdhsa_private_segment_fixed_size 0
		.amdhsa_kernarg_size 116
		.amdhsa_user_sgpr_count 6
		.amdhsa_user_sgpr_private_segment_buffer 1
		.amdhsa_user_sgpr_dispatch_ptr 0
		.amdhsa_user_sgpr_queue_ptr 0
		.amdhsa_user_sgpr_kernarg_segment_ptr 1
		.amdhsa_user_sgpr_dispatch_id 0
		.amdhsa_user_sgpr_flat_scratch_init 0
		.amdhsa_user_sgpr_private_segment_size 0
		.amdhsa_wavefront_size32 1
		.amdhsa_uses_dynamic_stack 0
		.amdhsa_system_sgpr_private_segment_wavefront_offset 0
		.amdhsa_system_sgpr_workgroup_id_x 1
		.amdhsa_system_sgpr_workgroup_id_y 1
		.amdhsa_system_sgpr_workgroup_id_z 1
		.amdhsa_system_sgpr_workgroup_info 0
		.amdhsa_system_vgpr_workitem_id 1
		.amdhsa_next_free_vgpr 126
		.amdhsa_next_free_sgpr 36
		.amdhsa_reserve_vcc 1
		.amdhsa_reserve_flat_scratch 0
		.amdhsa_float_round_mode_32 0
		.amdhsa_float_round_mode_16_64 0
		.amdhsa_float_denorm_mode_32 3
		.amdhsa_float_denorm_mode_16_64 3
		.amdhsa_dx10_clamp 1
		.amdhsa_ieee_mode 1
		.amdhsa_fp16_overflow 0
		.amdhsa_workgroup_processor_mode 1
		.amdhsa_memory_ordered 1
		.amdhsa_forward_progress 1
		.amdhsa_shared_vgpr_count 0
		.amdhsa_exception_fp_ieee_invalid_op 0
		.amdhsa_exception_fp_denorm_src 0
		.amdhsa_exception_fp_ieee_div_zero 0
		.amdhsa_exception_fp_ieee_overflow 0
		.amdhsa_exception_fp_ieee_underflow 0
		.amdhsa_exception_fp_ieee_inexact 0
		.amdhsa_exception_int_div_zero 0
	.end_amdhsa_kernel
	.section	.text._ZL29rocblas_internal_gemmt_kernelIiLi16ELi32ELi8ELc67ELc67ELc85ELb1ELb1E19rocblas_complex_numIdES1_PKPKS1_PKPS1_EviT_T9_T10_S9_lSB_S9_lSA_T11_S9_li,"axG",@progbits,_ZL29rocblas_internal_gemmt_kernelIiLi16ELi32ELi8ELc67ELc67ELc85ELb1ELb1E19rocblas_complex_numIdES1_PKPKS1_PKPS1_EviT_T9_T10_S9_lSB_S9_lSA_T11_S9_li,comdat
.Lfunc_end422:
	.size	_ZL29rocblas_internal_gemmt_kernelIiLi16ELi32ELi8ELc67ELc67ELc85ELb1ELb1E19rocblas_complex_numIdES1_PKPKS1_PKPS1_EviT_T9_T10_S9_lSB_S9_lSA_T11_S9_li, .Lfunc_end422-_ZL29rocblas_internal_gemmt_kernelIiLi16ELi32ELi8ELc67ELc67ELc85ELb1ELb1E19rocblas_complex_numIdES1_PKPKS1_PKPS1_EviT_T9_T10_S9_lSB_S9_lSA_T11_S9_li
                                        ; -- End function
	.set _ZL29rocblas_internal_gemmt_kernelIiLi16ELi32ELi8ELc67ELc67ELc85ELb1ELb1E19rocblas_complex_numIdES1_PKPKS1_PKPS1_EviT_T9_T10_S9_lSB_S9_lSA_T11_S9_li.num_vgpr, 126
	.set _ZL29rocblas_internal_gemmt_kernelIiLi16ELi32ELi8ELc67ELc67ELc85ELb1ELb1E19rocblas_complex_numIdES1_PKPKS1_PKPS1_EviT_T9_T10_S9_lSB_S9_lSA_T11_S9_li.num_agpr, 0
	.set _ZL29rocblas_internal_gemmt_kernelIiLi16ELi32ELi8ELc67ELc67ELc85ELb1ELb1E19rocblas_complex_numIdES1_PKPKS1_PKPS1_EviT_T9_T10_S9_lSB_S9_lSA_T11_S9_li.numbered_sgpr, 36
	.set _ZL29rocblas_internal_gemmt_kernelIiLi16ELi32ELi8ELc67ELc67ELc85ELb1ELb1E19rocblas_complex_numIdES1_PKPKS1_PKPS1_EviT_T9_T10_S9_lSB_S9_lSA_T11_S9_li.num_named_barrier, 0
	.set _ZL29rocblas_internal_gemmt_kernelIiLi16ELi32ELi8ELc67ELc67ELc85ELb1ELb1E19rocblas_complex_numIdES1_PKPKS1_PKPS1_EviT_T9_T10_S9_lSB_S9_lSA_T11_S9_li.private_seg_size, 0
	.set _ZL29rocblas_internal_gemmt_kernelIiLi16ELi32ELi8ELc67ELc67ELc85ELb1ELb1E19rocblas_complex_numIdES1_PKPKS1_PKPS1_EviT_T9_T10_S9_lSB_S9_lSA_T11_S9_li.uses_vcc, 1
	.set _ZL29rocblas_internal_gemmt_kernelIiLi16ELi32ELi8ELc67ELc67ELc85ELb1ELb1E19rocblas_complex_numIdES1_PKPKS1_PKPS1_EviT_T9_T10_S9_lSB_S9_lSA_T11_S9_li.uses_flat_scratch, 0
	.set _ZL29rocblas_internal_gemmt_kernelIiLi16ELi32ELi8ELc67ELc67ELc85ELb1ELb1E19rocblas_complex_numIdES1_PKPKS1_PKPS1_EviT_T9_T10_S9_lSB_S9_lSA_T11_S9_li.has_dyn_sized_stack, 0
	.set _ZL29rocblas_internal_gemmt_kernelIiLi16ELi32ELi8ELc67ELc67ELc85ELb1ELb1E19rocblas_complex_numIdES1_PKPKS1_PKPS1_EviT_T9_T10_S9_lSB_S9_lSA_T11_S9_li.has_recursion, 0
	.set _ZL29rocblas_internal_gemmt_kernelIiLi16ELi32ELi8ELc67ELc67ELc85ELb1ELb1E19rocblas_complex_numIdES1_PKPKS1_PKPS1_EviT_T9_T10_S9_lSB_S9_lSA_T11_S9_li.has_indirect_call, 0
	.section	.AMDGPU.csdata,"",@progbits
; Kernel info:
; codeLenInByte = 3520
; TotalNumSgprs: 38
; NumVgprs: 126
; ScratchSize: 0
; MemoryBound: 1
; FloatMode: 240
; IeeeMode: 1
; LDSByteSize: 8192 bytes/workgroup (compile time only)
; SGPRBlocks: 0
; VGPRBlocks: 15
; NumSGPRsForWavesPerEU: 38
; NumVGPRsForWavesPerEU: 126
; Occupancy: 8
; WaveLimiterHint : 1
; COMPUTE_PGM_RSRC2:SCRATCH_EN: 0
; COMPUTE_PGM_RSRC2:USER_SGPR: 6
; COMPUTE_PGM_RSRC2:TRAP_HANDLER: 0
; COMPUTE_PGM_RSRC2:TGID_X_EN: 1
; COMPUTE_PGM_RSRC2:TGID_Y_EN: 1
; COMPUTE_PGM_RSRC2:TGID_Z_EN: 1
; COMPUTE_PGM_RSRC2:TIDIG_COMP_CNT: 1
	.section	.text._ZL29rocblas_internal_gemmt_kernelIiLi16ELi32ELi8ELc78ELc78ELc76ELb0ELb0E19rocblas_complex_numIdES1_PKPKS1_PKPS1_EviT_T9_T10_S9_lSB_S9_lSA_T11_S9_li,"axG",@progbits,_ZL29rocblas_internal_gemmt_kernelIiLi16ELi32ELi8ELc78ELc78ELc76ELb0ELb0E19rocblas_complex_numIdES1_PKPKS1_PKPS1_EviT_T9_T10_S9_lSB_S9_lSA_T11_S9_li,comdat
	.globl	_ZL29rocblas_internal_gemmt_kernelIiLi16ELi32ELi8ELc78ELc78ELc76ELb0ELb0E19rocblas_complex_numIdES1_PKPKS1_PKPS1_EviT_T9_T10_S9_lSB_S9_lSA_T11_S9_li ; -- Begin function _ZL29rocblas_internal_gemmt_kernelIiLi16ELi32ELi8ELc78ELc78ELc76ELb0ELb0E19rocblas_complex_numIdES1_PKPKS1_PKPS1_EviT_T9_T10_S9_lSB_S9_lSA_T11_S9_li
	.p2align	8
	.type	_ZL29rocblas_internal_gemmt_kernelIiLi16ELi32ELi8ELc78ELc78ELc76ELb0ELb0E19rocblas_complex_numIdES1_PKPKS1_PKPS1_EviT_T9_T10_S9_lSB_S9_lSA_T11_S9_li,@function
_ZL29rocblas_internal_gemmt_kernelIiLi16ELi32ELi8ELc78ELc78ELc76ELb0ELb0E19rocblas_complex_numIdES1_PKPKS1_PKPS1_EviT_T9_T10_S9_lSB_S9_lSA_T11_S9_li: ; @_ZL29rocblas_internal_gemmt_kernelIiLi16ELi32ELi8ELc78ELc78ELc76ELb0ELb0E19rocblas_complex_numIdES1_PKPKS1_PKPS1_EviT_T9_T10_S9_lSB_S9_lSA_T11_S9_li
; %bb.0:
	s_clause 0x2
	s_load_dwordx8 s[12:19], s[4:5], 0x40
	s_load_dwordx2 s[2:3], s[4:5], 0x0
	s_load_dwordx4 s[20:23], s[4:5], 0x8
	s_waitcnt lgkmcnt(0)
	v_cmp_eq_f64_e64 s0, s[14:15], 1.0
	v_cmp_eq_f64_e64 s30, s[16:17], 0
	s_and_b32 s0, s0, s30
	s_andn2_b32 vcc_lo, exec_lo, s0
	s_mov_b32 s0, -1
	s_cbranch_vccnz .LBB423_3
; %bb.1:
	s_cmp_lg_u32 s3, 0
	s_cbranch_scc0 .LBB423_31
; %bb.2:
	v_cmp_neq_f64_e64 s0, s[20:21], 0
	v_cmp_neq_f64_e64 s1, s[22:23], 0
	s_or_b32 s0, s0, s1
.LBB423_3:
	s_and_b32 vcc_lo, exec_lo, s0
	s_cbranch_vccz .LBB423_32
; %bb.4:
	v_cmp_eq_f64_e64 s24, s[20:21], 0
	v_cmp_eq_f64_e64 s25, s[22:23], 0
	s_mov_b32 s9, 0
	v_mov_b32_e32 v22, 0
	s_lshl_b64 s[28:29], s[8:9], 3
	v_mov_b32_e32 v24, 0
	s_add_u32 s0, s18, s28
	s_addc_u32 s1, s19, s29
	s_lshl_b32 s8, s6, 5
	s_load_dwordx2 s[10:11], s[0:1], 0x0
	s_lshl_b32 s18, s7, 5
	v_mov_b32_e32 v18, 0
	v_mov_b32_e32 v20, 0
	;; [unrolled: 1-line block ×12, first 2 shown]
	s_and_b32 s0, s24, s25
	s_cmp_lt_i32 s3, 1
	v_mov_b32_e32 v9, 0
	s_cselect_b32 s1, -1, 0
	v_mov_b32_e32 v7, 0
	s_or_b32 s0, s0, s1
	s_and_b32 vcc_lo, exec_lo, s0
	s_cbranch_vccnz .LBB423_15
; %bb.5:
	s_clause 0x3
	s_load_dword s6, s[4:5], 0x20
	s_load_dword s1, s[4:5], 0x38
	s_load_dwordx4 s[24:27], s[4:5], 0x28
	s_load_dwordx2 s[34:35], s[4:5], 0x18
	v_lshl_add_u32 v2, v1, 4, v0
	v_and_b32_e32 v26, 7, v0
	v_mov_b32_e32 v16, 0
	v_mov_b32_e32 v14, 0
	;; [unrolled: 1-line block ×3, first 2 shown]
	v_and_b32_e32 v6, 31, v2
	v_lshrrev_b32_e32 v3, 3, v2
	v_lshrrev_b32_e32 v27, 5, v2
	v_lshlrev_b32_e32 v8, 4, v26
	v_mov_b32_e32 v18, 0
	v_or_b32_e32 v2, s8, v6
	v_lshlrev_b32_e32 v4, 4, v6
	v_add_nc_u32_e32 v5, s18, v3
	v_lshl_or_b32 v7, v3, 7, v8
	v_add_nc_u32_e32 v6, s8, v6
	v_cmp_gt_i32_e32 vcc_lo, s2, v2
	v_lshl_or_b32 v28, v27, 9, v4
	s_waitcnt lgkmcnt(0)
	v_mad_i64_i32 v[2:3], null, v27, s6, 0
	s_ashr_i32 s7, s6, 31
	s_add_u32 s26, s26, s28
	s_addc_u32 s27, s27, s29
	v_cmp_gt_i32_e64 s0, s2, v5
	s_add_u32 s28, s34, s28
	v_mad_i64_i32 v[4:5], null, s1, v5, 0
	s_addc_u32 s29, s35, s29
	s_load_dwordx2 s[26:27], s[26:27], 0x0
	s_load_dwordx2 s[28:29], s[28:29], 0x0
	v_lshlrev_b64 v[2:3], 4, v[2:3]
	v_add_nc_u32_e32 v29, 0x1000, v7
	v_ashrrev_i32_e32 v7, 31, v6
	s_lshl_b64 s[24:25], s[24:25], 4
	v_lshlrev_b64 v[4:5], 4, v[4:5]
	s_lshl_b64 s[12:13], s[12:13], 4
	v_add_co_u32 v9, s1, v2, s24
	v_add_co_ci_u32_e64 v10, null, s25, v3, s1
	v_lshlrev_b64 v[2:3], 4, v[6:7]
	v_add_co_u32 v4, s1, v4, s12
	v_add_co_ci_u32_e64 v5, null, s13, v5, s1
	v_mov_b32_e32 v6, 0
	v_add_co_u32 v2, s1, v9, v2
	v_add_co_ci_u32_e64 v3, null, v10, v3, s1
	v_add_co_u32 v4, s1, v4, v8
	v_add_co_ci_u32_e64 v5, null, 0, v5, s1
	s_waitcnt lgkmcnt(0)
	v_add_co_u32 v10, s1, s28, v2
	v_add_co_ci_u32_e64 v11, null, s29, v3, s1
	v_add_co_u32 v12, s1, s26, v4
	v_mov_b32_e32 v8, 0
	v_mov_b32_e32 v24, 0
	;; [unrolled: 1-line block ×3, first 2 shown]
	v_lshlrev_b32_e32 v30, 4, v0
	v_lshl_add_u32 v31, v1, 7, 0x1000
	v_add_co_ci_u32_e64 v13, null, s27, v5, s1
	v_mov_b32_e32 v7, 0
	v_mov_b32_e32 v9, 0
	v_mov_b32_e32 v17, 0
	v_mov_b32_e32 v15, 0
	v_mov_b32_e32 v21, 0
	v_mov_b32_e32 v19, 0
	v_mov_b32_e32 v25, 0
	v_mov_b32_e32 v23, 0
	v_mov_b32_e32 v2, 0
	s_lshl_b64 s[6:7], s[6:7], 7
	s_xor_b32 s1, vcc_lo, -1
	s_xor_b32 s0, s0, -1
	s_branch .LBB423_7
.LBB423_6:                              ;   in Loop: Header=BB423_7 Depth=1
	s_or_b32 exec_lo, exec_lo, s12
	s_waitcnt lgkmcnt(0)
	s_barrier
	buffer_gl0_inv
	ds_read_b128 v[32:35], v31
	ds_read_b128 v[36:39], v30
	ds_read_b128 v[40:43], v30 offset:256
	ds_read_b128 v[44:47], v31 offset:2048
	;; [unrolled: 1-line block ×12, first 2 shown]
	v_add_co_u32 v10, vcc_lo, v10, s6
	v_add_co_ci_u32_e64 v11, null, s7, v11, vcc_lo
	v_add_co_u32 v12, vcc_lo, 0x80, v12
	v_add_co_ci_u32_e64 v13, null, 0, v13, vcc_lo
	s_waitcnt lgkmcnt(12)
	v_mul_f64 v[3:4], v[34:35], v[38:39]
	v_mul_f64 v[88:89], v[32:33], v[38:39]
	s_waitcnt lgkmcnt(11)
	v_mul_f64 v[90:91], v[34:35], v[42:43]
	v_mul_f64 v[92:93], v[32:33], v[42:43]
	;; [unrolled: 3-line block ×3, first 2 shown]
	v_mul_f64 v[96:97], v[46:47], v[42:43]
	v_mul_f64 v[42:43], v[44:45], v[42:43]
	s_waitcnt lgkmcnt(8)
	v_mul_f64 v[98:99], v[50:51], v[54:55]
	v_mul_f64 v[100:101], v[48:49], v[54:55]
	s_waitcnt lgkmcnt(7)
	;; [unrolled: 3-line block ×3, first 2 shown]
	v_mul_f64 v[106:107], v[62:63], v[54:55]
	v_mul_f64 v[54:55], v[60:61], v[54:55]
	;; [unrolled: 1-line block ×4, first 2 shown]
	s_waitcnt lgkmcnt(4)
	v_mul_f64 v[110:111], v[66:67], v[70:71]
	v_mul_f64 v[112:113], v[64:65], v[70:71]
	s_waitcnt lgkmcnt(3)
	v_mul_f64 v[114:115], v[66:67], v[74:75]
	v_mul_f64 v[116:117], v[64:65], v[74:75]
	;; [unrolled: 3-line block ×3, first 2 shown]
	v_fma_f64 v[3:4], v[32:33], v[36:37], -v[3:4]
	v_fma_f64 v[88:89], v[34:35], v[36:37], v[88:89]
	v_fma_f64 v[90:91], v[32:33], v[40:41], -v[90:91]
	v_fma_f64 v[92:93], v[34:35], v[40:41], v[92:93]
	;; [unrolled: 2-line block ×4, first 2 shown]
	v_mul_f64 v[124:125], v[78:79], v[74:75]
	v_mul_f64 v[74:75], v[76:77], v[74:75]
	ds_read_b128 v[32:35], v30 offset:1536
	ds_read_b128 v[36:39], v30 offset:1792
	v_fma_f64 v[98:99], v[48:49], v[52:53], -v[98:99]
	v_fma_f64 v[100:101], v[50:51], v[52:53], v[100:101]
	v_fma_f64 v[102:103], v[48:49], v[56:57], -v[102:103]
	v_fma_f64 v[104:105], v[50:51], v[56:57], v[104:105]
	;; [unrolled: 2-line block ×7, first 2 shown]
	v_add_f64 v[22:23], v[22:23], v[3:4]
	v_add_f64 v[24:25], v[88:89], v[24:25]
	;; [unrolled: 1-line block ×4, first 2 shown]
	s_waitcnt lgkmcnt(1)
	v_mul_f64 v[110:111], v[82:83], v[34:35]
	v_mul_f64 v[112:113], v[80:81], v[34:35]
	s_waitcnt lgkmcnt(0)
	v_mul_f64 v[70:71], v[82:83], v[38:39]
	v_fma_f64 v[76:77], v[76:77], v[72:73], -v[124:125]
	v_fma_f64 v[72:73], v[78:79], v[72:73], v[74:75]
	v_add_f64 v[74:75], v[14:15], v[94:95]
	v_add_f64 v[78:79], v[120:121], v[16:17]
	;; [unrolled: 1-line block ×4, first 2 shown]
	ds_read_b128 v[40:43], v31 offset:64
	ds_read_b128 v[44:47], v30 offset:2048
	;; [unrolled: 1-line block ×3, first 2 shown]
	v_mul_f64 v[114:115], v[80:81], v[38:39]
	v_mul_f64 v[116:117], v[86:87], v[34:35]
	;; [unrolled: 1-line block ×5, first 2 shown]
	ds_read_b128 v[52:55], v31 offset:2112
	ds_read_b128 v[14:17], v31 offset:2128
	v_add_f64 v[98:99], v[22:23], v[98:99]
	v_add_f64 v[100:101], v[100:101], v[24:25]
	;; [unrolled: 1-line block ×4, first 2 shown]
	v_fma_f64 v[92:93], v[80:81], v[32:33], -v[110:111]
	v_fma_f64 v[94:95], v[82:83], v[32:33], v[112:113]
	v_fma_f64 v[70:71], v[80:81], v[36:37], -v[70:71]
	ds_read_b128 v[18:21], v30 offset:2560
	ds_read_b128 v[3:6], v31 offset:80
	ds_read_b128 v[22:25], v30 offset:2816
	v_add_f64 v[74:75], v[74:75], v[106:107]
	s_waitcnt lgkmcnt(6)
	v_mul_f64 v[80:81], v[42:43], v[46:47]
	v_mul_f64 v[96:97], v[40:41], v[46:47]
	s_waitcnt lgkmcnt(5)
	v_mul_f64 v[110:111], v[42:43], v[50:51]
	v_mul_f64 v[112:113], v[40:41], v[50:51]
	v_add_f64 v[78:79], v[126:127], v[78:79]
	v_add_f64 v[7:8], v[8:9], v[60:61]
	;; [unrolled: 1-line block ×3, first 2 shown]
	v_fma_f64 v[82:83], v[82:83], v[36:37], v[114:115]
	s_waitcnt lgkmcnt(4)
	v_mul_f64 v[114:115], v[54:55], v[46:47]
	v_mul_f64 v[46:47], v[52:53], v[46:47]
	v_fma_f64 v[60:61], v[84:85], v[32:33], -v[116:117]
	v_fma_f64 v[88:89], v[86:87], v[32:33], v[34:35]
	v_fma_f64 v[84:85], v[84:85], v[36:37], -v[90:91]
	v_fma_f64 v[86:87], v[86:87], v[36:37], v[38:39]
	v_add_f64 v[58:59], v[98:99], v[58:59]
	v_add_f64 v[62:63], v[62:63], v[100:101]
	;; [unrolled: 1-line block ×4, first 2 shown]
	s_waitcnt lgkmcnt(0)
	v_mul_f64 v[98:99], v[3:4], v[24:25]
	v_mul_f64 v[100:101], v[16:17], v[20:21]
	;; [unrolled: 1-line block ×3, first 2 shown]
	v_add_f64 v[74:75], v[74:75], v[108:109]
	v_fma_f64 v[80:81], v[40:41], v[44:45], -v[80:81]
	v_fma_f64 v[90:91], v[42:43], v[44:45], v[96:97]
	v_fma_f64 v[96:97], v[40:41], v[48:49], -v[110:111]
	v_fma_f64 v[106:107], v[42:43], v[48:49], v[112:113]
	v_mul_f64 v[40:41], v[54:55], v[50:51]
	v_mul_f64 v[42:43], v[52:53], v[50:51]
	v_add_f64 v[68:69], v[68:69], v[78:79]
	v_add_f64 v[7:8], v[7:8], v[76:77]
	;; [unrolled: 1-line block ×3, first 2 shown]
	v_fma_f64 v[50:51], v[52:53], v[44:45], -v[114:115]
	v_fma_f64 v[110:111], v[54:55], v[44:45], v[46:47]
	v_mul_f64 v[72:73], v[5:6], v[20:21]
	v_mul_f64 v[76:77], v[3:4], v[20:21]
	;; [unrolled: 1-line block ×5, first 2 shown]
	ds_read_b128 v[32:35], v31 offset:96
	ds_read_b128 v[36:39], v30 offset:3072
	s_add_i32 s9, s9, 8
	s_cmp_lt_i32 s9, s3
	v_add_f64 v[60:61], v[74:75], v[60:61]
	v_fma_f64 v[74:75], v[5:6], v[22:23], v[98:99]
	v_fma_f64 v[52:53], v[52:53], v[48:49], -v[40:41]
	v_fma_f64 v[48:49], v[54:55], v[48:49], v[42:43]
	v_add_f64 v[54:55], v[58:59], v[92:93]
	v_add_f64 v[58:59], v[94:95], v[62:63]
	;; [unrolled: 1-line block ×7, first 2 shown]
	ds_read_b128 v[40:43], v30 offset:3328
	ds_read_b128 v[44:47], v31 offset:2144
	v_fma_f64 v[68:69], v[3:4], v[18:19], -v[72:73]
	v_fma_f64 v[70:71], v[5:6], v[18:19], v[76:77]
	v_fma_f64 v[72:73], v[3:4], v[22:23], -v[78:79]
	v_fma_f64 v[76:77], v[14:15], v[18:19], -v[100:101]
	v_fma_f64 v[78:79], v[16:17], v[18:19], v[20:21]
	v_fma_f64 v[82:83], v[14:15], v[22:23], -v[102:103]
	s_waitcnt lgkmcnt(2)
	v_mul_f64 v[84:85], v[34:35], v[38:39]
	v_fma_f64 v[86:87], v[16:17], v[22:23], v[24:25]
	v_mul_f64 v[88:89], v[32:33], v[38:39]
	v_add_f64 v[50:51], v[60:61], v[50:51]
	ds_read_b128 v[3:6], v31 offset:112
	ds_read_b128 v[14:17], v31 offset:2160
	;; [unrolled: 1-line block ×4, first 2 shown]
	s_waitcnt lgkmcnt(0)
	v_add_f64 v[54:55], v[54:55], v[80:81]
	v_add_f64 v[58:59], v[90:91], v[58:59]
	v_add_f64 v[62:63], v[62:63], v[96:97]
	v_add_f64 v[64:65], v[106:107], v[64:65]
	v_mul_f64 v[92:93], v[34:35], v[42:43]
	v_mul_f64 v[94:95], v[32:33], v[42:43]
	;; [unrolled: 1-line block ×4, first 2 shown]
	v_add_f64 v[60:61], v[110:111], v[66:67]
	v_add_f64 v[7:8], v[7:8], v[52:53]
	;; [unrolled: 1-line block ×3, first 2 shown]
	v_mul_f64 v[52:53], v[46:47], v[42:43]
	v_mul_f64 v[42:43], v[44:45], v[42:43]
	s_barrier
	v_fma_f64 v[56:57], v[32:33], v[36:37], -v[84:85]
	buffer_gl0_inv
	v_fma_f64 v[66:67], v[34:35], v[36:37], v[88:89]
	v_add_f64 v[50:51], v[50:51], v[76:77]
	v_fma_f64 v[32:33], v[32:33], v[40:41], -v[92:93]
	v_fma_f64 v[34:35], v[34:35], v[40:41], v[94:95]
	v_fma_f64 v[80:81], v[44:45], v[36:37], -v[98:99]
	v_fma_f64 v[36:37], v[46:47], v[36:37], v[38:39]
	v_add_f64 v[38:39], v[54:55], v[68:69]
	v_add_f64 v[54:55], v[70:71], v[58:59]
	;; [unrolled: 1-line block ×7, first 2 shown]
	v_fma_f64 v[44:45], v[44:45], v[40:41], -v[52:53]
	v_fma_f64 v[40:41], v[46:47], v[40:41], v[42:43]
	v_mul_f64 v[42:43], v[5:6], v[20:21]
	v_mul_f64 v[46:47], v[3:4], v[20:21]
	;; [unrolled: 1-line block ×8, first 2 shown]
	v_add_f64 v[50:51], v[50:51], v[80:81]
	v_add_f64 v[38:39], v[38:39], v[56:57]
	;; [unrolled: 1-line block ×8, first 2 shown]
	v_fma_f64 v[42:43], v[3:4], v[18:19], -v[42:43]
	v_fma_f64 v[44:45], v[5:6], v[18:19], v[46:47]
	v_fma_f64 v[3:4], v[3:4], v[22:23], -v[52:53]
	v_fma_f64 v[5:6], v[5:6], v[22:23], v[64:65]
	v_fma_f64 v[46:47], v[14:15], v[18:19], -v[68:69]
	v_fma_f64 v[48:49], v[16:17], v[18:19], v[20:21]
	v_fma_f64 v[52:53], v[14:15], v[22:23], -v[70:71]
	v_fma_f64 v[56:57], v[16:17], v[22:23], v[24:25]
	v_add_f64 v[22:23], v[38:39], v[42:43]
	v_add_f64 v[24:25], v[44:45], v[54:55]
	;; [unrolled: 1-line block ×8, first 2 shown]
	s_cbranch_scc0 .LBB423_15
.LBB423_7:                              ; =>This Inner Loop Header: Depth=1
	v_add_nc_u32_e32 v3, s9, v27
	v_cmp_le_i32_e32 vcc_lo, s3, v3
	s_or_b32 s12, s1, vcc_lo
	s_and_saveexec_b32 s13, s12
	s_xor_b32 s12, exec_lo, s13
	s_cbranch_execz .LBB423_9
; %bb.8:                                ;   in Loop: Header=BB423_7 Depth=1
	v_mov_b32_e32 v3, v2
	v_mov_b32_e32 v4, v2
	;; [unrolled: 1-line block ×3, first 2 shown]
	ds_write_b128 v28, v[2:5]
.LBB423_9:                              ;   in Loop: Header=BB423_7 Depth=1
	s_andn2_saveexec_b32 s12, s12
	s_cbranch_execz .LBB423_11
; %bb.10:                               ;   in Loop: Header=BB423_7 Depth=1
	flat_load_dwordx4 v[32:35], v[10:11]
	s_waitcnt vmcnt(0) lgkmcnt(0)
	ds_write2_b64 v28, v[32:33], v[34:35] offset1:1
.LBB423_11:                             ;   in Loop: Header=BB423_7 Depth=1
	s_or_b32 exec_lo, exec_lo, s12
	v_add_nc_u32_e32 v3, s9, v26
	v_cmp_le_i32_e32 vcc_lo, s3, v3
	s_or_b32 s12, vcc_lo, s0
	s_and_saveexec_b32 s13, s12
	s_xor_b32 s12, exec_lo, s13
	s_cbranch_execz .LBB423_13
; %bb.12:                               ;   in Loop: Header=BB423_7 Depth=1
	v_mov_b32_e32 v3, v2
	v_mov_b32_e32 v4, v2
	;; [unrolled: 1-line block ×3, first 2 shown]
	ds_write_b128 v29, v[2:5]
.LBB423_13:                             ;   in Loop: Header=BB423_7 Depth=1
	s_andn2_saveexec_b32 s12, s12
	s_cbranch_execz .LBB423_6
; %bb.14:                               ;   in Loop: Header=BB423_7 Depth=1
	flat_load_dwordx4 v[32:35], v[12:13]
	s_waitcnt vmcnt(0) lgkmcnt(0)
	ds_write2_b64 v29, v[32:33], v[34:35] offset1:1
	s_branch .LBB423_6
.LBB423_15:
	s_clause 0x1
	s_load_dword s3, s[4:5], 0x60
	s_load_dwordx2 s[4:5], s[4:5], 0x68
	v_cmp_neq_f64_e64 s6, s[14:15], 0
	v_add_nc_u32_e32 v27, s18, v1
	v_add_nc_u32_e32 v4, s8, v0
	v_cmp_le_i32_e32 vcc_lo, v27, v4
	v_cmp_gt_i32_e64 s0, s2, v4
	v_ashrrev_i32_e32 v5, 31, v4
	s_waitcnt lgkmcnt(0)
	v_mad_i64_i32 v[0:1], null, v27, s3, 0
	s_lshl_b64 s[4:5], s[4:5], 4
	s_add_u32 s4, s10, s4
	s_addc_u32 s5, s11, s5
	s_xor_b32 s7, s30, -1
	s_or_b32 s6, s6, s7
	v_lshlrev_b64 v[0:1], 4, v[0:1]
	v_cndmask_b32_e64 v26, 0, 1, s6
	s_and_b32 s7, vcc_lo, s0
	v_add_co_u32 v12, s1, s4, v0
	v_add_co_ci_u32_e64 v13, null, s5, v1, s1
	s_and_saveexec_b32 s1, s7
	s_cbranch_execz .LBB423_19
; %bb.16:
	v_mul_f64 v[0:1], s[22:23], v[24:25]
	v_mul_f64 v[2:3], s[20:21], v[24:25]
	v_lshlrev_b64 v[10:11], 4, v[4:5]
	v_add_co_u32 v10, vcc_lo, v12, v10
	v_add_co_ci_u32_e64 v11, null, v13, v11, vcc_lo
	s_andn2_b32 vcc_lo, exec_lo, s6
	v_fma_f64 v[0:1], s[20:21], v[22:23], -v[0:1]
	v_fma_f64 v[2:3], s[22:23], v[22:23], v[2:3]
	s_cbranch_vccnz .LBB423_18
; %bb.17:
	flat_load_dwordx4 v[22:25], v[10:11]
	s_waitcnt vmcnt(0) lgkmcnt(0)
	v_mul_f64 v[28:29], s[16:17], v[24:25]
	v_mul_f64 v[24:25], s[14:15], v[24:25]
	v_fma_f64 v[28:29], s[14:15], v[22:23], -v[28:29]
	v_fma_f64 v[22:23], s[16:17], v[22:23], v[24:25]
	v_add_f64 v[0:1], v[0:1], v[28:29]
	v_add_f64 v[2:3], v[2:3], v[22:23]
.LBB423_18:
	flat_store_dwordx4 v[10:11], v[0:3]
.LBB423_19:
	s_or_b32 exec_lo, exec_lo, s1
	v_add_nc_u32_e32 v10, 16, v4
	v_cmp_le_i32_e32 vcc_lo, v27, v10
	v_cmp_gt_i32_e64 s1, s2, v10
	v_ashrrev_i32_e32 v11, 31, v10
	s_and_b32 s2, vcc_lo, s1
	s_and_saveexec_b32 s6, s2
	s_cbranch_execz .LBB423_23
; %bb.20:
	v_mul_f64 v[0:1], s[22:23], v[20:21]
	v_mul_f64 v[2:3], s[20:21], v[20:21]
	v_cmp_ne_u32_e32 vcc_lo, 1, v26
	s_and_b32 vcc_lo, exec_lo, vcc_lo
	v_fma_f64 v[0:1], s[20:21], v[18:19], -v[0:1]
	v_fma_f64 v[2:3], s[22:23], v[18:19], v[2:3]
	v_lshlrev_b64 v[18:19], 4, v[10:11]
	v_add_co_u32 v12, s2, v12, v18
	v_add_co_ci_u32_e64 v13, null, v13, v19, s2
	s_cbranch_vccnz .LBB423_22
; %bb.21:
	flat_load_dwordx4 v[18:21], v[12:13]
	s_waitcnt vmcnt(0) lgkmcnt(0)
	v_mul_f64 v[22:23], s[16:17], v[20:21]
	v_mul_f64 v[20:21], s[14:15], v[20:21]
	v_fma_f64 v[22:23], s[14:15], v[18:19], -v[22:23]
	v_fma_f64 v[18:19], s[16:17], v[18:19], v[20:21]
	v_add_f64 v[0:1], v[0:1], v[22:23]
	v_add_f64 v[2:3], v[2:3], v[18:19]
.LBB423_22:
	flat_store_dwordx4 v[12:13], v[0:3]
.LBB423_23:
	s_or_b32 exec_lo, exec_lo, s6
	v_add_nc_u32_e32 v18, 16, v27
	v_mad_i64_i32 v[0:1], null, v18, s3, 0
	v_cmp_le_i32_e32 vcc_lo, v18, v4
	s_and_b32 s0, vcc_lo, s0
	v_lshlrev_b64 v[0:1], 4, v[0:1]
	v_add_co_u32 v12, s2, s4, v0
	v_add_co_ci_u32_e64 v13, null, s5, v1, s2
	s_and_saveexec_b32 s2, s0
	s_cbranch_execz .LBB423_27
; %bb.24:
	v_mul_f64 v[0:1], s[22:23], v[16:17]
	v_mul_f64 v[2:3], s[20:21], v[16:17]
	v_lshlrev_b64 v[4:5], 4, v[4:5]
	v_cmp_ne_u32_e32 vcc_lo, 1, v26
	s_and_b32 vcc_lo, exec_lo, vcc_lo
	v_add_co_u32 v4, s0, v12, v4
	v_add_co_ci_u32_e64 v5, null, v13, v5, s0
	v_fma_f64 v[0:1], s[20:21], v[14:15], -v[0:1]
	v_fma_f64 v[2:3], s[22:23], v[14:15], v[2:3]
	s_cbranch_vccnz .LBB423_26
; %bb.25:
	flat_load_dwordx4 v[14:17], v[4:5]
	s_waitcnt vmcnt(0) lgkmcnt(0)
	v_mul_f64 v[19:20], s[16:17], v[16:17]
	v_mul_f64 v[16:17], s[14:15], v[16:17]
	v_fma_f64 v[19:20], s[14:15], v[14:15], -v[19:20]
	v_fma_f64 v[14:15], s[16:17], v[14:15], v[16:17]
	v_add_f64 v[0:1], v[0:1], v[19:20]
	v_add_f64 v[2:3], v[2:3], v[14:15]
.LBB423_26:
	flat_store_dwordx4 v[4:5], v[0:3]
.LBB423_27:
	s_or_b32 exec_lo, exec_lo, s2
	v_cmp_le_i32_e32 vcc_lo, v18, v10
	s_and_b32 s0, vcc_lo, s1
	s_and_saveexec_b32 s1, s0
	s_cbranch_execz .LBB423_32
; %bb.28:
	v_mul_f64 v[0:1], s[22:23], v[6:7]
	v_mul_f64 v[2:3], s[20:21], v[6:7]
	v_lshlrev_b64 v[4:5], 4, v[10:11]
	v_cmp_ne_u32_e32 vcc_lo, 1, v26
	s_and_b32 vcc_lo, exec_lo, vcc_lo
	v_add_co_u32 v4, s0, v12, v4
	v_add_co_ci_u32_e64 v5, null, v13, v5, s0
	v_fma_f64 v[0:1], s[20:21], v[8:9], -v[0:1]
	v_fma_f64 v[2:3], s[22:23], v[8:9], v[2:3]
	s_cbranch_vccnz .LBB423_30
; %bb.29:
	flat_load_dwordx4 v[6:9], v[4:5]
	s_waitcnt vmcnt(0) lgkmcnt(0)
	v_mul_f64 v[10:11], s[16:17], v[8:9]
	v_mul_f64 v[8:9], s[14:15], v[8:9]
	v_fma_f64 v[10:11], s[14:15], v[6:7], -v[10:11]
	v_fma_f64 v[6:7], s[16:17], v[6:7], v[8:9]
	v_add_f64 v[0:1], v[0:1], v[10:11]
	v_add_f64 v[2:3], v[2:3], v[6:7]
.LBB423_30:
	flat_store_dwordx4 v[4:5], v[0:3]
	s_endpgm
.LBB423_31:
.LBB423_32:
	s_endpgm
	.section	.rodata,"a",@progbits
	.p2align	6, 0x0
	.amdhsa_kernel _ZL29rocblas_internal_gemmt_kernelIiLi16ELi32ELi8ELc78ELc78ELc76ELb0ELb0E19rocblas_complex_numIdES1_PKPKS1_PKPS1_EviT_T9_T10_S9_lSB_S9_lSA_T11_S9_li
		.amdhsa_group_segment_fixed_size 8192
		.amdhsa_private_segment_fixed_size 0
		.amdhsa_kernarg_size 116
		.amdhsa_user_sgpr_count 6
		.amdhsa_user_sgpr_private_segment_buffer 1
		.amdhsa_user_sgpr_dispatch_ptr 0
		.amdhsa_user_sgpr_queue_ptr 0
		.amdhsa_user_sgpr_kernarg_segment_ptr 1
		.amdhsa_user_sgpr_dispatch_id 0
		.amdhsa_user_sgpr_flat_scratch_init 0
		.amdhsa_user_sgpr_private_segment_size 0
		.amdhsa_wavefront_size32 1
		.amdhsa_uses_dynamic_stack 0
		.amdhsa_system_sgpr_private_segment_wavefront_offset 0
		.amdhsa_system_sgpr_workgroup_id_x 1
		.amdhsa_system_sgpr_workgroup_id_y 1
		.amdhsa_system_sgpr_workgroup_id_z 1
		.amdhsa_system_sgpr_workgroup_info 0
		.amdhsa_system_vgpr_workitem_id 1
		.amdhsa_next_free_vgpr 128
		.amdhsa_next_free_sgpr 36
		.amdhsa_reserve_vcc 1
		.amdhsa_reserve_flat_scratch 0
		.amdhsa_float_round_mode_32 0
		.amdhsa_float_round_mode_16_64 0
		.amdhsa_float_denorm_mode_32 3
		.amdhsa_float_denorm_mode_16_64 3
		.amdhsa_dx10_clamp 1
		.amdhsa_ieee_mode 1
		.amdhsa_fp16_overflow 0
		.amdhsa_workgroup_processor_mode 1
		.amdhsa_memory_ordered 1
		.amdhsa_forward_progress 1
		.amdhsa_shared_vgpr_count 0
		.amdhsa_exception_fp_ieee_invalid_op 0
		.amdhsa_exception_fp_denorm_src 0
		.amdhsa_exception_fp_ieee_div_zero 0
		.amdhsa_exception_fp_ieee_overflow 0
		.amdhsa_exception_fp_ieee_underflow 0
		.amdhsa_exception_fp_ieee_inexact 0
		.amdhsa_exception_int_div_zero 0
	.end_amdhsa_kernel
	.section	.text._ZL29rocblas_internal_gemmt_kernelIiLi16ELi32ELi8ELc78ELc78ELc76ELb0ELb0E19rocblas_complex_numIdES1_PKPKS1_PKPS1_EviT_T9_T10_S9_lSB_S9_lSA_T11_S9_li,"axG",@progbits,_ZL29rocblas_internal_gemmt_kernelIiLi16ELi32ELi8ELc78ELc78ELc76ELb0ELb0E19rocblas_complex_numIdES1_PKPKS1_PKPS1_EviT_T9_T10_S9_lSB_S9_lSA_T11_S9_li,comdat
.Lfunc_end423:
	.size	_ZL29rocblas_internal_gemmt_kernelIiLi16ELi32ELi8ELc78ELc78ELc76ELb0ELb0E19rocblas_complex_numIdES1_PKPKS1_PKPS1_EviT_T9_T10_S9_lSB_S9_lSA_T11_S9_li, .Lfunc_end423-_ZL29rocblas_internal_gemmt_kernelIiLi16ELi32ELi8ELc78ELc78ELc76ELb0ELb0E19rocblas_complex_numIdES1_PKPKS1_PKPS1_EviT_T9_T10_S9_lSB_S9_lSA_T11_S9_li
                                        ; -- End function
	.set _ZL29rocblas_internal_gemmt_kernelIiLi16ELi32ELi8ELc78ELc78ELc76ELb0ELb0E19rocblas_complex_numIdES1_PKPKS1_PKPS1_EviT_T9_T10_S9_lSB_S9_lSA_T11_S9_li.num_vgpr, 128
	.set _ZL29rocblas_internal_gemmt_kernelIiLi16ELi32ELi8ELc78ELc78ELc76ELb0ELb0E19rocblas_complex_numIdES1_PKPKS1_PKPS1_EviT_T9_T10_S9_lSB_S9_lSA_T11_S9_li.num_agpr, 0
	.set _ZL29rocblas_internal_gemmt_kernelIiLi16ELi32ELi8ELc78ELc78ELc76ELb0ELb0E19rocblas_complex_numIdES1_PKPKS1_PKPS1_EviT_T9_T10_S9_lSB_S9_lSA_T11_S9_li.numbered_sgpr, 36
	.set _ZL29rocblas_internal_gemmt_kernelIiLi16ELi32ELi8ELc78ELc78ELc76ELb0ELb0E19rocblas_complex_numIdES1_PKPKS1_PKPS1_EviT_T9_T10_S9_lSB_S9_lSA_T11_S9_li.num_named_barrier, 0
	.set _ZL29rocblas_internal_gemmt_kernelIiLi16ELi32ELi8ELc78ELc78ELc76ELb0ELb0E19rocblas_complex_numIdES1_PKPKS1_PKPS1_EviT_T9_T10_S9_lSB_S9_lSA_T11_S9_li.private_seg_size, 0
	.set _ZL29rocblas_internal_gemmt_kernelIiLi16ELi32ELi8ELc78ELc78ELc76ELb0ELb0E19rocblas_complex_numIdES1_PKPKS1_PKPS1_EviT_T9_T10_S9_lSB_S9_lSA_T11_S9_li.uses_vcc, 1
	.set _ZL29rocblas_internal_gemmt_kernelIiLi16ELi32ELi8ELc78ELc78ELc76ELb0ELb0E19rocblas_complex_numIdES1_PKPKS1_PKPS1_EviT_T9_T10_S9_lSB_S9_lSA_T11_S9_li.uses_flat_scratch, 0
	.set _ZL29rocblas_internal_gemmt_kernelIiLi16ELi32ELi8ELc78ELc78ELc76ELb0ELb0E19rocblas_complex_numIdES1_PKPKS1_PKPS1_EviT_T9_T10_S9_lSB_S9_lSA_T11_S9_li.has_dyn_sized_stack, 0
	.set _ZL29rocblas_internal_gemmt_kernelIiLi16ELi32ELi8ELc78ELc78ELc76ELb0ELb0E19rocblas_complex_numIdES1_PKPKS1_PKPS1_EviT_T9_T10_S9_lSB_S9_lSA_T11_S9_li.has_recursion, 0
	.set _ZL29rocblas_internal_gemmt_kernelIiLi16ELi32ELi8ELc78ELc78ELc76ELb0ELb0E19rocblas_complex_numIdES1_PKPKS1_PKPS1_EviT_T9_T10_S9_lSB_S9_lSA_T11_S9_li.has_indirect_call, 0
	.section	.AMDGPU.csdata,"",@progbits
; Kernel info:
; codeLenInByte = 3524
; TotalNumSgprs: 38
; NumVgprs: 128
; ScratchSize: 0
; MemoryBound: 0
; FloatMode: 240
; IeeeMode: 1
; LDSByteSize: 8192 bytes/workgroup (compile time only)
; SGPRBlocks: 0
; VGPRBlocks: 15
; NumSGPRsForWavesPerEU: 38
; NumVGPRsForWavesPerEU: 128
; Occupancy: 8
; WaveLimiterHint : 1
; COMPUTE_PGM_RSRC2:SCRATCH_EN: 0
; COMPUTE_PGM_RSRC2:USER_SGPR: 6
; COMPUTE_PGM_RSRC2:TRAP_HANDLER: 0
; COMPUTE_PGM_RSRC2:TGID_X_EN: 1
; COMPUTE_PGM_RSRC2:TGID_Y_EN: 1
; COMPUTE_PGM_RSRC2:TGID_Z_EN: 1
; COMPUTE_PGM_RSRC2:TIDIG_COMP_CNT: 1
	.section	.text._ZL29rocblas_internal_gemmt_kernelIiLi16ELi32ELi8ELc78ELc84ELc76ELb0ELb0E19rocblas_complex_numIdES1_PKPKS1_PKPS1_EviT_T9_T10_S9_lSB_S9_lSA_T11_S9_li,"axG",@progbits,_ZL29rocblas_internal_gemmt_kernelIiLi16ELi32ELi8ELc78ELc84ELc76ELb0ELb0E19rocblas_complex_numIdES1_PKPKS1_PKPS1_EviT_T9_T10_S9_lSB_S9_lSA_T11_S9_li,comdat
	.globl	_ZL29rocblas_internal_gemmt_kernelIiLi16ELi32ELi8ELc78ELc84ELc76ELb0ELb0E19rocblas_complex_numIdES1_PKPKS1_PKPS1_EviT_T9_T10_S9_lSB_S9_lSA_T11_S9_li ; -- Begin function _ZL29rocblas_internal_gemmt_kernelIiLi16ELi32ELi8ELc78ELc84ELc76ELb0ELb0E19rocblas_complex_numIdES1_PKPKS1_PKPS1_EviT_T9_T10_S9_lSB_S9_lSA_T11_S9_li
	.p2align	8
	.type	_ZL29rocblas_internal_gemmt_kernelIiLi16ELi32ELi8ELc78ELc84ELc76ELb0ELb0E19rocblas_complex_numIdES1_PKPKS1_PKPS1_EviT_T9_T10_S9_lSB_S9_lSA_T11_S9_li,@function
_ZL29rocblas_internal_gemmt_kernelIiLi16ELi32ELi8ELc78ELc84ELc76ELb0ELb0E19rocblas_complex_numIdES1_PKPKS1_PKPS1_EviT_T9_T10_S9_lSB_S9_lSA_T11_S9_li: ; @_ZL29rocblas_internal_gemmt_kernelIiLi16ELi32ELi8ELc78ELc84ELc76ELb0ELb0E19rocblas_complex_numIdES1_PKPKS1_PKPS1_EviT_T9_T10_S9_lSB_S9_lSA_T11_S9_li
; %bb.0:
	s_clause 0x2
	s_load_dwordx8 s[12:19], s[4:5], 0x40
	s_load_dwordx2 s[2:3], s[4:5], 0x0
	s_load_dwordx4 s[20:23], s[4:5], 0x8
	s_waitcnt lgkmcnt(0)
	v_cmp_eq_f64_e64 s0, s[14:15], 1.0
	v_cmp_eq_f64_e64 s30, s[16:17], 0
	s_and_b32 s0, s0, s30
	s_andn2_b32 vcc_lo, exec_lo, s0
	s_mov_b32 s0, -1
	s_cbranch_vccnz .LBB424_3
; %bb.1:
	s_cmp_lg_u32 s3, 0
	s_cbranch_scc0 .LBB424_31
; %bb.2:
	v_cmp_neq_f64_e64 s0, s[20:21], 0
	v_cmp_neq_f64_e64 s1, s[22:23], 0
	s_or_b32 s0, s0, s1
.LBB424_3:
	s_and_b32 vcc_lo, exec_lo, s0
	s_cbranch_vccz .LBB424_32
; %bb.4:
	v_cmp_eq_f64_e64 s24, s[20:21], 0
	v_cmp_eq_f64_e64 s25, s[22:23], 0
	s_mov_b32 s9, 0
	v_mov_b32_e32 v22, 0
	s_lshl_b64 s[28:29], s[8:9], 3
	v_mov_b32_e32 v24, 0
	s_add_u32 s0, s18, s28
	s_addc_u32 s1, s19, s29
	s_lshl_b32 s8, s6, 5
	s_load_dwordx2 s[10:11], s[0:1], 0x0
	s_lshl_b32 s31, s7, 5
	v_mov_b32_e32 v18, 0
	v_mov_b32_e32 v20, 0
	;; [unrolled: 1-line block ×12, first 2 shown]
	s_and_b32 s0, s24, s25
	s_cmp_lt_i32 s3, 1
	v_mov_b32_e32 v9, 0
	s_cselect_b32 s1, -1, 0
	v_mov_b32_e32 v7, 0
	s_or_b32 s0, s0, s1
	s_and_b32 vcc_lo, exec_lo, s0
	s_cbranch_vccnz .LBB424_15
; %bb.5:
	s_clause 0x3
	s_load_dword s6, s[4:5], 0x20
	s_load_dword s18, s[4:5], 0x38
	s_load_dwordx4 s[24:27], s[4:5], 0x28
	s_load_dwordx2 s[34:35], s[4:5], 0x18
	v_lshl_add_u32 v2, v1, 4, v0
	v_and_b32_e32 v26, 7, v0
	v_mov_b32_e32 v16, 0
	v_mov_b32_e32 v14, 0
	;; [unrolled: 1-line block ×3, first 2 shown]
	v_and_b32_e32 v3, 31, v2
	v_lshrrev_b32_e32 v4, 3, v2
	v_lshrrev_b32_e32 v27, 5, v2
	v_lshlrev_b32_e32 v5, 4, v26
	v_mov_b32_e32 v18, 0
	v_or_b32_e32 v6, s8, v3
	v_add_nc_u32_e32 v2, s31, v4
	v_lshlrev_b32_e32 v7, 4, v3
	v_lshl_or_b32 v8, v4, 7, v5
	v_mov_b32_e32 v24, 0
	v_cmp_gt_i32_e32 vcc_lo, s2, v6
	v_add_nc_u32_e32 v6, s8, v3
	s_waitcnt lgkmcnt(0)
	s_ashr_i32 s7, s6, 31
	s_ashr_i32 s19, s18, 31
	v_mad_i64_i32 v[4:5], null, v27, s6, 0
	s_add_u32 s26, s26, s28
	s_addc_u32 s27, s27, s29
	s_add_u32 s28, s34, s28
	s_addc_u32 s29, s35, s29
	s_load_dwordx2 s[26:27], s[26:27], 0x0
	s_load_dwordx2 s[28:29], s[28:29], 0x0
	v_add_nc_u32_e32 v29, 0x1000, v8
	v_lshlrev_b64 v[4:5], 4, v[4:5]
	v_mad_i64_i32 v[8:9], null, s18, v26, 0
	v_lshl_or_b32 v28, v27, 9, v7
	v_ashrrev_i32_e32 v7, 31, v6
	s_lshl_b64 s[24:25], s[24:25], 4
	v_ashrrev_i32_e32 v3, 31, v2
	v_add_co_u32 v10, s1, v4, s24
	v_lshlrev_b64 v[6:7], 4, v[6:7]
	v_add_co_ci_u32_e64 v11, null, s25, v5, s1
	v_lshlrev_b64 v[4:5], 4, v[8:9]
	s_lshl_b64 s[12:13], s[12:13], 4
	v_cmp_gt_i32_e64 s0, s2, v2
	v_add_co_u32 v6, s1, v10, v6
	v_lshlrev_b64 v[2:3], 4, v[2:3]
	v_add_co_ci_u32_e64 v7, null, v11, v7, s1
	v_add_co_u32 v4, s1, v4, s12
	v_add_co_ci_u32_e64 v5, null, s13, v5, s1
	s_waitcnt lgkmcnt(0)
	v_add_co_u32 v10, s1, s28, v6
	v_add_co_ci_u32_e64 v11, null, s29, v7, s1
	v_add_co_u32 v2, s1, v4, v2
	v_add_co_ci_u32_e64 v3, null, v5, v3, s1
	v_mov_b32_e32 v6, 0
	v_add_co_u32 v12, s1, s26, v2
	v_mov_b32_e32 v8, 0
	v_mov_b32_e32 v22, 0
	v_lshlrev_b32_e32 v30, 4, v0
	v_lshl_add_u32 v31, v1, 7, 0x1000
	v_add_co_ci_u32_e64 v13, null, s27, v3, s1
	v_mov_b32_e32 v7, 0
	v_mov_b32_e32 v9, 0
	;; [unrolled: 1-line block ×9, first 2 shown]
	s_lshl_b64 s[6:7], s[6:7], 7
	s_lshl_b64 s[12:13], s[18:19], 7
	s_xor_b32 s1, vcc_lo, -1
	s_xor_b32 s0, s0, -1
	s_branch .LBB424_7
.LBB424_6:                              ;   in Loop: Header=BB424_7 Depth=1
	s_or_b32 exec_lo, exec_lo, s18
	s_waitcnt lgkmcnt(0)
	s_barrier
	buffer_gl0_inv
	ds_read_b128 v[32:35], v31
	ds_read_b128 v[36:39], v30
	ds_read_b128 v[40:43], v30 offset:256
	ds_read_b128 v[44:47], v31 offset:2048
	;; [unrolled: 1-line block ×12, first 2 shown]
	v_add_co_u32 v10, vcc_lo, v10, s6
	v_add_co_ci_u32_e64 v11, null, s7, v11, vcc_lo
	v_add_co_u32 v12, vcc_lo, v12, s12
	v_add_co_ci_u32_e64 v13, null, s13, v13, vcc_lo
	s_waitcnt lgkmcnt(12)
	v_mul_f64 v[3:4], v[34:35], v[38:39]
	v_mul_f64 v[88:89], v[32:33], v[38:39]
	s_waitcnt lgkmcnt(11)
	v_mul_f64 v[90:91], v[34:35], v[42:43]
	v_mul_f64 v[92:93], v[32:33], v[42:43]
	;; [unrolled: 3-line block ×3, first 2 shown]
	v_mul_f64 v[96:97], v[46:47], v[42:43]
	v_mul_f64 v[42:43], v[44:45], v[42:43]
	s_waitcnt lgkmcnt(8)
	v_mul_f64 v[98:99], v[50:51], v[54:55]
	v_mul_f64 v[100:101], v[48:49], v[54:55]
	s_waitcnt lgkmcnt(7)
	;; [unrolled: 3-line block ×3, first 2 shown]
	v_mul_f64 v[106:107], v[62:63], v[54:55]
	v_mul_f64 v[54:55], v[60:61], v[54:55]
	;; [unrolled: 1-line block ×4, first 2 shown]
	s_waitcnt lgkmcnt(4)
	v_mul_f64 v[110:111], v[66:67], v[70:71]
	v_mul_f64 v[112:113], v[64:65], v[70:71]
	s_waitcnt lgkmcnt(3)
	v_mul_f64 v[114:115], v[66:67], v[74:75]
	v_mul_f64 v[116:117], v[64:65], v[74:75]
	;; [unrolled: 3-line block ×3, first 2 shown]
	v_fma_f64 v[3:4], v[32:33], v[36:37], -v[3:4]
	v_fma_f64 v[88:89], v[34:35], v[36:37], v[88:89]
	v_fma_f64 v[90:91], v[32:33], v[40:41], -v[90:91]
	v_fma_f64 v[92:93], v[34:35], v[40:41], v[92:93]
	;; [unrolled: 2-line block ×4, first 2 shown]
	v_mul_f64 v[124:125], v[78:79], v[74:75]
	v_mul_f64 v[74:75], v[76:77], v[74:75]
	ds_read_b128 v[32:35], v30 offset:1536
	ds_read_b128 v[36:39], v30 offset:1792
	v_fma_f64 v[98:99], v[48:49], v[52:53], -v[98:99]
	v_fma_f64 v[100:101], v[50:51], v[52:53], v[100:101]
	v_fma_f64 v[102:103], v[48:49], v[56:57], -v[102:103]
	v_fma_f64 v[104:105], v[50:51], v[56:57], v[104:105]
	;; [unrolled: 2-line block ×7, first 2 shown]
	v_add_f64 v[22:23], v[22:23], v[3:4]
	v_add_f64 v[24:25], v[88:89], v[24:25]
	;; [unrolled: 1-line block ×4, first 2 shown]
	s_waitcnt lgkmcnt(1)
	v_mul_f64 v[110:111], v[82:83], v[34:35]
	v_mul_f64 v[112:113], v[80:81], v[34:35]
	s_waitcnt lgkmcnt(0)
	v_mul_f64 v[70:71], v[82:83], v[38:39]
	v_fma_f64 v[76:77], v[76:77], v[72:73], -v[124:125]
	v_fma_f64 v[72:73], v[78:79], v[72:73], v[74:75]
	v_add_f64 v[74:75], v[14:15], v[94:95]
	v_add_f64 v[78:79], v[120:121], v[16:17]
	;; [unrolled: 1-line block ×4, first 2 shown]
	ds_read_b128 v[40:43], v31 offset:64
	ds_read_b128 v[44:47], v30 offset:2048
	;; [unrolled: 1-line block ×3, first 2 shown]
	v_mul_f64 v[114:115], v[80:81], v[38:39]
	v_mul_f64 v[116:117], v[86:87], v[34:35]
	v_mul_f64 v[34:35], v[84:85], v[34:35]
	v_mul_f64 v[90:91], v[86:87], v[38:39]
	v_mul_f64 v[38:39], v[84:85], v[38:39]
	ds_read_b128 v[52:55], v31 offset:2112
	ds_read_b128 v[14:17], v31 offset:2128
	v_add_f64 v[98:99], v[22:23], v[98:99]
	v_add_f64 v[100:101], v[100:101], v[24:25]
	v_add_f64 v[102:103], v[18:19], v[102:103]
	v_add_f64 v[104:105], v[104:105], v[20:21]
	v_fma_f64 v[92:93], v[80:81], v[32:33], -v[110:111]
	v_fma_f64 v[94:95], v[82:83], v[32:33], v[112:113]
	v_fma_f64 v[70:71], v[80:81], v[36:37], -v[70:71]
	ds_read_b128 v[18:21], v30 offset:2560
	ds_read_b128 v[3:6], v31 offset:80
	;; [unrolled: 1-line block ×3, first 2 shown]
	v_add_f64 v[74:75], v[74:75], v[106:107]
	s_waitcnt lgkmcnt(6)
	v_mul_f64 v[80:81], v[42:43], v[46:47]
	v_mul_f64 v[96:97], v[40:41], v[46:47]
	s_waitcnt lgkmcnt(5)
	v_mul_f64 v[110:111], v[42:43], v[50:51]
	v_mul_f64 v[112:113], v[40:41], v[50:51]
	v_add_f64 v[78:79], v[126:127], v[78:79]
	v_add_f64 v[7:8], v[8:9], v[60:61]
	;; [unrolled: 1-line block ×3, first 2 shown]
	v_fma_f64 v[82:83], v[82:83], v[36:37], v[114:115]
	s_waitcnt lgkmcnt(4)
	v_mul_f64 v[114:115], v[54:55], v[46:47]
	v_mul_f64 v[46:47], v[52:53], v[46:47]
	v_fma_f64 v[60:61], v[84:85], v[32:33], -v[116:117]
	v_fma_f64 v[88:89], v[86:87], v[32:33], v[34:35]
	v_fma_f64 v[84:85], v[84:85], v[36:37], -v[90:91]
	v_fma_f64 v[86:87], v[86:87], v[36:37], v[38:39]
	v_add_f64 v[58:59], v[98:99], v[58:59]
	v_add_f64 v[62:63], v[62:63], v[100:101]
	;; [unrolled: 1-line block ×4, first 2 shown]
	s_waitcnt lgkmcnt(0)
	v_mul_f64 v[98:99], v[3:4], v[24:25]
	v_mul_f64 v[100:101], v[16:17], v[20:21]
	;; [unrolled: 1-line block ×3, first 2 shown]
	v_add_f64 v[74:75], v[74:75], v[108:109]
	v_fma_f64 v[80:81], v[40:41], v[44:45], -v[80:81]
	v_fma_f64 v[90:91], v[42:43], v[44:45], v[96:97]
	v_fma_f64 v[96:97], v[40:41], v[48:49], -v[110:111]
	v_fma_f64 v[106:107], v[42:43], v[48:49], v[112:113]
	v_mul_f64 v[40:41], v[54:55], v[50:51]
	v_mul_f64 v[42:43], v[52:53], v[50:51]
	v_add_f64 v[68:69], v[68:69], v[78:79]
	v_add_f64 v[7:8], v[7:8], v[76:77]
	;; [unrolled: 1-line block ×3, first 2 shown]
	v_fma_f64 v[50:51], v[52:53], v[44:45], -v[114:115]
	v_fma_f64 v[110:111], v[54:55], v[44:45], v[46:47]
	v_mul_f64 v[72:73], v[5:6], v[20:21]
	v_mul_f64 v[76:77], v[3:4], v[20:21]
	;; [unrolled: 1-line block ×5, first 2 shown]
	ds_read_b128 v[32:35], v31 offset:96
	ds_read_b128 v[36:39], v30 offset:3072
	s_add_i32 s9, s9, 8
	s_cmp_lt_i32 s9, s3
	v_add_f64 v[60:61], v[74:75], v[60:61]
	v_fma_f64 v[74:75], v[5:6], v[22:23], v[98:99]
	v_fma_f64 v[52:53], v[52:53], v[48:49], -v[40:41]
	v_fma_f64 v[48:49], v[54:55], v[48:49], v[42:43]
	v_add_f64 v[54:55], v[58:59], v[92:93]
	v_add_f64 v[58:59], v[94:95], v[62:63]
	;; [unrolled: 1-line block ×7, first 2 shown]
	ds_read_b128 v[40:43], v30 offset:3328
	ds_read_b128 v[44:47], v31 offset:2144
	v_fma_f64 v[68:69], v[3:4], v[18:19], -v[72:73]
	v_fma_f64 v[70:71], v[5:6], v[18:19], v[76:77]
	v_fma_f64 v[72:73], v[3:4], v[22:23], -v[78:79]
	v_fma_f64 v[76:77], v[14:15], v[18:19], -v[100:101]
	v_fma_f64 v[78:79], v[16:17], v[18:19], v[20:21]
	v_fma_f64 v[82:83], v[14:15], v[22:23], -v[102:103]
	s_waitcnt lgkmcnt(2)
	v_mul_f64 v[84:85], v[34:35], v[38:39]
	v_fma_f64 v[86:87], v[16:17], v[22:23], v[24:25]
	v_mul_f64 v[88:89], v[32:33], v[38:39]
	v_add_f64 v[50:51], v[60:61], v[50:51]
	ds_read_b128 v[3:6], v31 offset:112
	ds_read_b128 v[14:17], v31 offset:2160
	;; [unrolled: 1-line block ×4, first 2 shown]
	s_waitcnt lgkmcnt(0)
	v_add_f64 v[54:55], v[54:55], v[80:81]
	v_add_f64 v[58:59], v[90:91], v[58:59]
	;; [unrolled: 1-line block ×4, first 2 shown]
	v_mul_f64 v[92:93], v[34:35], v[42:43]
	v_mul_f64 v[94:95], v[32:33], v[42:43]
	;; [unrolled: 1-line block ×4, first 2 shown]
	v_add_f64 v[60:61], v[110:111], v[66:67]
	v_add_f64 v[7:8], v[7:8], v[52:53]
	;; [unrolled: 1-line block ×3, first 2 shown]
	v_mul_f64 v[52:53], v[46:47], v[42:43]
	v_mul_f64 v[42:43], v[44:45], v[42:43]
	s_barrier
	v_fma_f64 v[56:57], v[32:33], v[36:37], -v[84:85]
	buffer_gl0_inv
	v_fma_f64 v[66:67], v[34:35], v[36:37], v[88:89]
	v_add_f64 v[50:51], v[50:51], v[76:77]
	v_fma_f64 v[32:33], v[32:33], v[40:41], -v[92:93]
	v_fma_f64 v[34:35], v[34:35], v[40:41], v[94:95]
	v_fma_f64 v[80:81], v[44:45], v[36:37], -v[98:99]
	v_fma_f64 v[36:37], v[46:47], v[36:37], v[38:39]
	v_add_f64 v[38:39], v[54:55], v[68:69]
	v_add_f64 v[54:55], v[70:71], v[58:59]
	;; [unrolled: 1-line block ×7, first 2 shown]
	v_fma_f64 v[44:45], v[44:45], v[40:41], -v[52:53]
	v_fma_f64 v[40:41], v[46:47], v[40:41], v[42:43]
	v_mul_f64 v[42:43], v[5:6], v[20:21]
	v_mul_f64 v[46:47], v[3:4], v[20:21]
	;; [unrolled: 1-line block ×8, first 2 shown]
	v_add_f64 v[50:51], v[50:51], v[80:81]
	v_add_f64 v[38:39], v[38:39], v[56:57]
	v_add_f64 v[54:55], v[66:67], v[54:55]
	v_add_f64 v[32:33], v[58:59], v[32:33]
	v_add_f64 v[34:35], v[34:35], v[62:63]
	v_add_f64 v[36:37], v[36:37], v[60:61]
	v_add_f64 v[7:8], v[7:8], v[44:45]
	v_add_f64 v[40:41], v[40:41], v[48:49]
	v_fma_f64 v[42:43], v[3:4], v[18:19], -v[42:43]
	v_fma_f64 v[44:45], v[5:6], v[18:19], v[46:47]
	v_fma_f64 v[3:4], v[3:4], v[22:23], -v[52:53]
	v_fma_f64 v[5:6], v[5:6], v[22:23], v[64:65]
	;; [unrolled: 2-line block ×4, first 2 shown]
	v_add_f64 v[22:23], v[38:39], v[42:43]
	v_add_f64 v[24:25], v[44:45], v[54:55]
	v_add_f64 v[18:19], v[32:33], v[3:4]
	v_add_f64 v[20:21], v[5:6], v[34:35]
	v_add_f64 v[14:15], v[50:51], v[46:47]
	v_add_f64 v[16:17], v[48:49], v[36:37]
	v_add_f64 v[8:9], v[7:8], v[52:53]
	v_add_f64 v[6:7], v[56:57], v[40:41]
	s_cbranch_scc0 .LBB424_15
.LBB424_7:                              ; =>This Inner Loop Header: Depth=1
	v_add_nc_u32_e32 v3, s9, v27
	v_cmp_le_i32_e32 vcc_lo, s3, v3
	s_or_b32 s18, s1, vcc_lo
	s_and_saveexec_b32 s19, s18
	s_xor_b32 s18, exec_lo, s19
	s_cbranch_execz .LBB424_9
; %bb.8:                                ;   in Loop: Header=BB424_7 Depth=1
	v_mov_b32_e32 v3, v2
	v_mov_b32_e32 v4, v2
	v_mov_b32_e32 v5, v2
	ds_write_b128 v28, v[2:5]
.LBB424_9:                              ;   in Loop: Header=BB424_7 Depth=1
	s_andn2_saveexec_b32 s18, s18
	s_cbranch_execz .LBB424_11
; %bb.10:                               ;   in Loop: Header=BB424_7 Depth=1
	flat_load_dwordx4 v[32:35], v[10:11]
	s_waitcnt vmcnt(0) lgkmcnt(0)
	ds_write2_b64 v28, v[32:33], v[34:35] offset1:1
.LBB424_11:                             ;   in Loop: Header=BB424_7 Depth=1
	s_or_b32 exec_lo, exec_lo, s18
	v_add_nc_u32_e32 v3, s9, v26
	v_cmp_le_i32_e32 vcc_lo, s3, v3
	s_or_b32 s18, vcc_lo, s0
	s_and_saveexec_b32 s19, s18
	s_xor_b32 s18, exec_lo, s19
	s_cbranch_execz .LBB424_13
; %bb.12:                               ;   in Loop: Header=BB424_7 Depth=1
	v_mov_b32_e32 v3, v2
	v_mov_b32_e32 v4, v2
	;; [unrolled: 1-line block ×3, first 2 shown]
	ds_write_b128 v29, v[2:5]
.LBB424_13:                             ;   in Loop: Header=BB424_7 Depth=1
	s_andn2_saveexec_b32 s18, s18
	s_cbranch_execz .LBB424_6
; %bb.14:                               ;   in Loop: Header=BB424_7 Depth=1
	flat_load_dwordx4 v[32:35], v[12:13]
	s_waitcnt vmcnt(0) lgkmcnt(0)
	ds_write2_b64 v29, v[32:33], v[34:35] offset1:1
	s_branch .LBB424_6
.LBB424_15:
	s_clause 0x1
	s_load_dword s3, s[4:5], 0x60
	s_load_dwordx2 s[4:5], s[4:5], 0x68
	v_cmp_neq_f64_e64 s6, s[14:15], 0
	v_add_nc_u32_e32 v27, s31, v1
	v_add_nc_u32_e32 v4, s8, v0
	v_cmp_le_i32_e32 vcc_lo, v27, v4
	v_cmp_gt_i32_e64 s0, s2, v4
	v_ashrrev_i32_e32 v5, 31, v4
	s_waitcnt lgkmcnt(0)
	v_mad_i64_i32 v[0:1], null, v27, s3, 0
	s_lshl_b64 s[4:5], s[4:5], 4
	s_add_u32 s4, s10, s4
	s_addc_u32 s5, s11, s5
	s_xor_b32 s7, s30, -1
	s_or_b32 s6, s6, s7
	v_lshlrev_b64 v[0:1], 4, v[0:1]
	v_cndmask_b32_e64 v26, 0, 1, s6
	s_and_b32 s7, vcc_lo, s0
	v_add_co_u32 v12, s1, s4, v0
	v_add_co_ci_u32_e64 v13, null, s5, v1, s1
	s_and_saveexec_b32 s1, s7
	s_cbranch_execz .LBB424_19
; %bb.16:
	v_mul_f64 v[0:1], s[22:23], v[24:25]
	v_mul_f64 v[2:3], s[20:21], v[24:25]
	v_lshlrev_b64 v[10:11], 4, v[4:5]
	v_add_co_u32 v10, vcc_lo, v12, v10
	v_add_co_ci_u32_e64 v11, null, v13, v11, vcc_lo
	s_andn2_b32 vcc_lo, exec_lo, s6
	v_fma_f64 v[0:1], s[20:21], v[22:23], -v[0:1]
	v_fma_f64 v[2:3], s[22:23], v[22:23], v[2:3]
	s_cbranch_vccnz .LBB424_18
; %bb.17:
	flat_load_dwordx4 v[22:25], v[10:11]
	s_waitcnt vmcnt(0) lgkmcnt(0)
	v_mul_f64 v[28:29], s[16:17], v[24:25]
	v_mul_f64 v[24:25], s[14:15], v[24:25]
	v_fma_f64 v[28:29], s[14:15], v[22:23], -v[28:29]
	v_fma_f64 v[22:23], s[16:17], v[22:23], v[24:25]
	v_add_f64 v[0:1], v[0:1], v[28:29]
	v_add_f64 v[2:3], v[2:3], v[22:23]
.LBB424_18:
	flat_store_dwordx4 v[10:11], v[0:3]
.LBB424_19:
	s_or_b32 exec_lo, exec_lo, s1
	v_add_nc_u32_e32 v10, 16, v4
	v_cmp_le_i32_e32 vcc_lo, v27, v10
	v_cmp_gt_i32_e64 s1, s2, v10
	v_ashrrev_i32_e32 v11, 31, v10
	s_and_b32 s2, vcc_lo, s1
	s_and_saveexec_b32 s6, s2
	s_cbranch_execz .LBB424_23
; %bb.20:
	v_mul_f64 v[0:1], s[22:23], v[20:21]
	v_mul_f64 v[2:3], s[20:21], v[20:21]
	v_cmp_ne_u32_e32 vcc_lo, 1, v26
	s_and_b32 vcc_lo, exec_lo, vcc_lo
	v_fma_f64 v[0:1], s[20:21], v[18:19], -v[0:1]
	v_fma_f64 v[2:3], s[22:23], v[18:19], v[2:3]
	v_lshlrev_b64 v[18:19], 4, v[10:11]
	v_add_co_u32 v12, s2, v12, v18
	v_add_co_ci_u32_e64 v13, null, v13, v19, s2
	s_cbranch_vccnz .LBB424_22
; %bb.21:
	flat_load_dwordx4 v[18:21], v[12:13]
	s_waitcnt vmcnt(0) lgkmcnt(0)
	v_mul_f64 v[22:23], s[16:17], v[20:21]
	v_mul_f64 v[20:21], s[14:15], v[20:21]
	v_fma_f64 v[22:23], s[14:15], v[18:19], -v[22:23]
	v_fma_f64 v[18:19], s[16:17], v[18:19], v[20:21]
	v_add_f64 v[0:1], v[0:1], v[22:23]
	v_add_f64 v[2:3], v[2:3], v[18:19]
.LBB424_22:
	flat_store_dwordx4 v[12:13], v[0:3]
.LBB424_23:
	s_or_b32 exec_lo, exec_lo, s6
	v_add_nc_u32_e32 v18, 16, v27
	v_mad_i64_i32 v[0:1], null, v18, s3, 0
	v_cmp_le_i32_e32 vcc_lo, v18, v4
	s_and_b32 s0, vcc_lo, s0
	v_lshlrev_b64 v[0:1], 4, v[0:1]
	v_add_co_u32 v12, s2, s4, v0
	v_add_co_ci_u32_e64 v13, null, s5, v1, s2
	s_and_saveexec_b32 s2, s0
	s_cbranch_execz .LBB424_27
; %bb.24:
	v_mul_f64 v[0:1], s[22:23], v[16:17]
	v_mul_f64 v[2:3], s[20:21], v[16:17]
	v_lshlrev_b64 v[4:5], 4, v[4:5]
	v_cmp_ne_u32_e32 vcc_lo, 1, v26
	s_and_b32 vcc_lo, exec_lo, vcc_lo
	v_add_co_u32 v4, s0, v12, v4
	v_add_co_ci_u32_e64 v5, null, v13, v5, s0
	v_fma_f64 v[0:1], s[20:21], v[14:15], -v[0:1]
	v_fma_f64 v[2:3], s[22:23], v[14:15], v[2:3]
	s_cbranch_vccnz .LBB424_26
; %bb.25:
	flat_load_dwordx4 v[14:17], v[4:5]
	s_waitcnt vmcnt(0) lgkmcnt(0)
	v_mul_f64 v[19:20], s[16:17], v[16:17]
	v_mul_f64 v[16:17], s[14:15], v[16:17]
	v_fma_f64 v[19:20], s[14:15], v[14:15], -v[19:20]
	v_fma_f64 v[14:15], s[16:17], v[14:15], v[16:17]
	v_add_f64 v[0:1], v[0:1], v[19:20]
	v_add_f64 v[2:3], v[2:3], v[14:15]
.LBB424_26:
	flat_store_dwordx4 v[4:5], v[0:3]
.LBB424_27:
	s_or_b32 exec_lo, exec_lo, s2
	v_cmp_le_i32_e32 vcc_lo, v18, v10
	s_and_b32 s0, vcc_lo, s1
	s_and_saveexec_b32 s1, s0
	s_cbranch_execz .LBB424_32
; %bb.28:
	v_mul_f64 v[0:1], s[22:23], v[6:7]
	v_mul_f64 v[2:3], s[20:21], v[6:7]
	v_lshlrev_b64 v[4:5], 4, v[10:11]
	v_cmp_ne_u32_e32 vcc_lo, 1, v26
	s_and_b32 vcc_lo, exec_lo, vcc_lo
	v_add_co_u32 v4, s0, v12, v4
	v_add_co_ci_u32_e64 v5, null, v13, v5, s0
	v_fma_f64 v[0:1], s[20:21], v[8:9], -v[0:1]
	v_fma_f64 v[2:3], s[22:23], v[8:9], v[2:3]
	s_cbranch_vccnz .LBB424_30
; %bb.29:
	flat_load_dwordx4 v[6:9], v[4:5]
	s_waitcnt vmcnt(0) lgkmcnt(0)
	v_mul_f64 v[10:11], s[16:17], v[8:9]
	v_mul_f64 v[8:9], s[14:15], v[8:9]
	v_fma_f64 v[10:11], s[14:15], v[6:7], -v[10:11]
	v_fma_f64 v[6:7], s[16:17], v[6:7], v[8:9]
	v_add_f64 v[0:1], v[0:1], v[10:11]
	v_add_f64 v[2:3], v[2:3], v[6:7]
.LBB424_30:
	flat_store_dwordx4 v[4:5], v[0:3]
	s_endpgm
.LBB424_31:
.LBB424_32:
	s_endpgm
	.section	.rodata,"a",@progbits
	.p2align	6, 0x0
	.amdhsa_kernel _ZL29rocblas_internal_gemmt_kernelIiLi16ELi32ELi8ELc78ELc84ELc76ELb0ELb0E19rocblas_complex_numIdES1_PKPKS1_PKPS1_EviT_T9_T10_S9_lSB_S9_lSA_T11_S9_li
		.amdhsa_group_segment_fixed_size 8192
		.amdhsa_private_segment_fixed_size 0
		.amdhsa_kernarg_size 116
		.amdhsa_user_sgpr_count 6
		.amdhsa_user_sgpr_private_segment_buffer 1
		.amdhsa_user_sgpr_dispatch_ptr 0
		.amdhsa_user_sgpr_queue_ptr 0
		.amdhsa_user_sgpr_kernarg_segment_ptr 1
		.amdhsa_user_sgpr_dispatch_id 0
		.amdhsa_user_sgpr_flat_scratch_init 0
		.amdhsa_user_sgpr_private_segment_size 0
		.amdhsa_wavefront_size32 1
		.amdhsa_uses_dynamic_stack 0
		.amdhsa_system_sgpr_private_segment_wavefront_offset 0
		.amdhsa_system_sgpr_workgroup_id_x 1
		.amdhsa_system_sgpr_workgroup_id_y 1
		.amdhsa_system_sgpr_workgroup_id_z 1
		.amdhsa_system_sgpr_workgroup_info 0
		.amdhsa_system_vgpr_workitem_id 1
		.amdhsa_next_free_vgpr 128
		.amdhsa_next_free_sgpr 36
		.amdhsa_reserve_vcc 1
		.amdhsa_reserve_flat_scratch 0
		.amdhsa_float_round_mode_32 0
		.amdhsa_float_round_mode_16_64 0
		.amdhsa_float_denorm_mode_32 3
		.amdhsa_float_denorm_mode_16_64 3
		.amdhsa_dx10_clamp 1
		.amdhsa_ieee_mode 1
		.amdhsa_fp16_overflow 0
		.amdhsa_workgroup_processor_mode 1
		.amdhsa_memory_ordered 1
		.amdhsa_forward_progress 1
		.amdhsa_shared_vgpr_count 0
		.amdhsa_exception_fp_ieee_invalid_op 0
		.amdhsa_exception_fp_denorm_src 0
		.amdhsa_exception_fp_ieee_div_zero 0
		.amdhsa_exception_fp_ieee_overflow 0
		.amdhsa_exception_fp_ieee_underflow 0
		.amdhsa_exception_fp_ieee_inexact 0
		.amdhsa_exception_int_div_zero 0
	.end_amdhsa_kernel
	.section	.text._ZL29rocblas_internal_gemmt_kernelIiLi16ELi32ELi8ELc78ELc84ELc76ELb0ELb0E19rocblas_complex_numIdES1_PKPKS1_PKPS1_EviT_T9_T10_S9_lSB_S9_lSA_T11_S9_li,"axG",@progbits,_ZL29rocblas_internal_gemmt_kernelIiLi16ELi32ELi8ELc78ELc84ELc76ELb0ELb0E19rocblas_complex_numIdES1_PKPKS1_PKPS1_EviT_T9_T10_S9_lSB_S9_lSA_T11_S9_li,comdat
.Lfunc_end424:
	.size	_ZL29rocblas_internal_gemmt_kernelIiLi16ELi32ELi8ELc78ELc84ELc76ELb0ELb0E19rocblas_complex_numIdES1_PKPKS1_PKPS1_EviT_T9_T10_S9_lSB_S9_lSA_T11_S9_li, .Lfunc_end424-_ZL29rocblas_internal_gemmt_kernelIiLi16ELi32ELi8ELc78ELc84ELc76ELb0ELb0E19rocblas_complex_numIdES1_PKPKS1_PKPS1_EviT_T9_T10_S9_lSB_S9_lSA_T11_S9_li
                                        ; -- End function
	.set _ZL29rocblas_internal_gemmt_kernelIiLi16ELi32ELi8ELc78ELc84ELc76ELb0ELb0E19rocblas_complex_numIdES1_PKPKS1_PKPS1_EviT_T9_T10_S9_lSB_S9_lSA_T11_S9_li.num_vgpr, 128
	.set _ZL29rocblas_internal_gemmt_kernelIiLi16ELi32ELi8ELc78ELc84ELc76ELb0ELb0E19rocblas_complex_numIdES1_PKPKS1_PKPS1_EviT_T9_T10_S9_lSB_S9_lSA_T11_S9_li.num_agpr, 0
	.set _ZL29rocblas_internal_gemmt_kernelIiLi16ELi32ELi8ELc78ELc84ELc76ELb0ELb0E19rocblas_complex_numIdES1_PKPKS1_PKPS1_EviT_T9_T10_S9_lSB_S9_lSA_T11_S9_li.numbered_sgpr, 36
	.set _ZL29rocblas_internal_gemmt_kernelIiLi16ELi32ELi8ELc78ELc84ELc76ELb0ELb0E19rocblas_complex_numIdES1_PKPKS1_PKPS1_EviT_T9_T10_S9_lSB_S9_lSA_T11_S9_li.num_named_barrier, 0
	.set _ZL29rocblas_internal_gemmt_kernelIiLi16ELi32ELi8ELc78ELc84ELc76ELb0ELb0E19rocblas_complex_numIdES1_PKPKS1_PKPS1_EviT_T9_T10_S9_lSB_S9_lSA_T11_S9_li.private_seg_size, 0
	.set _ZL29rocblas_internal_gemmt_kernelIiLi16ELi32ELi8ELc78ELc84ELc76ELb0ELb0E19rocblas_complex_numIdES1_PKPKS1_PKPS1_EviT_T9_T10_S9_lSB_S9_lSA_T11_S9_li.uses_vcc, 1
	.set _ZL29rocblas_internal_gemmt_kernelIiLi16ELi32ELi8ELc78ELc84ELc76ELb0ELb0E19rocblas_complex_numIdES1_PKPKS1_PKPS1_EviT_T9_T10_S9_lSB_S9_lSA_T11_S9_li.uses_flat_scratch, 0
	.set _ZL29rocblas_internal_gemmt_kernelIiLi16ELi32ELi8ELc78ELc84ELc76ELb0ELb0E19rocblas_complex_numIdES1_PKPKS1_PKPS1_EviT_T9_T10_S9_lSB_S9_lSA_T11_S9_li.has_dyn_sized_stack, 0
	.set _ZL29rocblas_internal_gemmt_kernelIiLi16ELi32ELi8ELc78ELc84ELc76ELb0ELb0E19rocblas_complex_numIdES1_PKPKS1_PKPS1_EviT_T9_T10_S9_lSB_S9_lSA_T11_S9_li.has_recursion, 0
	.set _ZL29rocblas_internal_gemmt_kernelIiLi16ELi32ELi8ELc78ELc84ELc76ELb0ELb0E19rocblas_complex_numIdES1_PKPKS1_PKPS1_EviT_T9_T10_S9_lSB_S9_lSA_T11_S9_li.has_indirect_call, 0
	.section	.AMDGPU.csdata,"",@progbits
; Kernel info:
; codeLenInByte = 3540
; TotalNumSgprs: 38
; NumVgprs: 128
; ScratchSize: 0
; MemoryBound: 0
; FloatMode: 240
; IeeeMode: 1
; LDSByteSize: 8192 bytes/workgroup (compile time only)
; SGPRBlocks: 0
; VGPRBlocks: 15
; NumSGPRsForWavesPerEU: 38
; NumVGPRsForWavesPerEU: 128
; Occupancy: 8
; WaveLimiterHint : 1
; COMPUTE_PGM_RSRC2:SCRATCH_EN: 0
; COMPUTE_PGM_RSRC2:USER_SGPR: 6
; COMPUTE_PGM_RSRC2:TRAP_HANDLER: 0
; COMPUTE_PGM_RSRC2:TGID_X_EN: 1
; COMPUTE_PGM_RSRC2:TGID_Y_EN: 1
; COMPUTE_PGM_RSRC2:TGID_Z_EN: 1
; COMPUTE_PGM_RSRC2:TIDIG_COMP_CNT: 1
	.section	.text._ZL29rocblas_internal_gemmt_kernelIiLi16ELi32ELi8ELc78ELc67ELc76ELb0ELb1E19rocblas_complex_numIdES1_PKPKS1_PKPS1_EviT_T9_T10_S9_lSB_S9_lSA_T11_S9_li,"axG",@progbits,_ZL29rocblas_internal_gemmt_kernelIiLi16ELi32ELi8ELc78ELc67ELc76ELb0ELb1E19rocblas_complex_numIdES1_PKPKS1_PKPS1_EviT_T9_T10_S9_lSB_S9_lSA_T11_S9_li,comdat
	.globl	_ZL29rocblas_internal_gemmt_kernelIiLi16ELi32ELi8ELc78ELc67ELc76ELb0ELb1E19rocblas_complex_numIdES1_PKPKS1_PKPS1_EviT_T9_T10_S9_lSB_S9_lSA_T11_S9_li ; -- Begin function _ZL29rocblas_internal_gemmt_kernelIiLi16ELi32ELi8ELc78ELc67ELc76ELb0ELb1E19rocblas_complex_numIdES1_PKPKS1_PKPS1_EviT_T9_T10_S9_lSB_S9_lSA_T11_S9_li
	.p2align	8
	.type	_ZL29rocblas_internal_gemmt_kernelIiLi16ELi32ELi8ELc78ELc67ELc76ELb0ELb1E19rocblas_complex_numIdES1_PKPKS1_PKPS1_EviT_T9_T10_S9_lSB_S9_lSA_T11_S9_li,@function
_ZL29rocblas_internal_gemmt_kernelIiLi16ELi32ELi8ELc78ELc67ELc76ELb0ELb1E19rocblas_complex_numIdES1_PKPKS1_PKPS1_EviT_T9_T10_S9_lSB_S9_lSA_T11_S9_li: ; @_ZL29rocblas_internal_gemmt_kernelIiLi16ELi32ELi8ELc78ELc67ELc76ELb0ELb1E19rocblas_complex_numIdES1_PKPKS1_PKPS1_EviT_T9_T10_S9_lSB_S9_lSA_T11_S9_li
; %bb.0:
	s_clause 0x2
	s_load_dwordx8 s[12:19], s[4:5], 0x40
	s_load_dwordx2 s[2:3], s[4:5], 0x0
	s_load_dwordx4 s[20:23], s[4:5], 0x8
	s_waitcnt lgkmcnt(0)
	v_cmp_eq_f64_e64 s0, s[14:15], 1.0
	v_cmp_eq_f64_e64 s30, s[16:17], 0
	s_and_b32 s0, s0, s30
	s_andn2_b32 vcc_lo, exec_lo, s0
	s_mov_b32 s0, -1
	s_cbranch_vccnz .LBB425_3
; %bb.1:
	s_cmp_lg_u32 s3, 0
	s_cbranch_scc0 .LBB425_29
; %bb.2:
	v_cmp_neq_f64_e64 s0, s[20:21], 0
	v_cmp_neq_f64_e64 s1, s[22:23], 0
	s_or_b32 s0, s0, s1
.LBB425_3:
	s_and_b32 vcc_lo, exec_lo, s0
	s_cbranch_vccz .LBB425_30
; %bb.4:
	v_cmp_eq_f64_e64 s24, s[20:21], 0
	v_cmp_eq_f64_e64 s25, s[22:23], 0
	s_mov_b32 s9, 0
	v_mov_b32_e32 v23, 0
	s_lshl_b64 s[28:29], s[8:9], 3
	v_mov_b32_e32 v25, 0
	s_add_u32 s0, s18, s28
	s_addc_u32 s1, s19, s29
	s_lshl_b32 s8, s6, 5
	s_load_dwordx2 s[10:11], s[0:1], 0x0
	s_lshl_b32 s31, s7, 5
	v_mov_b32_e32 v19, 0
	v_mov_b32_e32 v21, 0
	;; [unrolled: 1-line block ×12, first 2 shown]
	s_and_b32 s0, s24, s25
	s_cmp_lt_i32 s3, 1
	v_mov_b32_e32 v10, 0
	s_cselect_b32 s1, -1, 0
	v_mov_b32_e32 v8, 0
	s_or_b32 s0, s0, s1
	s_and_b32 vcc_lo, exec_lo, s0
	s_cbranch_vccnz .LBB425_13
; %bb.5:
	s_clause 0x3
	s_load_dword s6, s[4:5], 0x20
	s_load_dword s18, s[4:5], 0x38
	s_load_dwordx4 s[24:27], s[4:5], 0x28
	s_load_dwordx2 s[34:35], s[4:5], 0x18
	v_lshl_add_u32 v2, v1, 4, v0
	v_and_b32_e32 v27, 7, v0
	v_mov_b32_e32 v17, 0
	v_mov_b32_e32 v15, 0
	;; [unrolled: 1-line block ×3, first 2 shown]
	v_and_b32_e32 v8, 31, v2
	v_lshrrev_b32_e32 v3, 3, v2
	v_lshrrev_b32_e32 v28, 5, v2
	v_lshlrev_b32_e32 v4, 4, v27
	v_mov_b32_e32 v19, 0
	v_or_b32_e32 v5, s8, v8
	v_lshlrev_b32_e32 v6, 4, v8
	v_add_nc_u32_e32 v2, s31, v3
	v_lshl_or_b32 v3, v3, 7, v4
	v_add_nc_u32_e32 v8, s8, v8
	v_cmp_gt_i32_e64 s0, s2, v5
	v_lshl_or_b32 v29, v28, 9, v6
	s_waitcnt lgkmcnt(0)
	v_mad_i64_i32 v[4:5], null, v28, s6, 0
	s_ashr_i32 s7, s6, 31
	s_ashr_i32 s19, s18, 31
	s_add_u32 s26, s26, s28
	s_addc_u32 s27, s27, s29
	s_add_u32 s28, s34, s28
	v_mad_i64_i32 v[6:7], null, s18, v27, 0
	s_addc_u32 s29, s35, s29
	s_load_dwordx2 s[26:27], s[26:27], 0x0
	s_load_dwordx2 s[28:29], s[28:29], 0x0
	v_lshlrev_b64 v[4:5], 4, v[4:5]
	v_ashrrev_i32_e32 v9, 31, v8
	s_lshl_b64 s[24:25], s[24:25], 4
	v_add_nc_u32_e32 v30, 0x1000, v3
	v_ashrrev_i32_e32 v3, 31, v2
	v_lshlrev_b64 v[6:7], 4, v[6:7]
	v_add_co_u32 v10, s1, v4, s24
	v_add_co_ci_u32_e64 v11, null, s25, v5, s1
	v_lshlrev_b64 v[4:5], 4, v[8:9]
	s_lshl_b64 s[12:13], s[12:13], 4
	v_cmp_gt_i32_e32 vcc_lo, s2, v2
	v_lshlrev_b64 v[2:3], 4, v[2:3]
	v_add_co_u32 v6, s1, v6, s12
	v_add_co_ci_u32_e64 v7, null, s13, v7, s1
	v_add_co_u32 v4, s1, v10, v4
	v_add_co_ci_u32_e64 v5, null, v11, v5, s1
	;; [unrolled: 2-line block ×3, first 2 shown]
	s_waitcnt lgkmcnt(0)
	v_add_co_u32 v11, s1, s28, v4
	v_add_co_ci_u32_e64 v12, null, s29, v5, s1
	v_add_co_u32 v13, s1, s26, v2
	v_mov_b32_e32 v7, 0
	v_mov_b32_e32 v9, 0
	;; [unrolled: 1-line block ×4, first 2 shown]
	v_lshlrev_b32_e32 v31, 4, v0
	v_lshl_add_u32 v32, v1, 7, 0x1000
	v_add_co_ci_u32_e64 v14, null, s27, v3, s1
	v_mov_b32_e32 v8, 0
	v_mov_b32_e32 v10, 0
	v_mov_b32_e32 v18, 0
	v_mov_b32_e32 v16, 0
	v_mov_b32_e32 v22, 0
	v_mov_b32_e32 v20, 0
	v_mov_b32_e32 v26, 0
	v_mov_b32_e32 v24, 0
	v_mov_b32_e32 v2, 0
	s_lshl_b64 s[6:7], s[6:7], 7
	s_lshl_b64 s[12:13], s[18:19], 7
	s_xor_b32 s1, s0, -1
	s_branch .LBB425_7
.LBB425_6:                              ;   in Loop: Header=BB425_7 Depth=1
	s_or_b32 exec_lo, exec_lo, s0
	ds_write_b128 v30, v[3:6]
	s_waitcnt lgkmcnt(0)
	s_barrier
	buffer_gl0_inv
	ds_read_b128 v[3:6], v32
	ds_read_b128 v[33:36], v31
	ds_read_b128 v[37:40], v31 offset:256
	ds_read_b128 v[41:44], v32 offset:2048
	;; [unrolled: 1-line block ×12, first 2 shown]
	v_add_co_u32 v11, s0, v11, s6
	v_add_co_ci_u32_e64 v12, null, s7, v12, s0
	v_add_co_u32 v13, s0, v13, s12
	v_add_co_ci_u32_e64 v14, null, s13, v14, s0
	s_waitcnt lgkmcnt(12)
	v_mul_f64 v[85:86], v[5:6], v[35:36]
	v_mul_f64 v[87:88], v[3:4], v[35:36]
	s_waitcnt lgkmcnt(11)
	v_mul_f64 v[89:90], v[5:6], v[39:40]
	v_mul_f64 v[91:92], v[3:4], v[39:40]
	;; [unrolled: 3-line block ×3, first 2 shown]
	v_mul_f64 v[95:96], v[43:44], v[39:40]
	v_mul_f64 v[39:40], v[41:42], v[39:40]
	s_waitcnt lgkmcnt(8)
	v_mul_f64 v[97:98], v[47:48], v[51:52]
	v_mul_f64 v[99:100], v[45:46], v[51:52]
	s_waitcnt lgkmcnt(7)
	;; [unrolled: 3-line block ×3, first 2 shown]
	v_mul_f64 v[105:106], v[59:60], v[51:52]
	v_mul_f64 v[51:52], v[57:58], v[51:52]
	;; [unrolled: 1-line block ×4, first 2 shown]
	s_waitcnt lgkmcnt(4)
	v_mul_f64 v[109:110], v[63:64], v[67:68]
	v_mul_f64 v[111:112], v[61:62], v[67:68]
	s_waitcnt lgkmcnt(3)
	v_mul_f64 v[113:114], v[63:64], v[71:72]
	v_mul_f64 v[115:116], v[61:62], v[71:72]
	s_waitcnt lgkmcnt(2)
	v_mul_f64 v[117:118], v[75:76], v[67:68]
	v_mul_f64 v[67:68], v[73:74], v[67:68]
	v_fma_f64 v[85:86], v[3:4], v[33:34], -v[85:86]
	v_fma_f64 v[87:88], v[5:6], v[33:34], v[87:88]
	v_fma_f64 v[89:90], v[3:4], v[37:38], -v[89:90]
	v_fma_f64 v[91:92], v[5:6], v[37:38], v[91:92]
	;; [unrolled: 2-line block ×4, first 2 shown]
	v_mul_f64 v[123:124], v[75:76], v[71:72]
	v_mul_f64 v[71:72], v[73:74], v[71:72]
	v_fma_f64 v[97:98], v[45:46], v[49:50], -v[97:98]
	v_fma_f64 v[99:100], v[47:48], v[49:50], v[99:100]
	v_fma_f64 v[101:102], v[45:46], v[53:54], -v[101:102]
	v_fma_f64 v[103:104], v[47:48], v[53:54], v[103:104]
	;; [unrolled: 2-line block ×7, first 2 shown]
	v_add_f64 v[23:24], v[23:24], v[85:86]
	v_add_f64 v[25:26], v[87:88], v[25:26]
	v_add_f64 v[19:20], v[19:20], v[89:90]
	v_add_f64 v[21:22], v[91:92], v[21:22]
	v_add_f64 v[9:10], v[9:10], v[95:96]
	v_add_f64 v[85:86], v[121:122], v[7:8]
	v_fma_f64 v[73:74], v[73:74], v[69:70], -v[123:124]
	v_fma_f64 v[69:70], v[75:76], v[69:70], v[71:72]
	v_add_f64 v[71:72], v[15:16], v[93:94]
	v_add_f64 v[75:76], v[119:120], v[17:18]
	ds_read_b128 v[3:6], v31 offset:1536
	ds_read_b128 v[33:36], v31 offset:1792
	;; [unrolled: 1-line block ×7, first 2 shown]
	s_add_i32 s9, s9, 8
	s_cmp_lt_i32 s9, s3
	v_add_f64 v[97:98], v[23:24], v[97:98]
	v_add_f64 v[99:100], v[99:100], v[25:26]
	;; [unrolled: 1-line block ×6, first 2 shown]
	ds_read_b128 v[19:22], v31 offset:2560
	ds_read_b128 v[23:26], v31 offset:2816
	s_waitcnt lgkmcnt(8)
	v_mul_f64 v[109:110], v[79:80], v[5:6]
	v_mul_f64 v[111:112], v[77:78], v[5:6]
	s_waitcnt lgkmcnt(7)
	v_mul_f64 v[67:68], v[79:80], v[35:36]
	v_mul_f64 v[113:114], v[77:78], v[35:36]
	;; [unrolled: 1-line block ×6, first 2 shown]
	s_waitcnt lgkmcnt(4)
	v_mul_f64 v[95:96], v[39:40], v[47:48]
	v_add_f64 v[71:72], v[71:72], v[105:106]
	v_add_f64 v[75:76], v[125:126], v[75:76]
	v_mul_f64 v[93:94], v[37:38], v[43:44]
	ds_read_b128 v[5:8], v32 offset:80
	v_add_f64 v[55:56], v[97:98], v[55:56]
	v_add_f64 v[59:60], v[59:60], v[99:100]
	;; [unrolled: 1-line block ×6, first 2 shown]
	s_waitcnt lgkmcnt(2)
	v_mul_f64 v[99:100], v[17:18], v[21:22]
	s_waitcnt lgkmcnt(1)
	v_mul_f64 v[101:102], v[17:18], v[25:26]
	v_fma_f64 v[89:90], v[77:78], v[3:4], -v[109:110]
	v_fma_f64 v[91:92], v[79:80], v[3:4], v[111:112]
	v_fma_f64 v[67:68], v[77:78], v[33:34], -v[67:68]
	v_mul_f64 v[77:78], v[39:40], v[43:44]
	v_mul_f64 v[109:110], v[37:38], v[47:48]
	v_fma_f64 v[79:80], v[79:80], v[33:34], v[113:114]
	v_mul_f64 v[111:112], v[51:52], v[43:44]
	v_mul_f64 v[43:44], v[49:50], v[43:44]
	v_fma_f64 v[57:58], v[81:82], v[3:4], -v[115:116]
	v_fma_f64 v[3:4], v[83:84], v[3:4], v[117:118]
	v_fma_f64 v[81:82], v[81:82], v[33:34], -v[87:88]
	v_fma_f64 v[83:84], v[83:84], v[33:34], v[35:36]
	v_fma_f64 v[87:88], v[37:38], v[45:46], -v[95:96]
	v_mul_f64 v[95:96], v[51:52], v[47:48]
	v_mul_f64 v[47:48], v[49:50], v[47:48]
	v_add_f64 v[71:72], v[71:72], v[107:108]
	v_add_f64 v[65:66], v[65:66], v[75:76]
	v_fma_f64 v[85:86], v[39:40], v[41:42], v[93:94]
	s_waitcnt lgkmcnt(0)
	v_mul_f64 v[69:70], v[7:8], v[21:22]
	v_mul_f64 v[73:74], v[5:6], v[21:22]
	;; [unrolled: 1-line block ×6, first 2 shown]
	v_add_f64 v[55:56], v[55:56], v[89:90]
	v_fma_f64 v[77:78], v[37:38], v[41:42], -v[77:78]
	v_fma_f64 v[93:94], v[39:40], v[45:46], v[109:110]
	v_add_f64 v[59:60], v[91:92], v[59:60]
	v_fma_f64 v[105:106], v[49:50], v[41:42], -v[111:112]
	v_fma_f64 v[109:110], v[51:52], v[41:42], v[43:44]
	v_add_f64 v[61:62], v[61:62], v[67:68]
	v_add_f64 v[63:64], v[79:80], v[63:64]
	;; [unrolled: 1-line block ×4, first 2 shown]
	ds_read_b128 v[33:36], v32 offset:96
	ds_read_b128 v[37:40], v31 offset:3072
	v_fma_f64 v[49:50], v[49:50], v[45:46], -v[95:96]
	v_fma_f64 v[51:52], v[51:52], v[45:46], v[47:48]
	v_add_f64 v[57:58], v[71:72], v[57:58]
	v_add_f64 v[65:66], v[3:4], v[65:66]
	ds_read_b128 v[41:44], v31 offset:3328
	ds_read_b128 v[45:48], v32 offset:2144
	v_fma_f64 v[69:70], v[5:6], v[19:20], -v[69:70]
	v_fma_f64 v[71:72], v[7:8], v[19:20], v[73:74]
	v_fma_f64 v[73:74], v[5:6], v[23:24], -v[75:76]
	v_fma_f64 v[75:76], v[7:8], v[23:24], v[97:98]
	;; [unrolled: 2-line block ×4, first 2 shown]
	v_add_f64 v[55:56], v[55:56], v[77:78]
	v_add_f64 v[59:60], v[85:86], v[59:60]
	ds_read_b128 v[3:6], v32 offset:112
	ds_read_b128 v[7:10], v32 offset:2160
	v_add_f64 v[61:62], v[61:62], v[87:88]
	v_add_f64 v[63:64], v[93:94], v[63:64]
	s_waitcnt lgkmcnt(4)
	v_mul_f64 v[89:90], v[35:36], v[39:40]
	v_mul_f64 v[25:26], v[33:34], v[39:40]
	ds_read_b128 v[15:18], v31 offset:3584
	ds_read_b128 v[19:22], v31 offset:3840
	v_add_f64 v[49:50], v[67:68], v[49:50]
	s_waitcnt lgkmcnt(5)
	v_mul_f64 v[91:92], v[35:36], v[43:44]
	v_mul_f64 v[95:96], v[33:34], v[43:44]
	s_waitcnt lgkmcnt(4)
	v_mul_f64 v[97:98], v[47:48], v[39:40]
	v_mul_f64 v[39:40], v[45:46], v[39:40]
	v_add_f64 v[57:58], v[57:58], v[105:106]
	v_add_f64 v[65:66], v[109:110], v[65:66]
	;; [unrolled: 1-line block ×3, first 2 shown]
	v_mul_f64 v[53:54], v[47:48], v[43:44]
	v_mul_f64 v[43:44], v[45:46], v[43:44]
	s_waitcnt lgkmcnt(0)
	s_barrier
	buffer_gl0_inv
	v_fma_f64 v[67:68], v[33:34], v[37:38], -v[89:90]
	v_fma_f64 v[25:26], v[35:36], v[37:38], v[25:26]
	v_add_f64 v[49:50], v[49:50], v[83:84]
	v_fma_f64 v[33:34], v[33:34], v[41:42], -v[91:92]
	v_fma_f64 v[35:36], v[35:36], v[41:42], v[95:96]
	v_fma_f64 v[77:78], v[45:46], v[37:38], -v[97:98]
	v_fma_f64 v[37:38], v[47:48], v[37:38], v[39:40]
	v_add_f64 v[39:40], v[55:56], v[69:70]
	v_add_f64 v[55:56], v[71:72], v[59:60]
	;; [unrolled: 1-line block ×7, first 2 shown]
	v_fma_f64 v[45:46], v[45:46], v[41:42], -v[53:54]
	v_fma_f64 v[41:42], v[47:48], v[41:42], v[43:44]
	v_mul_f64 v[43:44], v[5:6], v[17:18]
	v_mul_f64 v[47:48], v[3:4], v[17:18]
	;; [unrolled: 1-line block ×8, first 2 shown]
	v_add_f64 v[39:40], v[39:40], v[67:68]
	v_add_f64 v[25:26], v[25:26], v[55:56]
	;; [unrolled: 1-line block ×8, first 2 shown]
	v_fma_f64 v[23:24], v[3:4], v[15:16], -v[43:44]
	v_fma_f64 v[43:44], v[5:6], v[15:16], v[47:48]
	v_fma_f64 v[3:4], v[3:4], v[19:20], -v[51:52]
	v_fma_f64 v[5:6], v[5:6], v[19:20], v[53:54]
	;; [unrolled: 2-line block ×4, first 2 shown]
	v_add_f64 v[23:24], v[39:40], v[23:24]
	v_add_f64 v[25:26], v[43:44], v[25:26]
	;; [unrolled: 1-line block ×8, first 2 shown]
	s_cbranch_scc0 .LBB425_13
.LBB425_7:                              ; =>This Inner Loop Header: Depth=1
	v_add_nc_u32_e32 v3, s9, v28
	v_cmp_le_i32_e64 s0, s3, v3
	s_or_b32 s0, s1, s0
	s_and_saveexec_b32 s18, s0
	s_xor_b32 s0, exec_lo, s18
	s_cbranch_execz .LBB425_9
; %bb.8:                                ;   in Loop: Header=BB425_7 Depth=1
	v_mov_b32_e32 v3, v2
	v_mov_b32_e32 v4, v2
	;; [unrolled: 1-line block ×3, first 2 shown]
	ds_write_b128 v29, v[2:5]
.LBB425_9:                              ;   in Loop: Header=BB425_7 Depth=1
	s_andn2_saveexec_b32 s0, s0
	s_cbranch_execz .LBB425_11
; %bb.10:                               ;   in Loop: Header=BB425_7 Depth=1
	flat_load_dwordx4 v[3:6], v[11:12]
	s_waitcnt vmcnt(0) lgkmcnt(0)
	ds_write2_b64 v29, v[3:4], v[5:6] offset1:1
.LBB425_11:                             ;   in Loop: Header=BB425_7 Depth=1
	s_or_b32 exec_lo, exec_lo, s0
	v_add_nc_u32_e32 v3, s9, v27
	v_mov_b32_e32 v5, 0
	v_mov_b32_e32 v6, 0
	v_cmp_gt_i32_e64 s0, s3, v3
	v_mov_b32_e32 v3, 0
	v_mov_b32_e32 v4, 0
	s_and_b32 s18, s0, vcc_lo
	s_and_saveexec_b32 s0, s18
	s_cbranch_execz .LBB425_6
; %bb.12:                               ;   in Loop: Header=BB425_7 Depth=1
	flat_load_dwordx4 v[3:6], v[13:14]
	s_waitcnt vmcnt(0) lgkmcnt(0)
	v_xor_b32_e32 v6, 0x80000000, v6
	s_branch .LBB425_6
.LBB425_13:
	s_clause 0x1
	s_load_dword s3, s[4:5], 0x60
	s_load_dwordx2 s[4:5], s[4:5], 0x68
	v_cmp_neq_f64_e64 s6, s[14:15], 0
	v_add_nc_u32_e32 v27, s31, v1
	v_add_nc_u32_e32 v4, s8, v0
	v_cmp_le_i32_e32 vcc_lo, v27, v4
	v_cmp_gt_i32_e64 s0, s2, v4
	v_ashrrev_i32_e32 v5, 31, v4
	s_waitcnt lgkmcnt(0)
	v_mad_i64_i32 v[0:1], null, v27, s3, 0
	s_lshl_b64 s[4:5], s[4:5], 4
	s_add_u32 s4, s10, s4
	s_addc_u32 s5, s11, s5
	s_xor_b32 s7, s30, -1
	s_or_b32 s6, s6, s7
	v_lshlrev_b64 v[0:1], 4, v[0:1]
	v_cndmask_b32_e64 v6, 0, 1, s6
	s_and_b32 s7, vcc_lo, s0
	v_add_co_u32 v13, s1, s4, v0
	v_add_co_ci_u32_e64 v14, null, s5, v1, s1
	s_and_saveexec_b32 s1, s7
	s_cbranch_execz .LBB425_17
; %bb.14:
	v_mul_f64 v[0:1], s[22:23], v[25:26]
	v_mul_f64 v[2:3], s[20:21], v[25:26]
	v_lshlrev_b64 v[11:12], 4, v[4:5]
	v_add_co_u32 v11, vcc_lo, v13, v11
	v_add_co_ci_u32_e64 v12, null, v14, v12, vcc_lo
	s_andn2_b32 vcc_lo, exec_lo, s6
	v_fma_f64 v[0:1], s[20:21], v[23:24], -v[0:1]
	v_fma_f64 v[2:3], s[22:23], v[23:24], v[2:3]
	s_cbranch_vccnz .LBB425_16
; %bb.15:
	flat_load_dwordx4 v[23:26], v[11:12]
	s_waitcnt vmcnt(0) lgkmcnt(0)
	v_mul_f64 v[28:29], s[16:17], v[25:26]
	v_mul_f64 v[25:26], s[14:15], v[25:26]
	v_fma_f64 v[28:29], s[14:15], v[23:24], -v[28:29]
	v_fma_f64 v[23:24], s[16:17], v[23:24], v[25:26]
	v_add_f64 v[0:1], v[0:1], v[28:29]
	v_add_f64 v[2:3], v[2:3], v[23:24]
.LBB425_16:
	flat_store_dwordx4 v[11:12], v[0:3]
.LBB425_17:
	s_or_b32 exec_lo, exec_lo, s1
	v_add_nc_u32_e32 v11, 16, v4
	v_cmp_le_i32_e32 vcc_lo, v27, v11
	v_cmp_gt_i32_e64 s1, s2, v11
	v_ashrrev_i32_e32 v12, 31, v11
	s_and_b32 s2, vcc_lo, s1
	s_and_saveexec_b32 s6, s2
	s_cbranch_execz .LBB425_21
; %bb.18:
	v_mul_f64 v[0:1], s[22:23], v[21:22]
	v_mul_f64 v[2:3], s[20:21], v[21:22]
	v_cmp_ne_u32_e32 vcc_lo, 1, v6
	s_and_b32 vcc_lo, exec_lo, vcc_lo
	v_fma_f64 v[0:1], s[20:21], v[19:20], -v[0:1]
	v_fma_f64 v[2:3], s[22:23], v[19:20], v[2:3]
	v_lshlrev_b64 v[19:20], 4, v[11:12]
	v_add_co_u32 v13, s2, v13, v19
	v_add_co_ci_u32_e64 v14, null, v14, v20, s2
	s_cbranch_vccnz .LBB425_20
; %bb.19:
	flat_load_dwordx4 v[19:22], v[13:14]
	s_waitcnt vmcnt(0) lgkmcnt(0)
	v_mul_f64 v[23:24], s[16:17], v[21:22]
	v_mul_f64 v[21:22], s[14:15], v[21:22]
	v_fma_f64 v[23:24], s[14:15], v[19:20], -v[23:24]
	v_fma_f64 v[19:20], s[16:17], v[19:20], v[21:22]
	v_add_f64 v[0:1], v[0:1], v[23:24]
	v_add_f64 v[2:3], v[2:3], v[19:20]
.LBB425_20:
	flat_store_dwordx4 v[13:14], v[0:3]
.LBB425_21:
	s_or_b32 exec_lo, exec_lo, s6
	v_add_nc_u32_e32 v19, 16, v27
	v_mad_i64_i32 v[0:1], null, v19, s3, 0
	v_cmp_le_i32_e32 vcc_lo, v19, v4
	s_and_b32 s0, vcc_lo, s0
	v_lshlrev_b64 v[0:1], 4, v[0:1]
	v_add_co_u32 v13, s2, s4, v0
	v_add_co_ci_u32_e64 v14, null, s5, v1, s2
	s_and_saveexec_b32 s2, s0
	s_cbranch_execz .LBB425_25
; %bb.22:
	v_mul_f64 v[0:1], s[22:23], v[17:18]
	v_mul_f64 v[2:3], s[20:21], v[17:18]
	v_lshlrev_b64 v[4:5], 4, v[4:5]
	v_cmp_ne_u32_e32 vcc_lo, 1, v6
	s_and_b32 vcc_lo, exec_lo, vcc_lo
	v_add_co_u32 v4, s0, v13, v4
	v_add_co_ci_u32_e64 v5, null, v14, v5, s0
	v_fma_f64 v[0:1], s[20:21], v[15:16], -v[0:1]
	v_fma_f64 v[2:3], s[22:23], v[15:16], v[2:3]
	s_cbranch_vccnz .LBB425_24
; %bb.23:
	flat_load_dwordx4 v[15:18], v[4:5]
	s_waitcnt vmcnt(0) lgkmcnt(0)
	v_mul_f64 v[20:21], s[16:17], v[17:18]
	v_mul_f64 v[17:18], s[14:15], v[17:18]
	v_fma_f64 v[20:21], s[14:15], v[15:16], -v[20:21]
	v_fma_f64 v[15:16], s[16:17], v[15:16], v[17:18]
	v_add_f64 v[0:1], v[0:1], v[20:21]
	v_add_f64 v[2:3], v[2:3], v[15:16]
.LBB425_24:
	flat_store_dwordx4 v[4:5], v[0:3]
.LBB425_25:
	s_or_b32 exec_lo, exec_lo, s2
	v_cmp_le_i32_e32 vcc_lo, v19, v11
	s_and_b32 s0, vcc_lo, s1
	s_and_saveexec_b32 s1, s0
	s_cbranch_execz .LBB425_30
; %bb.26:
	v_mul_f64 v[0:1], s[22:23], v[7:8]
	v_mul_f64 v[2:3], s[20:21], v[7:8]
	v_lshlrev_b64 v[4:5], 4, v[11:12]
	v_cmp_ne_u32_e32 vcc_lo, 1, v6
	s_and_b32 vcc_lo, exec_lo, vcc_lo
	v_add_co_u32 v4, s0, v13, v4
	v_add_co_ci_u32_e64 v5, null, v14, v5, s0
	v_fma_f64 v[0:1], s[20:21], v[9:10], -v[0:1]
	v_fma_f64 v[2:3], s[22:23], v[9:10], v[2:3]
	s_cbranch_vccnz .LBB425_28
; %bb.27:
	flat_load_dwordx4 v[6:9], v[4:5]
	s_waitcnt vmcnt(0) lgkmcnt(0)
	v_mul_f64 v[10:11], s[16:17], v[8:9]
	v_mul_f64 v[8:9], s[14:15], v[8:9]
	v_fma_f64 v[10:11], s[14:15], v[6:7], -v[10:11]
	v_fma_f64 v[6:7], s[16:17], v[6:7], v[8:9]
	v_add_f64 v[0:1], v[0:1], v[10:11]
	v_add_f64 v[2:3], v[2:3], v[6:7]
.LBB425_28:
	flat_store_dwordx4 v[4:5], v[0:3]
	s_endpgm
.LBB425_29:
.LBB425_30:
	s_endpgm
	.section	.rodata,"a",@progbits
	.p2align	6, 0x0
	.amdhsa_kernel _ZL29rocblas_internal_gemmt_kernelIiLi16ELi32ELi8ELc78ELc67ELc76ELb0ELb1E19rocblas_complex_numIdES1_PKPKS1_PKPS1_EviT_T9_T10_S9_lSB_S9_lSA_T11_S9_li
		.amdhsa_group_segment_fixed_size 8192
		.amdhsa_private_segment_fixed_size 0
		.amdhsa_kernarg_size 116
		.amdhsa_user_sgpr_count 6
		.amdhsa_user_sgpr_private_segment_buffer 1
		.amdhsa_user_sgpr_dispatch_ptr 0
		.amdhsa_user_sgpr_queue_ptr 0
		.amdhsa_user_sgpr_kernarg_segment_ptr 1
		.amdhsa_user_sgpr_dispatch_id 0
		.amdhsa_user_sgpr_flat_scratch_init 0
		.amdhsa_user_sgpr_private_segment_size 0
		.amdhsa_wavefront_size32 1
		.amdhsa_uses_dynamic_stack 0
		.amdhsa_system_sgpr_private_segment_wavefront_offset 0
		.amdhsa_system_sgpr_workgroup_id_x 1
		.amdhsa_system_sgpr_workgroup_id_y 1
		.amdhsa_system_sgpr_workgroup_id_z 1
		.amdhsa_system_sgpr_workgroup_info 0
		.amdhsa_system_vgpr_workitem_id 1
		.amdhsa_next_free_vgpr 127
		.amdhsa_next_free_sgpr 36
		.amdhsa_reserve_vcc 1
		.amdhsa_reserve_flat_scratch 0
		.amdhsa_float_round_mode_32 0
		.amdhsa_float_round_mode_16_64 0
		.amdhsa_float_denorm_mode_32 3
		.amdhsa_float_denorm_mode_16_64 3
		.amdhsa_dx10_clamp 1
		.amdhsa_ieee_mode 1
		.amdhsa_fp16_overflow 0
		.amdhsa_workgroup_processor_mode 1
		.amdhsa_memory_ordered 1
		.amdhsa_forward_progress 1
		.amdhsa_shared_vgpr_count 0
		.amdhsa_exception_fp_ieee_invalid_op 0
		.amdhsa_exception_fp_denorm_src 0
		.amdhsa_exception_fp_ieee_div_zero 0
		.amdhsa_exception_fp_ieee_overflow 0
		.amdhsa_exception_fp_ieee_underflow 0
		.amdhsa_exception_fp_ieee_inexact 0
		.amdhsa_exception_int_div_zero 0
	.end_amdhsa_kernel
	.section	.text._ZL29rocblas_internal_gemmt_kernelIiLi16ELi32ELi8ELc78ELc67ELc76ELb0ELb1E19rocblas_complex_numIdES1_PKPKS1_PKPS1_EviT_T9_T10_S9_lSB_S9_lSA_T11_S9_li,"axG",@progbits,_ZL29rocblas_internal_gemmt_kernelIiLi16ELi32ELi8ELc78ELc67ELc76ELb0ELb1E19rocblas_complex_numIdES1_PKPKS1_PKPS1_EviT_T9_T10_S9_lSB_S9_lSA_T11_S9_li,comdat
.Lfunc_end425:
	.size	_ZL29rocblas_internal_gemmt_kernelIiLi16ELi32ELi8ELc78ELc67ELc76ELb0ELb1E19rocblas_complex_numIdES1_PKPKS1_PKPS1_EviT_T9_T10_S9_lSB_S9_lSA_T11_S9_li, .Lfunc_end425-_ZL29rocblas_internal_gemmt_kernelIiLi16ELi32ELi8ELc78ELc67ELc76ELb0ELb1E19rocblas_complex_numIdES1_PKPKS1_PKPS1_EviT_T9_T10_S9_lSB_S9_lSA_T11_S9_li
                                        ; -- End function
	.set _ZL29rocblas_internal_gemmt_kernelIiLi16ELi32ELi8ELc78ELc67ELc76ELb0ELb1E19rocblas_complex_numIdES1_PKPKS1_PKPS1_EviT_T9_T10_S9_lSB_S9_lSA_T11_S9_li.num_vgpr, 127
	.set _ZL29rocblas_internal_gemmt_kernelIiLi16ELi32ELi8ELc78ELc67ELc76ELb0ELb1E19rocblas_complex_numIdES1_PKPKS1_PKPS1_EviT_T9_T10_S9_lSB_S9_lSA_T11_S9_li.num_agpr, 0
	.set _ZL29rocblas_internal_gemmt_kernelIiLi16ELi32ELi8ELc78ELc67ELc76ELb0ELb1E19rocblas_complex_numIdES1_PKPKS1_PKPS1_EviT_T9_T10_S9_lSB_S9_lSA_T11_S9_li.numbered_sgpr, 36
	.set _ZL29rocblas_internal_gemmt_kernelIiLi16ELi32ELi8ELc78ELc67ELc76ELb0ELb1E19rocblas_complex_numIdES1_PKPKS1_PKPS1_EviT_T9_T10_S9_lSB_S9_lSA_T11_S9_li.num_named_barrier, 0
	.set _ZL29rocblas_internal_gemmt_kernelIiLi16ELi32ELi8ELc78ELc67ELc76ELb0ELb1E19rocblas_complex_numIdES1_PKPKS1_PKPS1_EviT_T9_T10_S9_lSB_S9_lSA_T11_S9_li.private_seg_size, 0
	.set _ZL29rocblas_internal_gemmt_kernelIiLi16ELi32ELi8ELc78ELc67ELc76ELb0ELb1E19rocblas_complex_numIdES1_PKPKS1_PKPS1_EviT_T9_T10_S9_lSB_S9_lSA_T11_S9_li.uses_vcc, 1
	.set _ZL29rocblas_internal_gemmt_kernelIiLi16ELi32ELi8ELc78ELc67ELc76ELb0ELb1E19rocblas_complex_numIdES1_PKPKS1_PKPS1_EviT_T9_T10_S9_lSB_S9_lSA_T11_S9_li.uses_flat_scratch, 0
	.set _ZL29rocblas_internal_gemmt_kernelIiLi16ELi32ELi8ELc78ELc67ELc76ELb0ELb1E19rocblas_complex_numIdES1_PKPKS1_PKPS1_EviT_T9_T10_S9_lSB_S9_lSA_T11_S9_li.has_dyn_sized_stack, 0
	.set _ZL29rocblas_internal_gemmt_kernelIiLi16ELi32ELi8ELc78ELc67ELc76ELb0ELb1E19rocblas_complex_numIdES1_PKPKS1_PKPS1_EviT_T9_T10_S9_lSB_S9_lSA_T11_S9_li.has_recursion, 0
	.set _ZL29rocblas_internal_gemmt_kernelIiLi16ELi32ELi8ELc78ELc67ELc76ELb0ELb1E19rocblas_complex_numIdES1_PKPKS1_PKPS1_EviT_T9_T10_S9_lSB_S9_lSA_T11_S9_li.has_indirect_call, 0
	.section	.AMDGPU.csdata,"",@progbits
; Kernel info:
; codeLenInByte = 3544
; TotalNumSgprs: 38
; NumVgprs: 127
; ScratchSize: 0
; MemoryBound: 1
; FloatMode: 240
; IeeeMode: 1
; LDSByteSize: 8192 bytes/workgroup (compile time only)
; SGPRBlocks: 0
; VGPRBlocks: 15
; NumSGPRsForWavesPerEU: 38
; NumVGPRsForWavesPerEU: 127
; Occupancy: 8
; WaveLimiterHint : 1
; COMPUTE_PGM_RSRC2:SCRATCH_EN: 0
; COMPUTE_PGM_RSRC2:USER_SGPR: 6
; COMPUTE_PGM_RSRC2:TRAP_HANDLER: 0
; COMPUTE_PGM_RSRC2:TGID_X_EN: 1
; COMPUTE_PGM_RSRC2:TGID_Y_EN: 1
; COMPUTE_PGM_RSRC2:TGID_Z_EN: 1
; COMPUTE_PGM_RSRC2:TIDIG_COMP_CNT: 1
	.section	.text._ZL29rocblas_internal_gemmt_kernelIiLi16ELi32ELi8ELc84ELc78ELc76ELb0ELb0E19rocblas_complex_numIdES1_PKPKS1_PKPS1_EviT_T9_T10_S9_lSB_S9_lSA_T11_S9_li,"axG",@progbits,_ZL29rocblas_internal_gemmt_kernelIiLi16ELi32ELi8ELc84ELc78ELc76ELb0ELb0E19rocblas_complex_numIdES1_PKPKS1_PKPS1_EviT_T9_T10_S9_lSB_S9_lSA_T11_S9_li,comdat
	.globl	_ZL29rocblas_internal_gemmt_kernelIiLi16ELi32ELi8ELc84ELc78ELc76ELb0ELb0E19rocblas_complex_numIdES1_PKPKS1_PKPS1_EviT_T9_T10_S9_lSB_S9_lSA_T11_S9_li ; -- Begin function _ZL29rocblas_internal_gemmt_kernelIiLi16ELi32ELi8ELc84ELc78ELc76ELb0ELb0E19rocblas_complex_numIdES1_PKPKS1_PKPS1_EviT_T9_T10_S9_lSB_S9_lSA_T11_S9_li
	.p2align	8
	.type	_ZL29rocblas_internal_gemmt_kernelIiLi16ELi32ELi8ELc84ELc78ELc76ELb0ELb0E19rocblas_complex_numIdES1_PKPKS1_PKPS1_EviT_T9_T10_S9_lSB_S9_lSA_T11_S9_li,@function
_ZL29rocblas_internal_gemmt_kernelIiLi16ELi32ELi8ELc84ELc78ELc76ELb0ELb0E19rocblas_complex_numIdES1_PKPKS1_PKPS1_EviT_T9_T10_S9_lSB_S9_lSA_T11_S9_li: ; @_ZL29rocblas_internal_gemmt_kernelIiLi16ELi32ELi8ELc84ELc78ELc76ELb0ELb0E19rocblas_complex_numIdES1_PKPKS1_PKPS1_EviT_T9_T10_S9_lSB_S9_lSA_T11_S9_li
; %bb.0:
	s_clause 0x2
	s_load_dwordx8 s[12:19], s[4:5], 0x40
	s_load_dwordx2 s[2:3], s[4:5], 0x0
	s_load_dwordx4 s[20:23], s[4:5], 0x8
	s_waitcnt lgkmcnt(0)
	v_cmp_eq_f64_e64 s0, s[14:15], 1.0
	v_cmp_eq_f64_e64 s28, s[16:17], 0
	s_and_b32 s0, s0, s28
	s_andn2_b32 vcc_lo, exec_lo, s0
	s_mov_b32 s0, -1
	s_cbranch_vccnz .LBB426_3
; %bb.1:
	s_cmp_lg_u32 s3, 0
	s_cbranch_scc0 .LBB426_31
; %bb.2:
	v_cmp_neq_f64_e64 s0, s[20:21], 0
	v_cmp_neq_f64_e64 s1, s[22:23], 0
	s_or_b32 s0, s0, s1
.LBB426_3:
	s_and_b32 vcc_lo, exec_lo, s0
	s_cbranch_vccz .LBB426_32
; %bb.4:
	v_cmp_eq_f64_e64 s24, s[20:21], 0
	v_cmp_eq_f64_e64 s25, s[22:23], 0
	s_mov_b32 s9, 0
	v_mov_b32_e32 v22, 0
	s_lshl_b64 s[0:1], s[8:9], 3
	v_mov_b32_e32 v24, 0
	s_add_u32 s10, s18, s0
	s_addc_u32 s11, s19, s1
	s_lshl_b32 s6, s6, 5
	s_load_dwordx2 s[10:11], s[10:11], 0x0
	s_lshl_b32 s7, s7, 5
	v_mov_b32_e32 v18, 0
	v_mov_b32_e32 v20, 0
	v_mov_b32_e32 v14, 0
	v_mov_b32_e32 v16, 0
	v_mov_b32_e32 v8, 0
	v_mov_b32_e32 v6, 0
	v_mov_b32_e32 v23, 0
	v_mov_b32_e32 v25, 0
	v_mov_b32_e32 v19, 0
	v_mov_b32_e32 v21, 0
	v_mov_b32_e32 v15, 0
	v_mov_b32_e32 v17, 0
	s_and_b32 s8, s24, s25
	s_cmp_lt_i32 s3, 1
	v_mov_b32_e32 v9, 0
	s_cselect_b32 s18, -1, 0
	v_mov_b32_e32 v7, 0
	s_or_b32 s8, s8, s18
	s_and_b32 vcc_lo, exec_lo, s8
	s_cbranch_vccnz .LBB426_15
; %bb.5:
	s_clause 0x3
	s_load_dwordx4 s[24:27], s[4:5], 0x28
	s_load_dword s8, s[4:5], 0x20
	s_load_dword s29, s[4:5], 0x38
	s_load_dwordx2 s[18:19], s[4:5], 0x18
	v_lshl_add_u32 v2, v1, 4, v0
	v_and_b32_e32 v26, 7, v0
	v_mov_b32_e32 v16, 0
	v_mov_b32_e32 v14, 0
	;; [unrolled: 1-line block ×3, first 2 shown]
	v_and_b32_e32 v3, 31, v2
	v_lshrrev_b32_e32 v4, 3, v2
	v_lshrrev_b32_e32 v27, 5, v2
	v_lshlrev_b32_e32 v6, 4, v26
	v_mov_b32_e32 v18, 0
	v_or_b32_e32 v2, s6, v3
	v_lshlrev_b32_e32 v8, 4, v3
	v_add_nc_u32_e32 v3, s6, v3
	v_add_nc_u32_e32 v7, s7, v4
	v_lshl_or_b32 v9, v4, 7, v6
	v_cmp_gt_i32_e32 vcc_lo, s2, v2
	v_lshl_or_b32 v28, v27, 9, v8
	s_waitcnt lgkmcnt(0)
	s_add_u32 s26, s26, s0
	v_mad_i64_i32 v[2:3], null, s8, v3, 0
	s_addc_u32 s27, s27, s1
	v_mad_i64_i32 v[4:5], null, s29, v7, 0
	s_add_u32 s0, s18, s0
	s_addc_u32 s1, s19, s1
	s_load_dwordx2 s[18:19], s[26:27], 0x0
	s_load_dwordx2 s[26:27], s[0:1], 0x0
	v_lshlrev_b64 v[2:3], 4, v[2:3]
	s_lshl_b64 s[24:25], s[24:25], 4
	v_cmp_gt_i32_e64 s0, s2, v7
	v_lshlrev_b64 v[4:5], 4, v[4:5]
	v_lshlrev_b32_e32 v7, 4, v27
	s_lshl_b64 s[12:13], s[12:13], 4
	v_add_co_u32 v2, s1, v2, s24
	v_add_co_ci_u32_e64 v3, null, s25, v3, s1
	v_add_co_u32 v4, s1, v4, s12
	v_add_co_ci_u32_e64 v5, null, s13, v5, s1
	;; [unrolled: 2-line block ×4, first 2 shown]
	s_waitcnt lgkmcnt(0)
	v_add_co_u32 v10, s1, s26, v2
	v_add_co_ci_u32_e64 v11, null, s27, v3, s1
	v_add_co_u32 v12, s1, s18, v4
	v_add_nc_u32_e32 v29, 0x1000, v9
	v_mov_b32_e32 v6, 0
	v_mov_b32_e32 v8, 0
	;; [unrolled: 1-line block ×4, first 2 shown]
	v_lshlrev_b32_e32 v30, 4, v0
	v_lshl_add_u32 v31, v1, 7, 0x1000
	v_add_co_ci_u32_e64 v13, null, s19, v5, s1
	v_mov_b32_e32 v7, 0
	v_mov_b32_e32 v9, 0
	;; [unrolled: 1-line block ×9, first 2 shown]
	s_xor_b32 s1, vcc_lo, -1
	s_xor_b32 s0, s0, -1
	s_branch .LBB426_7
.LBB426_6:                              ;   in Loop: Header=BB426_7 Depth=1
	s_or_b32 exec_lo, exec_lo, s8
	s_waitcnt lgkmcnt(0)
	s_barrier
	buffer_gl0_inv
	ds_read_b128 v[32:35], v31
	ds_read_b128 v[36:39], v30
	ds_read_b128 v[40:43], v30 offset:256
	ds_read_b128 v[44:47], v31 offset:2048
	;; [unrolled: 1-line block ×12, first 2 shown]
	v_add_co_u32 v10, vcc_lo, 0x80, v10
	v_add_co_ci_u32_e64 v11, null, 0, v11, vcc_lo
	v_add_co_u32 v12, vcc_lo, 0x80, v12
	v_add_co_ci_u32_e64 v13, null, 0, v13, vcc_lo
	s_waitcnt lgkmcnt(12)
	v_mul_f64 v[3:4], v[34:35], v[38:39]
	v_mul_f64 v[88:89], v[32:33], v[38:39]
	s_waitcnt lgkmcnt(11)
	v_mul_f64 v[90:91], v[34:35], v[42:43]
	v_mul_f64 v[92:93], v[32:33], v[42:43]
	;; [unrolled: 3-line block ×3, first 2 shown]
	v_mul_f64 v[96:97], v[46:47], v[42:43]
	v_mul_f64 v[42:43], v[44:45], v[42:43]
	s_waitcnt lgkmcnt(8)
	v_mul_f64 v[98:99], v[50:51], v[54:55]
	v_mul_f64 v[100:101], v[48:49], v[54:55]
	s_waitcnt lgkmcnt(7)
	;; [unrolled: 3-line block ×3, first 2 shown]
	v_mul_f64 v[106:107], v[62:63], v[54:55]
	v_mul_f64 v[54:55], v[60:61], v[54:55]
	;; [unrolled: 1-line block ×4, first 2 shown]
	s_waitcnt lgkmcnt(4)
	v_mul_f64 v[110:111], v[66:67], v[70:71]
	v_mul_f64 v[112:113], v[64:65], v[70:71]
	s_waitcnt lgkmcnt(3)
	v_mul_f64 v[114:115], v[66:67], v[74:75]
	v_mul_f64 v[116:117], v[64:65], v[74:75]
	;; [unrolled: 3-line block ×3, first 2 shown]
	v_fma_f64 v[3:4], v[32:33], v[36:37], -v[3:4]
	v_fma_f64 v[88:89], v[34:35], v[36:37], v[88:89]
	v_fma_f64 v[90:91], v[32:33], v[40:41], -v[90:91]
	v_fma_f64 v[92:93], v[34:35], v[40:41], v[92:93]
	;; [unrolled: 2-line block ×4, first 2 shown]
	v_mul_f64 v[124:125], v[78:79], v[74:75]
	v_mul_f64 v[74:75], v[76:77], v[74:75]
	ds_read_b128 v[32:35], v30 offset:1536
	ds_read_b128 v[36:39], v30 offset:1792
	v_fma_f64 v[98:99], v[48:49], v[52:53], -v[98:99]
	v_fma_f64 v[100:101], v[50:51], v[52:53], v[100:101]
	v_fma_f64 v[102:103], v[48:49], v[56:57], -v[102:103]
	v_fma_f64 v[104:105], v[50:51], v[56:57], v[104:105]
	;; [unrolled: 2-line block ×7, first 2 shown]
	v_add_f64 v[22:23], v[22:23], v[3:4]
	v_add_f64 v[24:25], v[88:89], v[24:25]
	v_add_f64 v[18:19], v[18:19], v[90:91]
	v_add_f64 v[20:21], v[92:93], v[20:21]
	s_waitcnt lgkmcnt(1)
	v_mul_f64 v[110:111], v[82:83], v[34:35]
	v_mul_f64 v[112:113], v[80:81], v[34:35]
	s_waitcnt lgkmcnt(0)
	v_mul_f64 v[70:71], v[82:83], v[38:39]
	v_fma_f64 v[76:77], v[76:77], v[72:73], -v[124:125]
	v_fma_f64 v[72:73], v[78:79], v[72:73], v[74:75]
	v_add_f64 v[74:75], v[14:15], v[94:95]
	v_add_f64 v[78:79], v[120:121], v[16:17]
	;; [unrolled: 1-line block ×4, first 2 shown]
	ds_read_b128 v[40:43], v31 offset:64
	ds_read_b128 v[44:47], v30 offset:2048
	;; [unrolled: 1-line block ×3, first 2 shown]
	v_mul_f64 v[114:115], v[80:81], v[38:39]
	v_mul_f64 v[116:117], v[86:87], v[34:35]
	;; [unrolled: 1-line block ×5, first 2 shown]
	ds_read_b128 v[52:55], v31 offset:2112
	ds_read_b128 v[14:17], v31 offset:2128
	v_add_f64 v[98:99], v[22:23], v[98:99]
	v_add_f64 v[100:101], v[100:101], v[24:25]
	;; [unrolled: 1-line block ×4, first 2 shown]
	v_fma_f64 v[92:93], v[80:81], v[32:33], -v[110:111]
	v_fma_f64 v[94:95], v[82:83], v[32:33], v[112:113]
	v_fma_f64 v[70:71], v[80:81], v[36:37], -v[70:71]
	ds_read_b128 v[18:21], v30 offset:2560
	ds_read_b128 v[3:6], v31 offset:80
	;; [unrolled: 1-line block ×3, first 2 shown]
	v_add_f64 v[74:75], v[74:75], v[106:107]
	s_waitcnt lgkmcnt(6)
	v_mul_f64 v[80:81], v[42:43], v[46:47]
	v_mul_f64 v[96:97], v[40:41], v[46:47]
	s_waitcnt lgkmcnt(5)
	v_mul_f64 v[110:111], v[42:43], v[50:51]
	v_mul_f64 v[112:113], v[40:41], v[50:51]
	v_add_f64 v[78:79], v[126:127], v[78:79]
	v_add_f64 v[7:8], v[8:9], v[60:61]
	;; [unrolled: 1-line block ×3, first 2 shown]
	v_fma_f64 v[82:83], v[82:83], v[36:37], v[114:115]
	s_waitcnt lgkmcnt(4)
	v_mul_f64 v[114:115], v[54:55], v[46:47]
	v_mul_f64 v[46:47], v[52:53], v[46:47]
	v_fma_f64 v[60:61], v[84:85], v[32:33], -v[116:117]
	v_fma_f64 v[88:89], v[86:87], v[32:33], v[34:35]
	v_fma_f64 v[84:85], v[84:85], v[36:37], -v[90:91]
	v_fma_f64 v[86:87], v[86:87], v[36:37], v[38:39]
	v_add_f64 v[58:59], v[98:99], v[58:59]
	v_add_f64 v[62:63], v[62:63], v[100:101]
	;; [unrolled: 1-line block ×4, first 2 shown]
	s_waitcnt lgkmcnt(0)
	v_mul_f64 v[98:99], v[3:4], v[24:25]
	v_mul_f64 v[100:101], v[16:17], v[20:21]
	;; [unrolled: 1-line block ×3, first 2 shown]
	v_add_f64 v[74:75], v[74:75], v[108:109]
	v_fma_f64 v[80:81], v[40:41], v[44:45], -v[80:81]
	v_fma_f64 v[90:91], v[42:43], v[44:45], v[96:97]
	v_fma_f64 v[96:97], v[40:41], v[48:49], -v[110:111]
	v_fma_f64 v[106:107], v[42:43], v[48:49], v[112:113]
	v_mul_f64 v[40:41], v[54:55], v[50:51]
	v_mul_f64 v[42:43], v[52:53], v[50:51]
	v_add_f64 v[68:69], v[68:69], v[78:79]
	v_add_f64 v[7:8], v[7:8], v[76:77]
	v_add_f64 v[56:57], v[72:73], v[56:57]
	v_fma_f64 v[50:51], v[52:53], v[44:45], -v[114:115]
	v_fma_f64 v[110:111], v[54:55], v[44:45], v[46:47]
	v_mul_f64 v[72:73], v[5:6], v[20:21]
	v_mul_f64 v[76:77], v[3:4], v[20:21]
	;; [unrolled: 1-line block ×5, first 2 shown]
	ds_read_b128 v[32:35], v31 offset:96
	ds_read_b128 v[36:39], v30 offset:3072
	s_add_i32 s9, s9, 8
	s_cmp_lt_i32 s9, s3
	v_add_f64 v[60:61], v[74:75], v[60:61]
	v_fma_f64 v[74:75], v[5:6], v[22:23], v[98:99]
	v_fma_f64 v[52:53], v[52:53], v[48:49], -v[40:41]
	v_fma_f64 v[48:49], v[54:55], v[48:49], v[42:43]
	v_add_f64 v[54:55], v[58:59], v[92:93]
	v_add_f64 v[58:59], v[94:95], v[62:63]
	v_add_f64 v[62:63], v[64:65], v[70:71]
	v_add_f64 v[64:65], v[82:83], v[66:67]
	v_add_f64 v[66:67], v[88:89], v[68:69]
	v_add_f64 v[7:8], v[7:8], v[84:85]
	v_add_f64 v[56:57], v[86:87], v[56:57]
	ds_read_b128 v[40:43], v30 offset:3328
	ds_read_b128 v[44:47], v31 offset:2144
	v_fma_f64 v[68:69], v[3:4], v[18:19], -v[72:73]
	v_fma_f64 v[70:71], v[5:6], v[18:19], v[76:77]
	v_fma_f64 v[72:73], v[3:4], v[22:23], -v[78:79]
	v_fma_f64 v[76:77], v[14:15], v[18:19], -v[100:101]
	v_fma_f64 v[78:79], v[16:17], v[18:19], v[20:21]
	v_fma_f64 v[82:83], v[14:15], v[22:23], -v[102:103]
	s_waitcnt lgkmcnt(2)
	v_mul_f64 v[84:85], v[34:35], v[38:39]
	v_fma_f64 v[86:87], v[16:17], v[22:23], v[24:25]
	v_mul_f64 v[88:89], v[32:33], v[38:39]
	v_add_f64 v[50:51], v[60:61], v[50:51]
	ds_read_b128 v[3:6], v31 offset:112
	ds_read_b128 v[14:17], v31 offset:2160
	;; [unrolled: 1-line block ×4, first 2 shown]
	s_waitcnt lgkmcnt(0)
	v_add_f64 v[54:55], v[54:55], v[80:81]
	v_add_f64 v[58:59], v[90:91], v[58:59]
	;; [unrolled: 1-line block ×4, first 2 shown]
	v_mul_f64 v[92:93], v[34:35], v[42:43]
	v_mul_f64 v[94:95], v[32:33], v[42:43]
	;; [unrolled: 1-line block ×4, first 2 shown]
	v_add_f64 v[60:61], v[110:111], v[66:67]
	v_add_f64 v[7:8], v[7:8], v[52:53]
	;; [unrolled: 1-line block ×3, first 2 shown]
	v_mul_f64 v[52:53], v[46:47], v[42:43]
	v_mul_f64 v[42:43], v[44:45], v[42:43]
	s_barrier
	v_fma_f64 v[56:57], v[32:33], v[36:37], -v[84:85]
	buffer_gl0_inv
	v_fma_f64 v[66:67], v[34:35], v[36:37], v[88:89]
	v_add_f64 v[50:51], v[50:51], v[76:77]
	v_fma_f64 v[32:33], v[32:33], v[40:41], -v[92:93]
	v_fma_f64 v[34:35], v[34:35], v[40:41], v[94:95]
	v_fma_f64 v[80:81], v[44:45], v[36:37], -v[98:99]
	v_fma_f64 v[36:37], v[46:47], v[36:37], v[38:39]
	v_add_f64 v[38:39], v[54:55], v[68:69]
	v_add_f64 v[54:55], v[70:71], v[58:59]
	;; [unrolled: 1-line block ×7, first 2 shown]
	v_fma_f64 v[44:45], v[44:45], v[40:41], -v[52:53]
	v_fma_f64 v[40:41], v[46:47], v[40:41], v[42:43]
	v_mul_f64 v[42:43], v[5:6], v[20:21]
	v_mul_f64 v[46:47], v[3:4], v[20:21]
	;; [unrolled: 1-line block ×8, first 2 shown]
	v_add_f64 v[50:51], v[50:51], v[80:81]
	v_add_f64 v[38:39], v[38:39], v[56:57]
	;; [unrolled: 1-line block ×8, first 2 shown]
	v_fma_f64 v[42:43], v[3:4], v[18:19], -v[42:43]
	v_fma_f64 v[44:45], v[5:6], v[18:19], v[46:47]
	v_fma_f64 v[3:4], v[3:4], v[22:23], -v[52:53]
	v_fma_f64 v[5:6], v[5:6], v[22:23], v[64:65]
	;; [unrolled: 2-line block ×4, first 2 shown]
	v_add_f64 v[22:23], v[38:39], v[42:43]
	v_add_f64 v[24:25], v[44:45], v[54:55]
	;; [unrolled: 1-line block ×8, first 2 shown]
	s_cbranch_scc0 .LBB426_15
.LBB426_7:                              ; =>This Inner Loop Header: Depth=1
	v_add_nc_u32_e32 v3, s9, v27
	v_cmp_le_i32_e32 vcc_lo, s3, v3
	s_or_b32 s8, s1, vcc_lo
	s_and_saveexec_b32 s12, s8
	s_xor_b32 s8, exec_lo, s12
	s_cbranch_execz .LBB426_9
; %bb.8:                                ;   in Loop: Header=BB426_7 Depth=1
	v_mov_b32_e32 v3, v2
	v_mov_b32_e32 v4, v2
	;; [unrolled: 1-line block ×3, first 2 shown]
	ds_write_b128 v28, v[2:5]
.LBB426_9:                              ;   in Loop: Header=BB426_7 Depth=1
	s_andn2_saveexec_b32 s8, s8
	s_cbranch_execz .LBB426_11
; %bb.10:                               ;   in Loop: Header=BB426_7 Depth=1
	flat_load_dwordx4 v[32:35], v[10:11]
	s_waitcnt vmcnt(0) lgkmcnt(0)
	ds_write2_b64 v28, v[32:33], v[34:35] offset1:1
.LBB426_11:                             ;   in Loop: Header=BB426_7 Depth=1
	s_or_b32 exec_lo, exec_lo, s8
	v_add_nc_u32_e32 v3, s9, v26
	v_cmp_le_i32_e32 vcc_lo, s3, v3
	s_or_b32 s8, vcc_lo, s0
	s_and_saveexec_b32 s12, s8
	s_xor_b32 s8, exec_lo, s12
	s_cbranch_execz .LBB426_13
; %bb.12:                               ;   in Loop: Header=BB426_7 Depth=1
	v_mov_b32_e32 v3, v2
	v_mov_b32_e32 v4, v2
	;; [unrolled: 1-line block ×3, first 2 shown]
	ds_write_b128 v29, v[2:5]
.LBB426_13:                             ;   in Loop: Header=BB426_7 Depth=1
	s_andn2_saveexec_b32 s8, s8
	s_cbranch_execz .LBB426_6
; %bb.14:                               ;   in Loop: Header=BB426_7 Depth=1
	flat_load_dwordx4 v[32:35], v[12:13]
	s_waitcnt vmcnt(0) lgkmcnt(0)
	ds_write2_b64 v29, v[32:33], v[34:35] offset1:1
	s_branch .LBB426_6
.LBB426_15:
	s_clause 0x1
	s_load_dword s3, s[4:5], 0x60
	s_load_dwordx2 s[4:5], s[4:5], 0x68
	v_cmp_neq_f64_e64 s8, s[14:15], 0
	v_add_nc_u32_e32 v27, s7, v1
	v_add_nc_u32_e32 v4, s6, v0
	v_cmp_le_i32_e32 vcc_lo, v27, v4
	v_cmp_gt_i32_e64 s0, s2, v4
	v_ashrrev_i32_e32 v5, 31, v4
	s_waitcnt lgkmcnt(0)
	v_mad_i64_i32 v[0:1], null, v27, s3, 0
	s_lshl_b64 s[4:5], s[4:5], 4
	s_add_u32 s4, s10, s4
	s_addc_u32 s5, s11, s5
	s_xor_b32 s6, s28, -1
	s_and_b32 s7, vcc_lo, s0
	v_lshlrev_b64 v[0:1], 4, v[0:1]
	s_or_b32 s6, s8, s6
	v_cndmask_b32_e64 v26, 0, 1, s6
	v_add_co_u32 v12, s1, s4, v0
	v_add_co_ci_u32_e64 v13, null, s5, v1, s1
	s_and_saveexec_b32 s1, s7
	s_cbranch_execz .LBB426_19
; %bb.16:
	v_mul_f64 v[0:1], s[22:23], v[24:25]
	v_mul_f64 v[2:3], s[20:21], v[24:25]
	v_lshlrev_b64 v[10:11], 4, v[4:5]
	v_add_co_u32 v10, vcc_lo, v12, v10
	v_add_co_ci_u32_e64 v11, null, v13, v11, vcc_lo
	s_andn2_b32 vcc_lo, exec_lo, s6
	v_fma_f64 v[0:1], s[20:21], v[22:23], -v[0:1]
	v_fma_f64 v[2:3], s[22:23], v[22:23], v[2:3]
	s_cbranch_vccnz .LBB426_18
; %bb.17:
	flat_load_dwordx4 v[22:25], v[10:11]
	s_waitcnt vmcnt(0) lgkmcnt(0)
	v_mul_f64 v[28:29], s[16:17], v[24:25]
	v_mul_f64 v[24:25], s[14:15], v[24:25]
	v_fma_f64 v[28:29], s[14:15], v[22:23], -v[28:29]
	v_fma_f64 v[22:23], s[16:17], v[22:23], v[24:25]
	v_add_f64 v[0:1], v[0:1], v[28:29]
	v_add_f64 v[2:3], v[2:3], v[22:23]
.LBB426_18:
	flat_store_dwordx4 v[10:11], v[0:3]
.LBB426_19:
	s_or_b32 exec_lo, exec_lo, s1
	v_add_nc_u32_e32 v10, 16, v4
	v_cmp_le_i32_e32 vcc_lo, v27, v10
	v_cmp_gt_i32_e64 s1, s2, v10
	v_ashrrev_i32_e32 v11, 31, v10
	s_and_b32 s2, vcc_lo, s1
	s_and_saveexec_b32 s6, s2
	s_cbranch_execz .LBB426_23
; %bb.20:
	v_mul_f64 v[0:1], s[22:23], v[20:21]
	v_mul_f64 v[2:3], s[20:21], v[20:21]
	v_cmp_ne_u32_e32 vcc_lo, 1, v26
	s_and_b32 vcc_lo, exec_lo, vcc_lo
	v_fma_f64 v[0:1], s[20:21], v[18:19], -v[0:1]
	v_fma_f64 v[2:3], s[22:23], v[18:19], v[2:3]
	v_lshlrev_b64 v[18:19], 4, v[10:11]
	v_add_co_u32 v12, s2, v12, v18
	v_add_co_ci_u32_e64 v13, null, v13, v19, s2
	s_cbranch_vccnz .LBB426_22
; %bb.21:
	flat_load_dwordx4 v[18:21], v[12:13]
	s_waitcnt vmcnt(0) lgkmcnt(0)
	v_mul_f64 v[22:23], s[16:17], v[20:21]
	v_mul_f64 v[20:21], s[14:15], v[20:21]
	v_fma_f64 v[22:23], s[14:15], v[18:19], -v[22:23]
	v_fma_f64 v[18:19], s[16:17], v[18:19], v[20:21]
	v_add_f64 v[0:1], v[0:1], v[22:23]
	v_add_f64 v[2:3], v[2:3], v[18:19]
.LBB426_22:
	flat_store_dwordx4 v[12:13], v[0:3]
.LBB426_23:
	s_or_b32 exec_lo, exec_lo, s6
	v_add_nc_u32_e32 v18, 16, v27
	v_mad_i64_i32 v[0:1], null, v18, s3, 0
	v_cmp_le_i32_e32 vcc_lo, v18, v4
	s_and_b32 s0, vcc_lo, s0
	v_lshlrev_b64 v[0:1], 4, v[0:1]
	v_add_co_u32 v12, s2, s4, v0
	v_add_co_ci_u32_e64 v13, null, s5, v1, s2
	s_and_saveexec_b32 s2, s0
	s_cbranch_execz .LBB426_27
; %bb.24:
	v_mul_f64 v[0:1], s[22:23], v[16:17]
	v_mul_f64 v[2:3], s[20:21], v[16:17]
	v_lshlrev_b64 v[4:5], 4, v[4:5]
	v_cmp_ne_u32_e32 vcc_lo, 1, v26
	s_and_b32 vcc_lo, exec_lo, vcc_lo
	v_add_co_u32 v4, s0, v12, v4
	v_add_co_ci_u32_e64 v5, null, v13, v5, s0
	v_fma_f64 v[0:1], s[20:21], v[14:15], -v[0:1]
	v_fma_f64 v[2:3], s[22:23], v[14:15], v[2:3]
	s_cbranch_vccnz .LBB426_26
; %bb.25:
	flat_load_dwordx4 v[14:17], v[4:5]
	s_waitcnt vmcnt(0) lgkmcnt(0)
	v_mul_f64 v[19:20], s[16:17], v[16:17]
	v_mul_f64 v[16:17], s[14:15], v[16:17]
	v_fma_f64 v[19:20], s[14:15], v[14:15], -v[19:20]
	v_fma_f64 v[14:15], s[16:17], v[14:15], v[16:17]
	v_add_f64 v[0:1], v[0:1], v[19:20]
	v_add_f64 v[2:3], v[2:3], v[14:15]
.LBB426_26:
	flat_store_dwordx4 v[4:5], v[0:3]
.LBB426_27:
	s_or_b32 exec_lo, exec_lo, s2
	v_cmp_le_i32_e32 vcc_lo, v18, v10
	s_and_b32 s0, vcc_lo, s1
	s_and_saveexec_b32 s1, s0
	s_cbranch_execz .LBB426_32
; %bb.28:
	v_mul_f64 v[0:1], s[22:23], v[6:7]
	v_mul_f64 v[2:3], s[20:21], v[6:7]
	v_lshlrev_b64 v[4:5], 4, v[10:11]
	v_cmp_ne_u32_e32 vcc_lo, 1, v26
	s_and_b32 vcc_lo, exec_lo, vcc_lo
	v_add_co_u32 v4, s0, v12, v4
	v_add_co_ci_u32_e64 v5, null, v13, v5, s0
	v_fma_f64 v[0:1], s[20:21], v[8:9], -v[0:1]
	v_fma_f64 v[2:3], s[22:23], v[8:9], v[2:3]
	s_cbranch_vccnz .LBB426_30
; %bb.29:
	flat_load_dwordx4 v[6:9], v[4:5]
	s_waitcnt vmcnt(0) lgkmcnt(0)
	v_mul_f64 v[10:11], s[16:17], v[8:9]
	v_mul_f64 v[8:9], s[14:15], v[8:9]
	v_fma_f64 v[10:11], s[14:15], v[6:7], -v[10:11]
	v_fma_f64 v[6:7], s[16:17], v[6:7], v[8:9]
	v_add_f64 v[0:1], v[0:1], v[10:11]
	v_add_f64 v[2:3], v[2:3], v[6:7]
.LBB426_30:
	flat_store_dwordx4 v[4:5], v[0:3]
	s_endpgm
.LBB426_31:
.LBB426_32:
	s_endpgm
	.section	.rodata,"a",@progbits
	.p2align	6, 0x0
	.amdhsa_kernel _ZL29rocblas_internal_gemmt_kernelIiLi16ELi32ELi8ELc84ELc78ELc76ELb0ELb0E19rocblas_complex_numIdES1_PKPKS1_PKPS1_EviT_T9_T10_S9_lSB_S9_lSA_T11_S9_li
		.amdhsa_group_segment_fixed_size 8192
		.amdhsa_private_segment_fixed_size 0
		.amdhsa_kernarg_size 116
		.amdhsa_user_sgpr_count 6
		.amdhsa_user_sgpr_private_segment_buffer 1
		.amdhsa_user_sgpr_dispatch_ptr 0
		.amdhsa_user_sgpr_queue_ptr 0
		.amdhsa_user_sgpr_kernarg_segment_ptr 1
		.amdhsa_user_sgpr_dispatch_id 0
		.amdhsa_user_sgpr_flat_scratch_init 0
		.amdhsa_user_sgpr_private_segment_size 0
		.amdhsa_wavefront_size32 1
		.amdhsa_uses_dynamic_stack 0
		.amdhsa_system_sgpr_private_segment_wavefront_offset 0
		.amdhsa_system_sgpr_workgroup_id_x 1
		.amdhsa_system_sgpr_workgroup_id_y 1
		.amdhsa_system_sgpr_workgroup_id_z 1
		.amdhsa_system_sgpr_workgroup_info 0
		.amdhsa_system_vgpr_workitem_id 1
		.amdhsa_next_free_vgpr 128
		.amdhsa_next_free_sgpr 30
		.amdhsa_reserve_vcc 1
		.amdhsa_reserve_flat_scratch 0
		.amdhsa_float_round_mode_32 0
		.amdhsa_float_round_mode_16_64 0
		.amdhsa_float_denorm_mode_32 3
		.amdhsa_float_denorm_mode_16_64 3
		.amdhsa_dx10_clamp 1
		.amdhsa_ieee_mode 1
		.amdhsa_fp16_overflow 0
		.amdhsa_workgroup_processor_mode 1
		.amdhsa_memory_ordered 1
		.amdhsa_forward_progress 1
		.amdhsa_shared_vgpr_count 0
		.amdhsa_exception_fp_ieee_invalid_op 0
		.amdhsa_exception_fp_denorm_src 0
		.amdhsa_exception_fp_ieee_div_zero 0
		.amdhsa_exception_fp_ieee_overflow 0
		.amdhsa_exception_fp_ieee_underflow 0
		.amdhsa_exception_fp_ieee_inexact 0
		.amdhsa_exception_int_div_zero 0
	.end_amdhsa_kernel
	.section	.text._ZL29rocblas_internal_gemmt_kernelIiLi16ELi32ELi8ELc84ELc78ELc76ELb0ELb0E19rocblas_complex_numIdES1_PKPKS1_PKPS1_EviT_T9_T10_S9_lSB_S9_lSA_T11_S9_li,"axG",@progbits,_ZL29rocblas_internal_gemmt_kernelIiLi16ELi32ELi8ELc84ELc78ELc76ELb0ELb0E19rocblas_complex_numIdES1_PKPKS1_PKPS1_EviT_T9_T10_S9_lSB_S9_lSA_T11_S9_li,comdat
.Lfunc_end426:
	.size	_ZL29rocblas_internal_gemmt_kernelIiLi16ELi32ELi8ELc84ELc78ELc76ELb0ELb0E19rocblas_complex_numIdES1_PKPKS1_PKPS1_EviT_T9_T10_S9_lSB_S9_lSA_T11_S9_li, .Lfunc_end426-_ZL29rocblas_internal_gemmt_kernelIiLi16ELi32ELi8ELc84ELc78ELc76ELb0ELb0E19rocblas_complex_numIdES1_PKPKS1_PKPS1_EviT_T9_T10_S9_lSB_S9_lSA_T11_S9_li
                                        ; -- End function
	.set _ZL29rocblas_internal_gemmt_kernelIiLi16ELi32ELi8ELc84ELc78ELc76ELb0ELb0E19rocblas_complex_numIdES1_PKPKS1_PKPS1_EviT_T9_T10_S9_lSB_S9_lSA_T11_S9_li.num_vgpr, 128
	.set _ZL29rocblas_internal_gemmt_kernelIiLi16ELi32ELi8ELc84ELc78ELc76ELb0ELb0E19rocblas_complex_numIdES1_PKPKS1_PKPS1_EviT_T9_T10_S9_lSB_S9_lSA_T11_S9_li.num_agpr, 0
	.set _ZL29rocblas_internal_gemmt_kernelIiLi16ELi32ELi8ELc84ELc78ELc76ELb0ELb0E19rocblas_complex_numIdES1_PKPKS1_PKPS1_EviT_T9_T10_S9_lSB_S9_lSA_T11_S9_li.numbered_sgpr, 30
	.set _ZL29rocblas_internal_gemmt_kernelIiLi16ELi32ELi8ELc84ELc78ELc76ELb0ELb0E19rocblas_complex_numIdES1_PKPKS1_PKPS1_EviT_T9_T10_S9_lSB_S9_lSA_T11_S9_li.num_named_barrier, 0
	.set _ZL29rocblas_internal_gemmt_kernelIiLi16ELi32ELi8ELc84ELc78ELc76ELb0ELb0E19rocblas_complex_numIdES1_PKPKS1_PKPS1_EviT_T9_T10_S9_lSB_S9_lSA_T11_S9_li.private_seg_size, 0
	.set _ZL29rocblas_internal_gemmt_kernelIiLi16ELi32ELi8ELc84ELc78ELc76ELb0ELb0E19rocblas_complex_numIdES1_PKPKS1_PKPS1_EviT_T9_T10_S9_lSB_S9_lSA_T11_S9_li.uses_vcc, 1
	.set _ZL29rocblas_internal_gemmt_kernelIiLi16ELi32ELi8ELc84ELc78ELc76ELb0ELb0E19rocblas_complex_numIdES1_PKPKS1_PKPS1_EviT_T9_T10_S9_lSB_S9_lSA_T11_S9_li.uses_flat_scratch, 0
	.set _ZL29rocblas_internal_gemmt_kernelIiLi16ELi32ELi8ELc84ELc78ELc76ELb0ELb0E19rocblas_complex_numIdES1_PKPKS1_PKPS1_EviT_T9_T10_S9_lSB_S9_lSA_T11_S9_li.has_dyn_sized_stack, 0
	.set _ZL29rocblas_internal_gemmt_kernelIiLi16ELi32ELi8ELc84ELc78ELc76ELb0ELb0E19rocblas_complex_numIdES1_PKPKS1_PKPS1_EviT_T9_T10_S9_lSB_S9_lSA_T11_S9_li.has_recursion, 0
	.set _ZL29rocblas_internal_gemmt_kernelIiLi16ELi32ELi8ELc84ELc78ELc76ELb0ELb0E19rocblas_complex_numIdES1_PKPKS1_PKPS1_EviT_T9_T10_S9_lSB_S9_lSA_T11_S9_li.has_indirect_call, 0
	.section	.AMDGPU.csdata,"",@progbits
; Kernel info:
; codeLenInByte = 3512
; TotalNumSgprs: 32
; NumVgprs: 128
; ScratchSize: 0
; MemoryBound: 0
; FloatMode: 240
; IeeeMode: 1
; LDSByteSize: 8192 bytes/workgroup (compile time only)
; SGPRBlocks: 0
; VGPRBlocks: 15
; NumSGPRsForWavesPerEU: 32
; NumVGPRsForWavesPerEU: 128
; Occupancy: 8
; WaveLimiterHint : 1
; COMPUTE_PGM_RSRC2:SCRATCH_EN: 0
; COMPUTE_PGM_RSRC2:USER_SGPR: 6
; COMPUTE_PGM_RSRC2:TRAP_HANDLER: 0
; COMPUTE_PGM_RSRC2:TGID_X_EN: 1
; COMPUTE_PGM_RSRC2:TGID_Y_EN: 1
; COMPUTE_PGM_RSRC2:TGID_Z_EN: 1
; COMPUTE_PGM_RSRC2:TIDIG_COMP_CNT: 1
	.section	.text._ZL29rocblas_internal_gemmt_kernelIiLi16ELi32ELi8ELc84ELc84ELc76ELb0ELb0E19rocblas_complex_numIdES1_PKPKS1_PKPS1_EviT_T9_T10_S9_lSB_S9_lSA_T11_S9_li,"axG",@progbits,_ZL29rocblas_internal_gemmt_kernelIiLi16ELi32ELi8ELc84ELc84ELc76ELb0ELb0E19rocblas_complex_numIdES1_PKPKS1_PKPS1_EviT_T9_T10_S9_lSB_S9_lSA_T11_S9_li,comdat
	.globl	_ZL29rocblas_internal_gemmt_kernelIiLi16ELi32ELi8ELc84ELc84ELc76ELb0ELb0E19rocblas_complex_numIdES1_PKPKS1_PKPS1_EviT_T9_T10_S9_lSB_S9_lSA_T11_S9_li ; -- Begin function _ZL29rocblas_internal_gemmt_kernelIiLi16ELi32ELi8ELc84ELc84ELc76ELb0ELb0E19rocblas_complex_numIdES1_PKPKS1_PKPS1_EviT_T9_T10_S9_lSB_S9_lSA_T11_S9_li
	.p2align	8
	.type	_ZL29rocblas_internal_gemmt_kernelIiLi16ELi32ELi8ELc84ELc84ELc76ELb0ELb0E19rocblas_complex_numIdES1_PKPKS1_PKPS1_EviT_T9_T10_S9_lSB_S9_lSA_T11_S9_li,@function
_ZL29rocblas_internal_gemmt_kernelIiLi16ELi32ELi8ELc84ELc84ELc76ELb0ELb0E19rocblas_complex_numIdES1_PKPKS1_PKPS1_EviT_T9_T10_S9_lSB_S9_lSA_T11_S9_li: ; @_ZL29rocblas_internal_gemmt_kernelIiLi16ELi32ELi8ELc84ELc84ELc76ELb0ELb0E19rocblas_complex_numIdES1_PKPKS1_PKPS1_EviT_T9_T10_S9_lSB_S9_lSA_T11_S9_li
; %bb.0:
	s_clause 0x2
	s_load_dwordx8 s[12:19], s[4:5], 0x40
	s_load_dwordx2 s[2:3], s[4:5], 0x0
	s_load_dwordx4 s[20:23], s[4:5], 0x8
	s_waitcnt lgkmcnt(0)
	v_cmp_eq_f64_e64 s0, s[14:15], 1.0
	v_cmp_eq_f64_e64 s28, s[16:17], 0
	s_and_b32 s0, s0, s28
	s_andn2_b32 vcc_lo, exec_lo, s0
	s_mov_b32 s0, -1
	s_cbranch_vccnz .LBB427_3
; %bb.1:
	s_cmp_lg_u32 s3, 0
	s_cbranch_scc0 .LBB427_31
; %bb.2:
	v_cmp_neq_f64_e64 s0, s[20:21], 0
	v_cmp_neq_f64_e64 s1, s[22:23], 0
	s_or_b32 s0, s0, s1
.LBB427_3:
	s_and_b32 vcc_lo, exec_lo, s0
	s_cbranch_vccz .LBB427_32
; %bb.4:
	v_cmp_eq_f64_e64 s24, s[20:21], 0
	v_cmp_eq_f64_e64 s25, s[22:23], 0
	s_mov_b32 s9, 0
	v_mov_b32_e32 v22, 0
	s_lshl_b64 s[0:1], s[8:9], 3
	v_mov_b32_e32 v24, 0
	s_add_u32 s10, s18, s0
	s_addc_u32 s11, s19, s1
	s_lshl_b32 s8, s6, 5
	s_load_dwordx2 s[10:11], s[10:11], 0x0
	s_lshl_b32 s18, s7, 5
	v_mov_b32_e32 v18, 0
	v_mov_b32_e32 v20, 0
	;; [unrolled: 1-line block ×12, first 2 shown]
	s_and_b32 s6, s24, s25
	s_cmp_lt_i32 s3, 1
	v_mov_b32_e32 v9, 0
	s_cselect_b32 s7, -1, 0
	v_mov_b32_e32 v7, 0
	s_or_b32 s6, s6, s7
	s_and_b32 vcc_lo, exec_lo, s6
	s_cbranch_vccnz .LBB427_15
; %bb.5:
	s_clause 0x3
	s_load_dword s6, s[4:5], 0x38
	s_load_dwordx4 s[24:27], s[4:5], 0x28
	s_load_dword s19, s[4:5], 0x20
	s_load_dwordx2 s[30:31], s[4:5], 0x18
	v_lshl_add_u32 v2, v1, 4, v0
	v_and_b32_e32 v26, 7, v0
	v_mov_b32_e32 v16, 0
	v_mov_b32_e32 v14, 0
	;; [unrolled: 1-line block ×3, first 2 shown]
	v_and_b32_e32 v3, 31, v2
	v_lshrrev_b32_e32 v4, 3, v2
	v_lshlrev_b32_e32 v5, 4, v26
	v_lshrrev_b32_e32 v27, 5, v2
	v_mov_b32_e32 v18, 0
	v_or_b32_e32 v6, s8, v3
	v_lshlrev_b32_e32 v7, 4, v3
	v_add_nc_u32_e32 v3, s8, v3
	v_add_nc_u32_e32 v2, s18, v4
	v_lshl_or_b32 v8, v4, 7, v5
	v_cmp_gt_i32_e32 vcc_lo, s2, v6
	s_waitcnt lgkmcnt(0)
	s_ashr_i32 s7, s6, 31
	s_add_u32 s26, s26, s0
	v_mad_i64_i32 v[4:5], null, s19, v3, 0
	s_addc_u32 s27, s27, s1
	v_lshl_or_b32 v28, v27, 9, v7
	s_add_u32 s0, s30, s0
	v_mad_i64_i32 v[6:7], null, s6, v26, 0
	s_addc_u32 s1, s31, s1
	s_load_dwordx2 s[26:27], s[26:27], 0x0
	s_load_dwordx2 s[30:31], s[0:1], 0x0
	v_lshlrev_b64 v[4:5], 4, v[4:5]
	v_ashrrev_i32_e32 v3, 31, v2
	s_lshl_b64 s[24:25], s[24:25], 4
	v_add_nc_u32_e32 v29, 0x1000, v8
	v_lshlrev_b64 v[6:7], 4, v[6:7]
	v_lshlrev_b32_e32 v8, 4, v27
	v_add_co_u32 v4, s1, v4, s24
	s_lshl_b64 s[12:13], s[12:13], 4
	v_cmp_gt_i32_e64 s0, s2, v2
	v_lshlrev_b64 v[2:3], 4, v[2:3]
	v_add_co_ci_u32_e64 v5, null, s25, v5, s1
	v_add_co_u32 v6, s1, v6, s12
	v_add_co_ci_u32_e64 v7, null, s13, v7, s1
	v_add_co_u32 v4, s1, v4, v8
	;; [unrolled: 2-line block ×3, first 2 shown]
	v_add_co_ci_u32_e64 v3, null, v7, v3, s1
	s_waitcnt lgkmcnt(0)
	v_add_co_u32 v10, s1, s30, v4
	v_add_co_ci_u32_e64 v11, null, s31, v5, s1
	v_add_co_u32 v12, s1, s26, v2
	v_mov_b32_e32 v6, 0
	v_mov_b32_e32 v8, 0
	;; [unrolled: 1-line block ×4, first 2 shown]
	v_lshlrev_b32_e32 v30, 4, v0
	v_lshl_add_u32 v31, v1, 7, 0x1000
	v_add_co_ci_u32_e64 v13, null, s27, v3, s1
	v_mov_b32_e32 v7, 0
	v_mov_b32_e32 v9, 0
	;; [unrolled: 1-line block ×9, first 2 shown]
	s_lshl_b64 s[6:7], s[6:7], 7
	s_xor_b32 s1, vcc_lo, -1
	s_xor_b32 s0, s0, -1
	s_branch .LBB427_7
.LBB427_6:                              ;   in Loop: Header=BB427_7 Depth=1
	s_or_b32 exec_lo, exec_lo, s12
	s_waitcnt lgkmcnt(0)
	s_barrier
	buffer_gl0_inv
	ds_read_b128 v[32:35], v31
	ds_read_b128 v[36:39], v30
	ds_read_b128 v[40:43], v30 offset:256
	ds_read_b128 v[44:47], v31 offset:2048
	;; [unrolled: 1-line block ×12, first 2 shown]
	v_add_co_u32 v10, vcc_lo, 0x80, v10
	v_add_co_ci_u32_e64 v11, null, 0, v11, vcc_lo
	v_add_co_u32 v12, vcc_lo, v12, s6
	v_add_co_ci_u32_e64 v13, null, s7, v13, vcc_lo
	s_waitcnt lgkmcnt(12)
	v_mul_f64 v[3:4], v[34:35], v[38:39]
	v_mul_f64 v[88:89], v[32:33], v[38:39]
	s_waitcnt lgkmcnt(11)
	v_mul_f64 v[90:91], v[34:35], v[42:43]
	v_mul_f64 v[92:93], v[32:33], v[42:43]
	;; [unrolled: 3-line block ×3, first 2 shown]
	v_mul_f64 v[96:97], v[46:47], v[42:43]
	v_mul_f64 v[42:43], v[44:45], v[42:43]
	s_waitcnt lgkmcnt(8)
	v_mul_f64 v[98:99], v[50:51], v[54:55]
	v_mul_f64 v[100:101], v[48:49], v[54:55]
	s_waitcnt lgkmcnt(7)
	;; [unrolled: 3-line block ×3, first 2 shown]
	v_mul_f64 v[106:107], v[62:63], v[54:55]
	v_mul_f64 v[54:55], v[60:61], v[54:55]
	;; [unrolled: 1-line block ×4, first 2 shown]
	s_waitcnt lgkmcnt(4)
	v_mul_f64 v[110:111], v[66:67], v[70:71]
	v_mul_f64 v[112:113], v[64:65], v[70:71]
	s_waitcnt lgkmcnt(3)
	v_mul_f64 v[114:115], v[66:67], v[74:75]
	v_mul_f64 v[116:117], v[64:65], v[74:75]
	;; [unrolled: 3-line block ×3, first 2 shown]
	v_fma_f64 v[3:4], v[32:33], v[36:37], -v[3:4]
	v_fma_f64 v[88:89], v[34:35], v[36:37], v[88:89]
	v_fma_f64 v[90:91], v[32:33], v[40:41], -v[90:91]
	v_fma_f64 v[92:93], v[34:35], v[40:41], v[92:93]
	;; [unrolled: 2-line block ×4, first 2 shown]
	v_mul_f64 v[124:125], v[78:79], v[74:75]
	v_mul_f64 v[74:75], v[76:77], v[74:75]
	ds_read_b128 v[32:35], v30 offset:1536
	ds_read_b128 v[36:39], v30 offset:1792
	v_fma_f64 v[98:99], v[48:49], v[52:53], -v[98:99]
	v_fma_f64 v[100:101], v[50:51], v[52:53], v[100:101]
	v_fma_f64 v[102:103], v[48:49], v[56:57], -v[102:103]
	v_fma_f64 v[104:105], v[50:51], v[56:57], v[104:105]
	;; [unrolled: 2-line block ×7, first 2 shown]
	v_add_f64 v[22:23], v[22:23], v[3:4]
	v_add_f64 v[24:25], v[88:89], v[24:25]
	;; [unrolled: 1-line block ×4, first 2 shown]
	s_waitcnt lgkmcnt(1)
	v_mul_f64 v[110:111], v[82:83], v[34:35]
	v_mul_f64 v[112:113], v[80:81], v[34:35]
	s_waitcnt lgkmcnt(0)
	v_mul_f64 v[70:71], v[82:83], v[38:39]
	v_fma_f64 v[76:77], v[76:77], v[72:73], -v[124:125]
	v_fma_f64 v[72:73], v[78:79], v[72:73], v[74:75]
	v_add_f64 v[74:75], v[14:15], v[94:95]
	v_add_f64 v[78:79], v[120:121], v[16:17]
	;; [unrolled: 1-line block ×4, first 2 shown]
	ds_read_b128 v[40:43], v31 offset:64
	ds_read_b128 v[44:47], v30 offset:2048
	;; [unrolled: 1-line block ×3, first 2 shown]
	v_mul_f64 v[114:115], v[80:81], v[38:39]
	v_mul_f64 v[116:117], v[86:87], v[34:35]
	;; [unrolled: 1-line block ×5, first 2 shown]
	ds_read_b128 v[52:55], v31 offset:2112
	ds_read_b128 v[14:17], v31 offset:2128
	v_add_f64 v[98:99], v[22:23], v[98:99]
	v_add_f64 v[100:101], v[100:101], v[24:25]
	;; [unrolled: 1-line block ×4, first 2 shown]
	v_fma_f64 v[92:93], v[80:81], v[32:33], -v[110:111]
	v_fma_f64 v[94:95], v[82:83], v[32:33], v[112:113]
	v_fma_f64 v[70:71], v[80:81], v[36:37], -v[70:71]
	ds_read_b128 v[18:21], v30 offset:2560
	ds_read_b128 v[3:6], v31 offset:80
	;; [unrolled: 1-line block ×3, first 2 shown]
	v_add_f64 v[74:75], v[74:75], v[106:107]
	s_waitcnt lgkmcnt(6)
	v_mul_f64 v[80:81], v[42:43], v[46:47]
	v_mul_f64 v[96:97], v[40:41], v[46:47]
	s_waitcnt lgkmcnt(5)
	v_mul_f64 v[110:111], v[42:43], v[50:51]
	v_mul_f64 v[112:113], v[40:41], v[50:51]
	v_add_f64 v[78:79], v[126:127], v[78:79]
	v_add_f64 v[7:8], v[8:9], v[60:61]
	;; [unrolled: 1-line block ×3, first 2 shown]
	v_fma_f64 v[82:83], v[82:83], v[36:37], v[114:115]
	s_waitcnt lgkmcnt(4)
	v_mul_f64 v[114:115], v[54:55], v[46:47]
	v_mul_f64 v[46:47], v[52:53], v[46:47]
	v_fma_f64 v[60:61], v[84:85], v[32:33], -v[116:117]
	v_fma_f64 v[88:89], v[86:87], v[32:33], v[34:35]
	v_fma_f64 v[84:85], v[84:85], v[36:37], -v[90:91]
	v_fma_f64 v[86:87], v[86:87], v[36:37], v[38:39]
	v_add_f64 v[58:59], v[98:99], v[58:59]
	v_add_f64 v[62:63], v[62:63], v[100:101]
	;; [unrolled: 1-line block ×4, first 2 shown]
	s_waitcnt lgkmcnt(0)
	v_mul_f64 v[98:99], v[3:4], v[24:25]
	v_mul_f64 v[100:101], v[16:17], v[20:21]
	;; [unrolled: 1-line block ×3, first 2 shown]
	v_add_f64 v[74:75], v[74:75], v[108:109]
	v_fma_f64 v[80:81], v[40:41], v[44:45], -v[80:81]
	v_fma_f64 v[90:91], v[42:43], v[44:45], v[96:97]
	v_fma_f64 v[96:97], v[40:41], v[48:49], -v[110:111]
	v_fma_f64 v[106:107], v[42:43], v[48:49], v[112:113]
	v_mul_f64 v[40:41], v[54:55], v[50:51]
	v_mul_f64 v[42:43], v[52:53], v[50:51]
	v_add_f64 v[68:69], v[68:69], v[78:79]
	v_add_f64 v[7:8], v[7:8], v[76:77]
	;; [unrolled: 1-line block ×3, first 2 shown]
	v_fma_f64 v[50:51], v[52:53], v[44:45], -v[114:115]
	v_fma_f64 v[110:111], v[54:55], v[44:45], v[46:47]
	v_mul_f64 v[72:73], v[5:6], v[20:21]
	v_mul_f64 v[76:77], v[3:4], v[20:21]
	;; [unrolled: 1-line block ×5, first 2 shown]
	ds_read_b128 v[32:35], v31 offset:96
	ds_read_b128 v[36:39], v30 offset:3072
	s_add_i32 s9, s9, 8
	s_cmp_lt_i32 s9, s3
	v_add_f64 v[60:61], v[74:75], v[60:61]
	v_fma_f64 v[74:75], v[5:6], v[22:23], v[98:99]
	v_fma_f64 v[52:53], v[52:53], v[48:49], -v[40:41]
	v_fma_f64 v[48:49], v[54:55], v[48:49], v[42:43]
	v_add_f64 v[54:55], v[58:59], v[92:93]
	v_add_f64 v[58:59], v[94:95], v[62:63]
	;; [unrolled: 1-line block ×7, first 2 shown]
	ds_read_b128 v[40:43], v30 offset:3328
	ds_read_b128 v[44:47], v31 offset:2144
	v_fma_f64 v[68:69], v[3:4], v[18:19], -v[72:73]
	v_fma_f64 v[70:71], v[5:6], v[18:19], v[76:77]
	v_fma_f64 v[72:73], v[3:4], v[22:23], -v[78:79]
	v_fma_f64 v[76:77], v[14:15], v[18:19], -v[100:101]
	v_fma_f64 v[78:79], v[16:17], v[18:19], v[20:21]
	v_fma_f64 v[82:83], v[14:15], v[22:23], -v[102:103]
	s_waitcnt lgkmcnt(2)
	v_mul_f64 v[84:85], v[34:35], v[38:39]
	v_fma_f64 v[86:87], v[16:17], v[22:23], v[24:25]
	v_mul_f64 v[88:89], v[32:33], v[38:39]
	v_add_f64 v[50:51], v[60:61], v[50:51]
	ds_read_b128 v[3:6], v31 offset:112
	ds_read_b128 v[14:17], v31 offset:2160
	;; [unrolled: 1-line block ×4, first 2 shown]
	s_waitcnt lgkmcnt(0)
	v_add_f64 v[54:55], v[54:55], v[80:81]
	v_add_f64 v[58:59], v[90:91], v[58:59]
	;; [unrolled: 1-line block ×4, first 2 shown]
	v_mul_f64 v[92:93], v[34:35], v[42:43]
	v_mul_f64 v[94:95], v[32:33], v[42:43]
	;; [unrolled: 1-line block ×4, first 2 shown]
	v_add_f64 v[60:61], v[110:111], v[66:67]
	v_add_f64 v[7:8], v[7:8], v[52:53]
	;; [unrolled: 1-line block ×3, first 2 shown]
	v_mul_f64 v[52:53], v[46:47], v[42:43]
	v_mul_f64 v[42:43], v[44:45], v[42:43]
	s_barrier
	v_fma_f64 v[56:57], v[32:33], v[36:37], -v[84:85]
	buffer_gl0_inv
	v_fma_f64 v[66:67], v[34:35], v[36:37], v[88:89]
	v_add_f64 v[50:51], v[50:51], v[76:77]
	v_fma_f64 v[32:33], v[32:33], v[40:41], -v[92:93]
	v_fma_f64 v[34:35], v[34:35], v[40:41], v[94:95]
	v_fma_f64 v[80:81], v[44:45], v[36:37], -v[98:99]
	v_fma_f64 v[36:37], v[46:47], v[36:37], v[38:39]
	v_add_f64 v[38:39], v[54:55], v[68:69]
	v_add_f64 v[54:55], v[70:71], v[58:59]
	;; [unrolled: 1-line block ×7, first 2 shown]
	v_fma_f64 v[44:45], v[44:45], v[40:41], -v[52:53]
	v_fma_f64 v[40:41], v[46:47], v[40:41], v[42:43]
	v_mul_f64 v[42:43], v[5:6], v[20:21]
	v_mul_f64 v[46:47], v[3:4], v[20:21]
	;; [unrolled: 1-line block ×8, first 2 shown]
	v_add_f64 v[50:51], v[50:51], v[80:81]
	v_add_f64 v[38:39], v[38:39], v[56:57]
	;; [unrolled: 1-line block ×8, first 2 shown]
	v_fma_f64 v[42:43], v[3:4], v[18:19], -v[42:43]
	v_fma_f64 v[44:45], v[5:6], v[18:19], v[46:47]
	v_fma_f64 v[3:4], v[3:4], v[22:23], -v[52:53]
	v_fma_f64 v[5:6], v[5:6], v[22:23], v[64:65]
	;; [unrolled: 2-line block ×4, first 2 shown]
	v_add_f64 v[22:23], v[38:39], v[42:43]
	v_add_f64 v[24:25], v[44:45], v[54:55]
	;; [unrolled: 1-line block ×8, first 2 shown]
	s_cbranch_scc0 .LBB427_15
.LBB427_7:                              ; =>This Inner Loop Header: Depth=1
	v_add_nc_u32_e32 v3, s9, v27
	v_cmp_le_i32_e32 vcc_lo, s3, v3
	s_or_b32 s12, s1, vcc_lo
	s_and_saveexec_b32 s13, s12
	s_xor_b32 s12, exec_lo, s13
	s_cbranch_execz .LBB427_9
; %bb.8:                                ;   in Loop: Header=BB427_7 Depth=1
	v_mov_b32_e32 v3, v2
	v_mov_b32_e32 v4, v2
	;; [unrolled: 1-line block ×3, first 2 shown]
	ds_write_b128 v28, v[2:5]
.LBB427_9:                              ;   in Loop: Header=BB427_7 Depth=1
	s_andn2_saveexec_b32 s12, s12
	s_cbranch_execz .LBB427_11
; %bb.10:                               ;   in Loop: Header=BB427_7 Depth=1
	flat_load_dwordx4 v[32:35], v[10:11]
	s_waitcnt vmcnt(0) lgkmcnt(0)
	ds_write2_b64 v28, v[32:33], v[34:35] offset1:1
.LBB427_11:                             ;   in Loop: Header=BB427_7 Depth=1
	s_or_b32 exec_lo, exec_lo, s12
	v_add_nc_u32_e32 v3, s9, v26
	v_cmp_le_i32_e32 vcc_lo, s3, v3
	s_or_b32 s12, vcc_lo, s0
	s_and_saveexec_b32 s13, s12
	s_xor_b32 s12, exec_lo, s13
	s_cbranch_execz .LBB427_13
; %bb.12:                               ;   in Loop: Header=BB427_7 Depth=1
	v_mov_b32_e32 v3, v2
	v_mov_b32_e32 v4, v2
	;; [unrolled: 1-line block ×3, first 2 shown]
	ds_write_b128 v29, v[2:5]
.LBB427_13:                             ;   in Loop: Header=BB427_7 Depth=1
	s_andn2_saveexec_b32 s12, s12
	s_cbranch_execz .LBB427_6
; %bb.14:                               ;   in Loop: Header=BB427_7 Depth=1
	flat_load_dwordx4 v[32:35], v[12:13]
	s_waitcnt vmcnt(0) lgkmcnt(0)
	ds_write2_b64 v29, v[32:33], v[34:35] offset1:1
	s_branch .LBB427_6
.LBB427_15:
	s_clause 0x1
	s_load_dword s3, s[4:5], 0x60
	s_load_dwordx2 s[4:5], s[4:5], 0x68
	v_cmp_neq_f64_e64 s6, s[14:15], 0
	v_add_nc_u32_e32 v27, s18, v1
	v_add_nc_u32_e32 v4, s8, v0
	v_cmp_le_i32_e32 vcc_lo, v27, v4
	v_cmp_gt_i32_e64 s0, s2, v4
	v_ashrrev_i32_e32 v5, 31, v4
	s_waitcnt lgkmcnt(0)
	v_mad_i64_i32 v[0:1], null, v27, s3, 0
	s_lshl_b64 s[4:5], s[4:5], 4
	s_add_u32 s4, s10, s4
	s_addc_u32 s5, s11, s5
	s_xor_b32 s7, s28, -1
	s_or_b32 s6, s6, s7
	v_lshlrev_b64 v[0:1], 4, v[0:1]
	v_cndmask_b32_e64 v26, 0, 1, s6
	s_and_b32 s7, vcc_lo, s0
	v_add_co_u32 v12, s1, s4, v0
	v_add_co_ci_u32_e64 v13, null, s5, v1, s1
	s_and_saveexec_b32 s1, s7
	s_cbranch_execz .LBB427_19
; %bb.16:
	v_mul_f64 v[0:1], s[22:23], v[24:25]
	v_mul_f64 v[2:3], s[20:21], v[24:25]
	v_lshlrev_b64 v[10:11], 4, v[4:5]
	v_add_co_u32 v10, vcc_lo, v12, v10
	v_add_co_ci_u32_e64 v11, null, v13, v11, vcc_lo
	s_andn2_b32 vcc_lo, exec_lo, s6
	v_fma_f64 v[0:1], s[20:21], v[22:23], -v[0:1]
	v_fma_f64 v[2:3], s[22:23], v[22:23], v[2:3]
	s_cbranch_vccnz .LBB427_18
; %bb.17:
	flat_load_dwordx4 v[22:25], v[10:11]
	s_waitcnt vmcnt(0) lgkmcnt(0)
	v_mul_f64 v[28:29], s[16:17], v[24:25]
	v_mul_f64 v[24:25], s[14:15], v[24:25]
	v_fma_f64 v[28:29], s[14:15], v[22:23], -v[28:29]
	v_fma_f64 v[22:23], s[16:17], v[22:23], v[24:25]
	v_add_f64 v[0:1], v[0:1], v[28:29]
	v_add_f64 v[2:3], v[2:3], v[22:23]
.LBB427_18:
	flat_store_dwordx4 v[10:11], v[0:3]
.LBB427_19:
	s_or_b32 exec_lo, exec_lo, s1
	v_add_nc_u32_e32 v10, 16, v4
	v_cmp_le_i32_e32 vcc_lo, v27, v10
	v_cmp_gt_i32_e64 s1, s2, v10
	v_ashrrev_i32_e32 v11, 31, v10
	s_and_b32 s2, vcc_lo, s1
	s_and_saveexec_b32 s6, s2
	s_cbranch_execz .LBB427_23
; %bb.20:
	v_mul_f64 v[0:1], s[22:23], v[20:21]
	v_mul_f64 v[2:3], s[20:21], v[20:21]
	v_cmp_ne_u32_e32 vcc_lo, 1, v26
	s_and_b32 vcc_lo, exec_lo, vcc_lo
	v_fma_f64 v[0:1], s[20:21], v[18:19], -v[0:1]
	v_fma_f64 v[2:3], s[22:23], v[18:19], v[2:3]
	v_lshlrev_b64 v[18:19], 4, v[10:11]
	v_add_co_u32 v12, s2, v12, v18
	v_add_co_ci_u32_e64 v13, null, v13, v19, s2
	s_cbranch_vccnz .LBB427_22
; %bb.21:
	flat_load_dwordx4 v[18:21], v[12:13]
	s_waitcnt vmcnt(0) lgkmcnt(0)
	v_mul_f64 v[22:23], s[16:17], v[20:21]
	v_mul_f64 v[20:21], s[14:15], v[20:21]
	v_fma_f64 v[22:23], s[14:15], v[18:19], -v[22:23]
	v_fma_f64 v[18:19], s[16:17], v[18:19], v[20:21]
	v_add_f64 v[0:1], v[0:1], v[22:23]
	v_add_f64 v[2:3], v[2:3], v[18:19]
.LBB427_22:
	flat_store_dwordx4 v[12:13], v[0:3]
.LBB427_23:
	s_or_b32 exec_lo, exec_lo, s6
	v_add_nc_u32_e32 v18, 16, v27
	v_mad_i64_i32 v[0:1], null, v18, s3, 0
	v_cmp_le_i32_e32 vcc_lo, v18, v4
	s_and_b32 s0, vcc_lo, s0
	v_lshlrev_b64 v[0:1], 4, v[0:1]
	v_add_co_u32 v12, s2, s4, v0
	v_add_co_ci_u32_e64 v13, null, s5, v1, s2
	s_and_saveexec_b32 s2, s0
	s_cbranch_execz .LBB427_27
; %bb.24:
	v_mul_f64 v[0:1], s[22:23], v[16:17]
	v_mul_f64 v[2:3], s[20:21], v[16:17]
	v_lshlrev_b64 v[4:5], 4, v[4:5]
	v_cmp_ne_u32_e32 vcc_lo, 1, v26
	s_and_b32 vcc_lo, exec_lo, vcc_lo
	v_add_co_u32 v4, s0, v12, v4
	v_add_co_ci_u32_e64 v5, null, v13, v5, s0
	v_fma_f64 v[0:1], s[20:21], v[14:15], -v[0:1]
	v_fma_f64 v[2:3], s[22:23], v[14:15], v[2:3]
	s_cbranch_vccnz .LBB427_26
; %bb.25:
	flat_load_dwordx4 v[14:17], v[4:5]
	s_waitcnt vmcnt(0) lgkmcnt(0)
	v_mul_f64 v[19:20], s[16:17], v[16:17]
	v_mul_f64 v[16:17], s[14:15], v[16:17]
	v_fma_f64 v[19:20], s[14:15], v[14:15], -v[19:20]
	v_fma_f64 v[14:15], s[16:17], v[14:15], v[16:17]
	v_add_f64 v[0:1], v[0:1], v[19:20]
	v_add_f64 v[2:3], v[2:3], v[14:15]
.LBB427_26:
	flat_store_dwordx4 v[4:5], v[0:3]
.LBB427_27:
	s_or_b32 exec_lo, exec_lo, s2
	v_cmp_le_i32_e32 vcc_lo, v18, v10
	s_and_b32 s0, vcc_lo, s1
	s_and_saveexec_b32 s1, s0
	s_cbranch_execz .LBB427_32
; %bb.28:
	v_mul_f64 v[0:1], s[22:23], v[6:7]
	v_mul_f64 v[2:3], s[20:21], v[6:7]
	v_lshlrev_b64 v[4:5], 4, v[10:11]
	v_cmp_ne_u32_e32 vcc_lo, 1, v26
	s_and_b32 vcc_lo, exec_lo, vcc_lo
	v_add_co_u32 v4, s0, v12, v4
	v_add_co_ci_u32_e64 v5, null, v13, v5, s0
	v_fma_f64 v[0:1], s[20:21], v[8:9], -v[0:1]
	v_fma_f64 v[2:3], s[22:23], v[8:9], v[2:3]
	s_cbranch_vccnz .LBB427_30
; %bb.29:
	flat_load_dwordx4 v[6:9], v[4:5]
	s_waitcnt vmcnt(0) lgkmcnt(0)
	v_mul_f64 v[10:11], s[16:17], v[8:9]
	v_mul_f64 v[8:9], s[14:15], v[8:9]
	v_fma_f64 v[10:11], s[14:15], v[6:7], -v[10:11]
	v_fma_f64 v[6:7], s[16:17], v[6:7], v[8:9]
	v_add_f64 v[0:1], v[0:1], v[10:11]
	v_add_f64 v[2:3], v[2:3], v[6:7]
.LBB427_30:
	flat_store_dwordx4 v[4:5], v[0:3]
	s_endpgm
.LBB427_31:
.LBB427_32:
	s_endpgm
	.section	.rodata,"a",@progbits
	.p2align	6, 0x0
	.amdhsa_kernel _ZL29rocblas_internal_gemmt_kernelIiLi16ELi32ELi8ELc84ELc84ELc76ELb0ELb0E19rocblas_complex_numIdES1_PKPKS1_PKPS1_EviT_T9_T10_S9_lSB_S9_lSA_T11_S9_li
		.amdhsa_group_segment_fixed_size 8192
		.amdhsa_private_segment_fixed_size 0
		.amdhsa_kernarg_size 116
		.amdhsa_user_sgpr_count 6
		.amdhsa_user_sgpr_private_segment_buffer 1
		.amdhsa_user_sgpr_dispatch_ptr 0
		.amdhsa_user_sgpr_queue_ptr 0
		.amdhsa_user_sgpr_kernarg_segment_ptr 1
		.amdhsa_user_sgpr_dispatch_id 0
		.amdhsa_user_sgpr_flat_scratch_init 0
		.amdhsa_user_sgpr_private_segment_size 0
		.amdhsa_wavefront_size32 1
		.amdhsa_uses_dynamic_stack 0
		.amdhsa_system_sgpr_private_segment_wavefront_offset 0
		.amdhsa_system_sgpr_workgroup_id_x 1
		.amdhsa_system_sgpr_workgroup_id_y 1
		.amdhsa_system_sgpr_workgroup_id_z 1
		.amdhsa_system_sgpr_workgroup_info 0
		.amdhsa_system_vgpr_workitem_id 1
		.amdhsa_next_free_vgpr 128
		.amdhsa_next_free_sgpr 32
		.amdhsa_reserve_vcc 1
		.amdhsa_reserve_flat_scratch 0
		.amdhsa_float_round_mode_32 0
		.amdhsa_float_round_mode_16_64 0
		.amdhsa_float_denorm_mode_32 3
		.amdhsa_float_denorm_mode_16_64 3
		.amdhsa_dx10_clamp 1
		.amdhsa_ieee_mode 1
		.amdhsa_fp16_overflow 0
		.amdhsa_workgroup_processor_mode 1
		.amdhsa_memory_ordered 1
		.amdhsa_forward_progress 1
		.amdhsa_shared_vgpr_count 0
		.amdhsa_exception_fp_ieee_invalid_op 0
		.amdhsa_exception_fp_denorm_src 0
		.amdhsa_exception_fp_ieee_div_zero 0
		.amdhsa_exception_fp_ieee_overflow 0
		.amdhsa_exception_fp_ieee_underflow 0
		.amdhsa_exception_fp_ieee_inexact 0
		.amdhsa_exception_int_div_zero 0
	.end_amdhsa_kernel
	.section	.text._ZL29rocblas_internal_gemmt_kernelIiLi16ELi32ELi8ELc84ELc84ELc76ELb0ELb0E19rocblas_complex_numIdES1_PKPKS1_PKPS1_EviT_T9_T10_S9_lSB_S9_lSA_T11_S9_li,"axG",@progbits,_ZL29rocblas_internal_gemmt_kernelIiLi16ELi32ELi8ELc84ELc84ELc76ELb0ELb0E19rocblas_complex_numIdES1_PKPKS1_PKPS1_EviT_T9_T10_S9_lSB_S9_lSA_T11_S9_li,comdat
.Lfunc_end427:
	.size	_ZL29rocblas_internal_gemmt_kernelIiLi16ELi32ELi8ELc84ELc84ELc76ELb0ELb0E19rocblas_complex_numIdES1_PKPKS1_PKPS1_EviT_T9_T10_S9_lSB_S9_lSA_T11_S9_li, .Lfunc_end427-_ZL29rocblas_internal_gemmt_kernelIiLi16ELi32ELi8ELc84ELc84ELc76ELb0ELb0E19rocblas_complex_numIdES1_PKPKS1_PKPS1_EviT_T9_T10_S9_lSB_S9_lSA_T11_S9_li
                                        ; -- End function
	.set _ZL29rocblas_internal_gemmt_kernelIiLi16ELi32ELi8ELc84ELc84ELc76ELb0ELb0E19rocblas_complex_numIdES1_PKPKS1_PKPS1_EviT_T9_T10_S9_lSB_S9_lSA_T11_S9_li.num_vgpr, 128
	.set _ZL29rocblas_internal_gemmt_kernelIiLi16ELi32ELi8ELc84ELc84ELc76ELb0ELb0E19rocblas_complex_numIdES1_PKPKS1_PKPS1_EviT_T9_T10_S9_lSB_S9_lSA_T11_S9_li.num_agpr, 0
	.set _ZL29rocblas_internal_gemmt_kernelIiLi16ELi32ELi8ELc84ELc84ELc76ELb0ELb0E19rocblas_complex_numIdES1_PKPKS1_PKPS1_EviT_T9_T10_S9_lSB_S9_lSA_T11_S9_li.numbered_sgpr, 32
	.set _ZL29rocblas_internal_gemmt_kernelIiLi16ELi32ELi8ELc84ELc84ELc76ELb0ELb0E19rocblas_complex_numIdES1_PKPKS1_PKPS1_EviT_T9_T10_S9_lSB_S9_lSA_T11_S9_li.num_named_barrier, 0
	.set _ZL29rocblas_internal_gemmt_kernelIiLi16ELi32ELi8ELc84ELc84ELc76ELb0ELb0E19rocblas_complex_numIdES1_PKPKS1_PKPS1_EviT_T9_T10_S9_lSB_S9_lSA_T11_S9_li.private_seg_size, 0
	.set _ZL29rocblas_internal_gemmt_kernelIiLi16ELi32ELi8ELc84ELc84ELc76ELb0ELb0E19rocblas_complex_numIdES1_PKPKS1_PKPS1_EviT_T9_T10_S9_lSB_S9_lSA_T11_S9_li.uses_vcc, 1
	.set _ZL29rocblas_internal_gemmt_kernelIiLi16ELi32ELi8ELc84ELc84ELc76ELb0ELb0E19rocblas_complex_numIdES1_PKPKS1_PKPS1_EviT_T9_T10_S9_lSB_S9_lSA_T11_S9_li.uses_flat_scratch, 0
	.set _ZL29rocblas_internal_gemmt_kernelIiLi16ELi32ELi8ELc84ELc84ELc76ELb0ELb0E19rocblas_complex_numIdES1_PKPKS1_PKPS1_EviT_T9_T10_S9_lSB_S9_lSA_T11_S9_li.has_dyn_sized_stack, 0
	.set _ZL29rocblas_internal_gemmt_kernelIiLi16ELi32ELi8ELc84ELc84ELc76ELb0ELb0E19rocblas_complex_numIdES1_PKPKS1_PKPS1_EviT_T9_T10_S9_lSB_S9_lSA_T11_S9_li.has_recursion, 0
	.set _ZL29rocblas_internal_gemmt_kernelIiLi16ELi32ELi8ELc84ELc84ELc76ELb0ELb0E19rocblas_complex_numIdES1_PKPKS1_PKPS1_EviT_T9_T10_S9_lSB_S9_lSA_T11_S9_li.has_indirect_call, 0
	.section	.AMDGPU.csdata,"",@progbits
; Kernel info:
; codeLenInByte = 3528
; TotalNumSgprs: 34
; NumVgprs: 128
; ScratchSize: 0
; MemoryBound: 0
; FloatMode: 240
; IeeeMode: 1
; LDSByteSize: 8192 bytes/workgroup (compile time only)
; SGPRBlocks: 0
; VGPRBlocks: 15
; NumSGPRsForWavesPerEU: 34
; NumVGPRsForWavesPerEU: 128
; Occupancy: 8
; WaveLimiterHint : 1
; COMPUTE_PGM_RSRC2:SCRATCH_EN: 0
; COMPUTE_PGM_RSRC2:USER_SGPR: 6
; COMPUTE_PGM_RSRC2:TRAP_HANDLER: 0
; COMPUTE_PGM_RSRC2:TGID_X_EN: 1
; COMPUTE_PGM_RSRC2:TGID_Y_EN: 1
; COMPUTE_PGM_RSRC2:TGID_Z_EN: 1
; COMPUTE_PGM_RSRC2:TIDIG_COMP_CNT: 1
	.section	.text._ZL29rocblas_internal_gemmt_kernelIiLi16ELi32ELi8ELc84ELc67ELc76ELb0ELb1E19rocblas_complex_numIdES1_PKPKS1_PKPS1_EviT_T9_T10_S9_lSB_S9_lSA_T11_S9_li,"axG",@progbits,_ZL29rocblas_internal_gemmt_kernelIiLi16ELi32ELi8ELc84ELc67ELc76ELb0ELb1E19rocblas_complex_numIdES1_PKPKS1_PKPS1_EviT_T9_T10_S9_lSB_S9_lSA_T11_S9_li,comdat
	.globl	_ZL29rocblas_internal_gemmt_kernelIiLi16ELi32ELi8ELc84ELc67ELc76ELb0ELb1E19rocblas_complex_numIdES1_PKPKS1_PKPS1_EviT_T9_T10_S9_lSB_S9_lSA_T11_S9_li ; -- Begin function _ZL29rocblas_internal_gemmt_kernelIiLi16ELi32ELi8ELc84ELc67ELc76ELb0ELb1E19rocblas_complex_numIdES1_PKPKS1_PKPS1_EviT_T9_T10_S9_lSB_S9_lSA_T11_S9_li
	.p2align	8
	.type	_ZL29rocblas_internal_gemmt_kernelIiLi16ELi32ELi8ELc84ELc67ELc76ELb0ELb1E19rocblas_complex_numIdES1_PKPKS1_PKPS1_EviT_T9_T10_S9_lSB_S9_lSA_T11_S9_li,@function
_ZL29rocblas_internal_gemmt_kernelIiLi16ELi32ELi8ELc84ELc67ELc76ELb0ELb1E19rocblas_complex_numIdES1_PKPKS1_PKPS1_EviT_T9_T10_S9_lSB_S9_lSA_T11_S9_li: ; @_ZL29rocblas_internal_gemmt_kernelIiLi16ELi32ELi8ELc84ELc67ELc76ELb0ELb1E19rocblas_complex_numIdES1_PKPKS1_PKPS1_EviT_T9_T10_S9_lSB_S9_lSA_T11_S9_li
; %bb.0:
	s_clause 0x2
	s_load_dwordx8 s[12:19], s[4:5], 0x40
	s_load_dwordx2 s[2:3], s[4:5], 0x0
	s_load_dwordx4 s[20:23], s[4:5], 0x8
	s_waitcnt lgkmcnt(0)
	v_cmp_eq_f64_e64 s0, s[14:15], 1.0
	v_cmp_eq_f64_e64 s30, s[16:17], 0
	s_and_b32 s0, s0, s30
	s_andn2_b32 vcc_lo, exec_lo, s0
	s_mov_b32 s0, -1
	s_cbranch_vccnz .LBB428_3
; %bb.1:
	s_cmp_lg_u32 s3, 0
	s_cbranch_scc0 .LBB428_29
; %bb.2:
	v_cmp_neq_f64_e64 s0, s[20:21], 0
	v_cmp_neq_f64_e64 s1, s[22:23], 0
	s_or_b32 s0, s0, s1
.LBB428_3:
	s_and_b32 vcc_lo, exec_lo, s0
	s_cbranch_vccz .LBB428_30
; %bb.4:
	v_cmp_eq_f64_e64 s24, s[20:21], 0
	v_cmp_eq_f64_e64 s25, s[22:23], 0
	s_mov_b32 s9, 0
	v_mov_b32_e32 v23, 0
	s_lshl_b64 s[28:29], s[8:9], 3
	v_mov_b32_e32 v25, 0
	s_add_u32 s0, s18, s28
	s_addc_u32 s1, s19, s29
	s_lshl_b32 s8, s6, 5
	s_load_dwordx2 s[10:11], s[0:1], 0x0
	s_lshl_b32 s18, s7, 5
	v_mov_b32_e32 v19, 0
	v_mov_b32_e32 v21, 0
	;; [unrolled: 1-line block ×12, first 2 shown]
	s_and_b32 s0, s24, s25
	s_cmp_lt_i32 s3, 1
	v_mov_b32_e32 v10, 0
	s_cselect_b32 s1, -1, 0
	v_mov_b32_e32 v8, 0
	s_or_b32 s0, s0, s1
	s_and_b32 vcc_lo, exec_lo, s0
	s_cbranch_vccnz .LBB428_13
; %bb.5:
	s_clause 0x3
	s_load_dword s6, s[4:5], 0x38
	s_load_dwordx4 s[24:27], s[4:5], 0x28
	s_load_dword s1, s[4:5], 0x20
	s_load_dwordx2 s[34:35], s[4:5], 0x18
	v_lshl_add_u32 v2, v1, 4, v0
	v_and_b32_e32 v27, 7, v0
	v_mov_b32_e32 v9, 0
	v_mov_b32_e32 v17, 0
	;; [unrolled: 1-line block ×3, first 2 shown]
	v_and_b32_e32 v3, 31, v2
	v_lshrrev_b32_e32 v4, 3, v2
	v_lshlrev_b32_e32 v5, 4, v27
	v_lshrrev_b32_e32 v28, 5, v2
	v_mov_b32_e32 v21, 0
	v_or_b32_e32 v6, s8, v3
	v_lshlrev_b32_e32 v7, 4, v3
	v_add_nc_u32_e32 v3, s8, v3
	v_add_nc_u32_e32 v2, s18, v4
	v_lshl_or_b32 v8, v4, 7, v5
	v_cmp_gt_i32_e64 s0, s2, v6
	s_waitcnt lgkmcnt(0)
	s_ashr_i32 s7, s6, 31
	s_add_u32 s26, s26, s28
	v_mad_i64_i32 v[4:5], null, s1, v3, 0
	s_addc_u32 s27, s27, s29
	v_lshl_or_b32 v29, v28, 9, v7
	s_add_u32 s28, s34, s28
	v_mad_i64_i32 v[6:7], null, s6, v27, 0
	s_addc_u32 s29, s35, s29
	s_load_dwordx2 s[26:27], s[26:27], 0x0
	s_load_dwordx2 s[28:29], s[28:29], 0x0
	v_lshlrev_b64 v[4:5], 4, v[4:5]
	v_ashrrev_i32_e32 v3, 31, v2
	s_lshl_b64 s[24:25], s[24:25], 4
	v_add_nc_u32_e32 v30, 0x1000, v8
	v_lshlrev_b64 v[6:7], 4, v[6:7]
	v_lshlrev_b32_e32 v8, 4, v28
	v_add_co_u32 v4, s1, v4, s24
	s_lshl_b64 s[12:13], s[12:13], 4
	v_cmp_gt_i32_e32 vcc_lo, s2, v2
	v_lshlrev_b64 v[2:3], 4, v[2:3]
	v_add_co_ci_u32_e64 v5, null, s25, v5, s1
	v_add_co_u32 v6, s1, v6, s12
	v_add_co_ci_u32_e64 v7, null, s13, v7, s1
	v_add_co_u32 v4, s1, v4, v8
	;; [unrolled: 2-line block ×3, first 2 shown]
	v_add_co_ci_u32_e64 v3, null, v7, v3, s1
	s_waitcnt lgkmcnt(0)
	v_add_co_u32 v11, s1, s28, v4
	v_add_co_ci_u32_e64 v12, null, s29, v5, s1
	v_add_co_u32 v13, s1, s26, v2
	v_mov_b32_e32 v7, 0
	v_mov_b32_e32 v19, 0
	;; [unrolled: 1-line block ×4, first 2 shown]
	v_lshlrev_b32_e32 v31, 4, v0
	v_lshl_add_u32 v32, v1, 7, 0x1000
	v_add_co_ci_u32_e64 v14, null, s27, v3, s1
	v_mov_b32_e32 v8, 0
	v_mov_b32_e32 v10, 0
	;; [unrolled: 1-line block ×9, first 2 shown]
	s_lshl_b64 s[6:7], s[6:7], 7
	s_xor_b32 s1, s0, -1
	s_branch .LBB428_7
.LBB428_6:                              ;   in Loop: Header=BB428_7 Depth=1
	s_or_b32 exec_lo, exec_lo, s0
	ds_write_b128 v30, v[3:6]
	s_waitcnt lgkmcnt(0)
	s_barrier
	buffer_gl0_inv
	ds_read_b128 v[3:6], v32
	ds_read_b128 v[33:36], v31
	ds_read_b128 v[37:40], v31 offset:256
	ds_read_b128 v[41:44], v32 offset:2048
	;; [unrolled: 1-line block ×12, first 2 shown]
	v_add_co_u32 v11, s0, 0x80, v11
	v_add_co_ci_u32_e64 v12, null, 0, v12, s0
	v_add_co_u32 v13, s0, v13, s6
	v_add_co_ci_u32_e64 v14, null, s7, v14, s0
	s_waitcnt lgkmcnt(12)
	v_mul_f64 v[85:86], v[5:6], v[35:36]
	v_mul_f64 v[87:88], v[3:4], v[35:36]
	s_waitcnt lgkmcnt(11)
	v_mul_f64 v[89:90], v[5:6], v[39:40]
	v_mul_f64 v[91:92], v[3:4], v[39:40]
	;; [unrolled: 3-line block ×3, first 2 shown]
	v_mul_f64 v[95:96], v[43:44], v[39:40]
	v_mul_f64 v[39:40], v[41:42], v[39:40]
	s_waitcnt lgkmcnt(8)
	v_mul_f64 v[97:98], v[47:48], v[51:52]
	v_mul_f64 v[99:100], v[45:46], v[51:52]
	s_waitcnt lgkmcnt(7)
	;; [unrolled: 3-line block ×3, first 2 shown]
	v_mul_f64 v[105:106], v[59:60], v[51:52]
	v_mul_f64 v[51:52], v[57:58], v[51:52]
	;; [unrolled: 1-line block ×4, first 2 shown]
	s_waitcnt lgkmcnt(4)
	v_mul_f64 v[109:110], v[63:64], v[67:68]
	v_mul_f64 v[111:112], v[61:62], v[67:68]
	s_waitcnt lgkmcnt(3)
	v_mul_f64 v[113:114], v[63:64], v[71:72]
	v_mul_f64 v[115:116], v[61:62], v[71:72]
	;; [unrolled: 3-line block ×3, first 2 shown]
	v_fma_f64 v[85:86], v[3:4], v[33:34], -v[85:86]
	v_fma_f64 v[87:88], v[5:6], v[33:34], v[87:88]
	v_fma_f64 v[89:90], v[3:4], v[37:38], -v[89:90]
	v_fma_f64 v[91:92], v[5:6], v[37:38], v[91:92]
	v_fma_f64 v[93:94], v[41:42], v[33:34], -v[93:94]
	v_fma_f64 v[119:120], v[43:44], v[33:34], v[35:36]
	v_fma_f64 v[95:96], v[41:42], v[37:38], -v[95:96]
	v_fma_f64 v[121:122], v[43:44], v[37:38], v[39:40]
	v_mul_f64 v[123:124], v[75:76], v[71:72]
	v_mul_f64 v[71:72], v[73:74], v[71:72]
	v_fma_f64 v[97:98], v[45:46], v[49:50], -v[97:98]
	v_fma_f64 v[99:100], v[47:48], v[49:50], v[99:100]
	v_fma_f64 v[101:102], v[45:46], v[53:54], -v[101:102]
	v_fma_f64 v[103:104], v[47:48], v[53:54], v[103:104]
	;; [unrolled: 2-line block ×7, first 2 shown]
	v_add_f64 v[23:24], v[23:24], v[85:86]
	v_add_f64 v[25:26], v[87:88], v[25:26]
	;; [unrolled: 1-line block ×6, first 2 shown]
	v_fma_f64 v[73:74], v[73:74], v[69:70], -v[123:124]
	v_fma_f64 v[69:70], v[75:76], v[69:70], v[71:72]
	v_add_f64 v[71:72], v[15:16], v[93:94]
	v_add_f64 v[75:76], v[119:120], v[17:18]
	ds_read_b128 v[3:6], v31 offset:1536
	ds_read_b128 v[33:36], v31 offset:1792
	;; [unrolled: 1-line block ×7, first 2 shown]
	s_add_i32 s9, s9, 8
	s_cmp_lt_i32 s9, s3
	v_add_f64 v[97:98], v[23:24], v[97:98]
	v_add_f64 v[99:100], v[99:100], v[25:26]
	;; [unrolled: 1-line block ×6, first 2 shown]
	ds_read_b128 v[19:22], v31 offset:2560
	ds_read_b128 v[23:26], v31 offset:2816
	s_waitcnt lgkmcnt(8)
	v_mul_f64 v[109:110], v[79:80], v[5:6]
	v_mul_f64 v[111:112], v[77:78], v[5:6]
	s_waitcnt lgkmcnt(7)
	v_mul_f64 v[67:68], v[79:80], v[35:36]
	v_mul_f64 v[113:114], v[77:78], v[35:36]
	;; [unrolled: 1-line block ×6, first 2 shown]
	s_waitcnt lgkmcnt(4)
	v_mul_f64 v[95:96], v[39:40], v[47:48]
	v_add_f64 v[71:72], v[71:72], v[105:106]
	v_add_f64 v[75:76], v[125:126], v[75:76]
	v_mul_f64 v[93:94], v[37:38], v[43:44]
	ds_read_b128 v[5:8], v32 offset:80
	v_add_f64 v[55:56], v[97:98], v[55:56]
	v_add_f64 v[59:60], v[59:60], v[99:100]
	;; [unrolled: 1-line block ×6, first 2 shown]
	s_waitcnt lgkmcnt(2)
	v_mul_f64 v[99:100], v[17:18], v[21:22]
	s_waitcnt lgkmcnt(1)
	v_mul_f64 v[101:102], v[17:18], v[25:26]
	v_fma_f64 v[89:90], v[77:78], v[3:4], -v[109:110]
	v_fma_f64 v[91:92], v[79:80], v[3:4], v[111:112]
	v_fma_f64 v[67:68], v[77:78], v[33:34], -v[67:68]
	v_mul_f64 v[77:78], v[39:40], v[43:44]
	v_mul_f64 v[109:110], v[37:38], v[47:48]
	v_fma_f64 v[79:80], v[79:80], v[33:34], v[113:114]
	v_mul_f64 v[111:112], v[51:52], v[43:44]
	v_mul_f64 v[43:44], v[49:50], v[43:44]
	v_fma_f64 v[57:58], v[81:82], v[3:4], -v[115:116]
	v_fma_f64 v[3:4], v[83:84], v[3:4], v[117:118]
	v_fma_f64 v[81:82], v[81:82], v[33:34], -v[87:88]
	v_fma_f64 v[83:84], v[83:84], v[33:34], v[35:36]
	v_fma_f64 v[87:88], v[37:38], v[45:46], -v[95:96]
	v_mul_f64 v[95:96], v[51:52], v[47:48]
	v_mul_f64 v[47:48], v[49:50], v[47:48]
	v_add_f64 v[71:72], v[71:72], v[107:108]
	v_add_f64 v[65:66], v[65:66], v[75:76]
	v_fma_f64 v[85:86], v[39:40], v[41:42], v[93:94]
	s_waitcnt lgkmcnt(0)
	v_mul_f64 v[69:70], v[7:8], v[21:22]
	v_mul_f64 v[73:74], v[5:6], v[21:22]
	;; [unrolled: 1-line block ×6, first 2 shown]
	v_add_f64 v[55:56], v[55:56], v[89:90]
	v_fma_f64 v[77:78], v[37:38], v[41:42], -v[77:78]
	v_fma_f64 v[93:94], v[39:40], v[45:46], v[109:110]
	v_add_f64 v[59:60], v[91:92], v[59:60]
	v_fma_f64 v[105:106], v[49:50], v[41:42], -v[111:112]
	v_fma_f64 v[109:110], v[51:52], v[41:42], v[43:44]
	v_add_f64 v[61:62], v[61:62], v[67:68]
	v_add_f64 v[63:64], v[79:80], v[63:64]
	;; [unrolled: 1-line block ×4, first 2 shown]
	ds_read_b128 v[33:36], v32 offset:96
	ds_read_b128 v[37:40], v31 offset:3072
	v_fma_f64 v[49:50], v[49:50], v[45:46], -v[95:96]
	v_fma_f64 v[51:52], v[51:52], v[45:46], v[47:48]
	v_add_f64 v[57:58], v[71:72], v[57:58]
	v_add_f64 v[65:66], v[3:4], v[65:66]
	ds_read_b128 v[41:44], v31 offset:3328
	ds_read_b128 v[45:48], v32 offset:2144
	v_fma_f64 v[69:70], v[5:6], v[19:20], -v[69:70]
	v_fma_f64 v[71:72], v[7:8], v[19:20], v[73:74]
	v_fma_f64 v[73:74], v[5:6], v[23:24], -v[75:76]
	v_fma_f64 v[75:76], v[7:8], v[23:24], v[97:98]
	;; [unrolled: 2-line block ×4, first 2 shown]
	v_add_f64 v[55:56], v[55:56], v[77:78]
	v_add_f64 v[59:60], v[85:86], v[59:60]
	ds_read_b128 v[3:6], v32 offset:112
	ds_read_b128 v[7:10], v32 offset:2160
	v_add_f64 v[61:62], v[61:62], v[87:88]
	v_add_f64 v[63:64], v[93:94], v[63:64]
	s_waitcnt lgkmcnt(4)
	v_mul_f64 v[89:90], v[35:36], v[39:40]
	v_mul_f64 v[25:26], v[33:34], v[39:40]
	ds_read_b128 v[15:18], v31 offset:3584
	ds_read_b128 v[19:22], v31 offset:3840
	v_add_f64 v[49:50], v[67:68], v[49:50]
	s_waitcnt lgkmcnt(5)
	v_mul_f64 v[91:92], v[35:36], v[43:44]
	v_mul_f64 v[95:96], v[33:34], v[43:44]
	s_waitcnt lgkmcnt(4)
	v_mul_f64 v[97:98], v[47:48], v[39:40]
	v_mul_f64 v[39:40], v[45:46], v[39:40]
	v_add_f64 v[57:58], v[57:58], v[105:106]
	v_add_f64 v[65:66], v[109:110], v[65:66]
	;; [unrolled: 1-line block ×3, first 2 shown]
	v_mul_f64 v[53:54], v[47:48], v[43:44]
	v_mul_f64 v[43:44], v[45:46], v[43:44]
	s_waitcnt lgkmcnt(0)
	s_barrier
	buffer_gl0_inv
	v_fma_f64 v[67:68], v[33:34], v[37:38], -v[89:90]
	v_fma_f64 v[25:26], v[35:36], v[37:38], v[25:26]
	v_add_f64 v[49:50], v[49:50], v[83:84]
	v_fma_f64 v[33:34], v[33:34], v[41:42], -v[91:92]
	v_fma_f64 v[35:36], v[35:36], v[41:42], v[95:96]
	v_fma_f64 v[77:78], v[45:46], v[37:38], -v[97:98]
	v_fma_f64 v[37:38], v[47:48], v[37:38], v[39:40]
	v_add_f64 v[39:40], v[55:56], v[69:70]
	v_add_f64 v[55:56], v[71:72], v[59:60]
	;; [unrolled: 1-line block ×7, first 2 shown]
	v_fma_f64 v[45:46], v[45:46], v[41:42], -v[53:54]
	v_fma_f64 v[41:42], v[47:48], v[41:42], v[43:44]
	v_mul_f64 v[43:44], v[5:6], v[17:18]
	v_mul_f64 v[47:48], v[3:4], v[17:18]
	;; [unrolled: 1-line block ×8, first 2 shown]
	v_add_f64 v[39:40], v[39:40], v[67:68]
	v_add_f64 v[25:26], v[25:26], v[55:56]
	;; [unrolled: 1-line block ×8, first 2 shown]
	v_fma_f64 v[23:24], v[3:4], v[15:16], -v[43:44]
	v_fma_f64 v[43:44], v[5:6], v[15:16], v[47:48]
	v_fma_f64 v[3:4], v[3:4], v[19:20], -v[51:52]
	v_fma_f64 v[5:6], v[5:6], v[19:20], v[53:54]
	;; [unrolled: 2-line block ×4, first 2 shown]
	v_add_f64 v[23:24], v[39:40], v[23:24]
	v_add_f64 v[25:26], v[43:44], v[25:26]
	;; [unrolled: 1-line block ×8, first 2 shown]
	s_cbranch_scc0 .LBB428_13
.LBB428_7:                              ; =>This Inner Loop Header: Depth=1
	v_add_nc_u32_e32 v3, s9, v28
	v_cmp_le_i32_e64 s0, s3, v3
	s_or_b32 s0, s1, s0
	s_and_saveexec_b32 s12, s0
	s_xor_b32 s0, exec_lo, s12
	s_cbranch_execz .LBB428_9
; %bb.8:                                ;   in Loop: Header=BB428_7 Depth=1
	v_mov_b32_e32 v3, v2
	v_mov_b32_e32 v4, v2
	;; [unrolled: 1-line block ×3, first 2 shown]
	ds_write_b128 v29, v[2:5]
.LBB428_9:                              ;   in Loop: Header=BB428_7 Depth=1
	s_andn2_saveexec_b32 s0, s0
	s_cbranch_execz .LBB428_11
; %bb.10:                               ;   in Loop: Header=BB428_7 Depth=1
	flat_load_dwordx4 v[3:6], v[11:12]
	s_waitcnt vmcnt(0) lgkmcnt(0)
	ds_write2_b64 v29, v[3:4], v[5:6] offset1:1
.LBB428_11:                             ;   in Loop: Header=BB428_7 Depth=1
	s_or_b32 exec_lo, exec_lo, s0
	v_add_nc_u32_e32 v3, s9, v27
	v_mov_b32_e32 v5, 0
	v_mov_b32_e32 v6, 0
	v_cmp_gt_i32_e64 s0, s3, v3
	v_mov_b32_e32 v3, 0
	v_mov_b32_e32 v4, 0
	s_and_b32 s12, s0, vcc_lo
	s_and_saveexec_b32 s0, s12
	s_cbranch_execz .LBB428_6
; %bb.12:                               ;   in Loop: Header=BB428_7 Depth=1
	flat_load_dwordx4 v[3:6], v[13:14]
	s_waitcnt vmcnt(0) lgkmcnt(0)
	v_xor_b32_e32 v6, 0x80000000, v6
	s_branch .LBB428_6
.LBB428_13:
	s_clause 0x1
	s_load_dword s3, s[4:5], 0x60
	s_load_dwordx2 s[4:5], s[4:5], 0x68
	v_cmp_neq_f64_e64 s6, s[14:15], 0
	v_add_nc_u32_e32 v27, s18, v1
	v_add_nc_u32_e32 v4, s8, v0
	v_cmp_le_i32_e32 vcc_lo, v27, v4
	v_cmp_gt_i32_e64 s0, s2, v4
	v_ashrrev_i32_e32 v5, 31, v4
	s_waitcnt lgkmcnt(0)
	v_mad_i64_i32 v[0:1], null, v27, s3, 0
	s_lshl_b64 s[4:5], s[4:5], 4
	s_add_u32 s4, s10, s4
	s_addc_u32 s5, s11, s5
	s_xor_b32 s7, s30, -1
	s_or_b32 s6, s6, s7
	v_lshlrev_b64 v[0:1], 4, v[0:1]
	v_cndmask_b32_e64 v6, 0, 1, s6
	s_and_b32 s7, vcc_lo, s0
	v_add_co_u32 v13, s1, s4, v0
	v_add_co_ci_u32_e64 v14, null, s5, v1, s1
	s_and_saveexec_b32 s1, s7
	s_cbranch_execz .LBB428_17
; %bb.14:
	v_mul_f64 v[0:1], s[22:23], v[25:26]
	v_mul_f64 v[2:3], s[20:21], v[25:26]
	v_lshlrev_b64 v[11:12], 4, v[4:5]
	v_add_co_u32 v11, vcc_lo, v13, v11
	v_add_co_ci_u32_e64 v12, null, v14, v12, vcc_lo
	s_andn2_b32 vcc_lo, exec_lo, s6
	v_fma_f64 v[0:1], s[20:21], v[23:24], -v[0:1]
	v_fma_f64 v[2:3], s[22:23], v[23:24], v[2:3]
	s_cbranch_vccnz .LBB428_16
; %bb.15:
	flat_load_dwordx4 v[23:26], v[11:12]
	s_waitcnt vmcnt(0) lgkmcnt(0)
	v_mul_f64 v[28:29], s[16:17], v[25:26]
	v_mul_f64 v[25:26], s[14:15], v[25:26]
	v_fma_f64 v[28:29], s[14:15], v[23:24], -v[28:29]
	v_fma_f64 v[23:24], s[16:17], v[23:24], v[25:26]
	v_add_f64 v[0:1], v[0:1], v[28:29]
	v_add_f64 v[2:3], v[2:3], v[23:24]
.LBB428_16:
	flat_store_dwordx4 v[11:12], v[0:3]
.LBB428_17:
	s_or_b32 exec_lo, exec_lo, s1
	v_add_nc_u32_e32 v11, 16, v4
	v_cmp_le_i32_e32 vcc_lo, v27, v11
	v_cmp_gt_i32_e64 s1, s2, v11
	v_ashrrev_i32_e32 v12, 31, v11
	s_and_b32 s2, vcc_lo, s1
	s_and_saveexec_b32 s6, s2
	s_cbranch_execz .LBB428_21
; %bb.18:
	v_mul_f64 v[0:1], s[22:23], v[21:22]
	v_mul_f64 v[2:3], s[20:21], v[21:22]
	v_cmp_ne_u32_e32 vcc_lo, 1, v6
	s_and_b32 vcc_lo, exec_lo, vcc_lo
	v_fma_f64 v[0:1], s[20:21], v[19:20], -v[0:1]
	v_fma_f64 v[2:3], s[22:23], v[19:20], v[2:3]
	v_lshlrev_b64 v[19:20], 4, v[11:12]
	v_add_co_u32 v13, s2, v13, v19
	v_add_co_ci_u32_e64 v14, null, v14, v20, s2
	s_cbranch_vccnz .LBB428_20
; %bb.19:
	flat_load_dwordx4 v[19:22], v[13:14]
	s_waitcnt vmcnt(0) lgkmcnt(0)
	v_mul_f64 v[23:24], s[16:17], v[21:22]
	v_mul_f64 v[21:22], s[14:15], v[21:22]
	v_fma_f64 v[23:24], s[14:15], v[19:20], -v[23:24]
	v_fma_f64 v[19:20], s[16:17], v[19:20], v[21:22]
	v_add_f64 v[0:1], v[0:1], v[23:24]
	v_add_f64 v[2:3], v[2:3], v[19:20]
.LBB428_20:
	flat_store_dwordx4 v[13:14], v[0:3]
.LBB428_21:
	s_or_b32 exec_lo, exec_lo, s6
	v_add_nc_u32_e32 v19, 16, v27
	v_mad_i64_i32 v[0:1], null, v19, s3, 0
	v_cmp_le_i32_e32 vcc_lo, v19, v4
	s_and_b32 s0, vcc_lo, s0
	v_lshlrev_b64 v[0:1], 4, v[0:1]
	v_add_co_u32 v13, s2, s4, v0
	v_add_co_ci_u32_e64 v14, null, s5, v1, s2
	s_and_saveexec_b32 s2, s0
	s_cbranch_execz .LBB428_25
; %bb.22:
	v_mul_f64 v[0:1], s[22:23], v[17:18]
	v_mul_f64 v[2:3], s[20:21], v[17:18]
	v_lshlrev_b64 v[4:5], 4, v[4:5]
	v_cmp_ne_u32_e32 vcc_lo, 1, v6
	s_and_b32 vcc_lo, exec_lo, vcc_lo
	v_add_co_u32 v4, s0, v13, v4
	v_add_co_ci_u32_e64 v5, null, v14, v5, s0
	v_fma_f64 v[0:1], s[20:21], v[15:16], -v[0:1]
	v_fma_f64 v[2:3], s[22:23], v[15:16], v[2:3]
	s_cbranch_vccnz .LBB428_24
; %bb.23:
	flat_load_dwordx4 v[15:18], v[4:5]
	s_waitcnt vmcnt(0) lgkmcnt(0)
	v_mul_f64 v[20:21], s[16:17], v[17:18]
	v_mul_f64 v[17:18], s[14:15], v[17:18]
	v_fma_f64 v[20:21], s[14:15], v[15:16], -v[20:21]
	v_fma_f64 v[15:16], s[16:17], v[15:16], v[17:18]
	v_add_f64 v[0:1], v[0:1], v[20:21]
	v_add_f64 v[2:3], v[2:3], v[15:16]
.LBB428_24:
	flat_store_dwordx4 v[4:5], v[0:3]
.LBB428_25:
	s_or_b32 exec_lo, exec_lo, s2
	v_cmp_le_i32_e32 vcc_lo, v19, v11
	s_and_b32 s0, vcc_lo, s1
	s_and_saveexec_b32 s1, s0
	s_cbranch_execz .LBB428_30
; %bb.26:
	v_mul_f64 v[0:1], s[22:23], v[7:8]
	v_mul_f64 v[2:3], s[20:21], v[7:8]
	v_lshlrev_b64 v[4:5], 4, v[11:12]
	v_cmp_ne_u32_e32 vcc_lo, 1, v6
	s_and_b32 vcc_lo, exec_lo, vcc_lo
	v_add_co_u32 v4, s0, v13, v4
	v_add_co_ci_u32_e64 v5, null, v14, v5, s0
	v_fma_f64 v[0:1], s[20:21], v[9:10], -v[0:1]
	v_fma_f64 v[2:3], s[22:23], v[9:10], v[2:3]
	s_cbranch_vccnz .LBB428_28
; %bb.27:
	flat_load_dwordx4 v[6:9], v[4:5]
	s_waitcnt vmcnt(0) lgkmcnt(0)
	v_mul_f64 v[10:11], s[16:17], v[8:9]
	v_mul_f64 v[8:9], s[14:15], v[8:9]
	v_fma_f64 v[10:11], s[14:15], v[6:7], -v[10:11]
	v_fma_f64 v[6:7], s[16:17], v[6:7], v[8:9]
	v_add_f64 v[0:1], v[0:1], v[10:11]
	v_add_f64 v[2:3], v[2:3], v[6:7]
.LBB428_28:
	flat_store_dwordx4 v[4:5], v[0:3]
	s_endpgm
.LBB428_29:
.LBB428_30:
	s_endpgm
	.section	.rodata,"a",@progbits
	.p2align	6, 0x0
	.amdhsa_kernel _ZL29rocblas_internal_gemmt_kernelIiLi16ELi32ELi8ELc84ELc67ELc76ELb0ELb1E19rocblas_complex_numIdES1_PKPKS1_PKPS1_EviT_T9_T10_S9_lSB_S9_lSA_T11_S9_li
		.amdhsa_group_segment_fixed_size 8192
		.amdhsa_private_segment_fixed_size 0
		.amdhsa_kernarg_size 116
		.amdhsa_user_sgpr_count 6
		.amdhsa_user_sgpr_private_segment_buffer 1
		.amdhsa_user_sgpr_dispatch_ptr 0
		.amdhsa_user_sgpr_queue_ptr 0
		.amdhsa_user_sgpr_kernarg_segment_ptr 1
		.amdhsa_user_sgpr_dispatch_id 0
		.amdhsa_user_sgpr_flat_scratch_init 0
		.amdhsa_user_sgpr_private_segment_size 0
		.amdhsa_wavefront_size32 1
		.amdhsa_uses_dynamic_stack 0
		.amdhsa_system_sgpr_private_segment_wavefront_offset 0
		.amdhsa_system_sgpr_workgroup_id_x 1
		.amdhsa_system_sgpr_workgroup_id_y 1
		.amdhsa_system_sgpr_workgroup_id_z 1
		.amdhsa_system_sgpr_workgroup_info 0
		.amdhsa_system_vgpr_workitem_id 1
		.amdhsa_next_free_vgpr 127
		.amdhsa_next_free_sgpr 36
		.amdhsa_reserve_vcc 1
		.amdhsa_reserve_flat_scratch 0
		.amdhsa_float_round_mode_32 0
		.amdhsa_float_round_mode_16_64 0
		.amdhsa_float_denorm_mode_32 3
		.amdhsa_float_denorm_mode_16_64 3
		.amdhsa_dx10_clamp 1
		.amdhsa_ieee_mode 1
		.amdhsa_fp16_overflow 0
		.amdhsa_workgroup_processor_mode 1
		.amdhsa_memory_ordered 1
		.amdhsa_forward_progress 1
		.amdhsa_shared_vgpr_count 0
		.amdhsa_exception_fp_ieee_invalid_op 0
		.amdhsa_exception_fp_denorm_src 0
		.amdhsa_exception_fp_ieee_div_zero 0
		.amdhsa_exception_fp_ieee_overflow 0
		.amdhsa_exception_fp_ieee_underflow 0
		.amdhsa_exception_fp_ieee_inexact 0
		.amdhsa_exception_int_div_zero 0
	.end_amdhsa_kernel
	.section	.text._ZL29rocblas_internal_gemmt_kernelIiLi16ELi32ELi8ELc84ELc67ELc76ELb0ELb1E19rocblas_complex_numIdES1_PKPKS1_PKPS1_EviT_T9_T10_S9_lSB_S9_lSA_T11_S9_li,"axG",@progbits,_ZL29rocblas_internal_gemmt_kernelIiLi16ELi32ELi8ELc84ELc67ELc76ELb0ELb1E19rocblas_complex_numIdES1_PKPKS1_PKPS1_EviT_T9_T10_S9_lSB_S9_lSA_T11_S9_li,comdat
.Lfunc_end428:
	.size	_ZL29rocblas_internal_gemmt_kernelIiLi16ELi32ELi8ELc84ELc67ELc76ELb0ELb1E19rocblas_complex_numIdES1_PKPKS1_PKPS1_EviT_T9_T10_S9_lSB_S9_lSA_T11_S9_li, .Lfunc_end428-_ZL29rocblas_internal_gemmt_kernelIiLi16ELi32ELi8ELc84ELc67ELc76ELb0ELb1E19rocblas_complex_numIdES1_PKPKS1_PKPS1_EviT_T9_T10_S9_lSB_S9_lSA_T11_S9_li
                                        ; -- End function
	.set _ZL29rocblas_internal_gemmt_kernelIiLi16ELi32ELi8ELc84ELc67ELc76ELb0ELb1E19rocblas_complex_numIdES1_PKPKS1_PKPS1_EviT_T9_T10_S9_lSB_S9_lSA_T11_S9_li.num_vgpr, 127
	.set _ZL29rocblas_internal_gemmt_kernelIiLi16ELi32ELi8ELc84ELc67ELc76ELb0ELb1E19rocblas_complex_numIdES1_PKPKS1_PKPS1_EviT_T9_T10_S9_lSB_S9_lSA_T11_S9_li.num_agpr, 0
	.set _ZL29rocblas_internal_gemmt_kernelIiLi16ELi32ELi8ELc84ELc67ELc76ELb0ELb1E19rocblas_complex_numIdES1_PKPKS1_PKPS1_EviT_T9_T10_S9_lSB_S9_lSA_T11_S9_li.numbered_sgpr, 36
	.set _ZL29rocblas_internal_gemmt_kernelIiLi16ELi32ELi8ELc84ELc67ELc76ELb0ELb1E19rocblas_complex_numIdES1_PKPKS1_PKPS1_EviT_T9_T10_S9_lSB_S9_lSA_T11_S9_li.num_named_barrier, 0
	.set _ZL29rocblas_internal_gemmt_kernelIiLi16ELi32ELi8ELc84ELc67ELc76ELb0ELb1E19rocblas_complex_numIdES1_PKPKS1_PKPS1_EviT_T9_T10_S9_lSB_S9_lSA_T11_S9_li.private_seg_size, 0
	.set _ZL29rocblas_internal_gemmt_kernelIiLi16ELi32ELi8ELc84ELc67ELc76ELb0ELb1E19rocblas_complex_numIdES1_PKPKS1_PKPS1_EviT_T9_T10_S9_lSB_S9_lSA_T11_S9_li.uses_vcc, 1
	.set _ZL29rocblas_internal_gemmt_kernelIiLi16ELi32ELi8ELc84ELc67ELc76ELb0ELb1E19rocblas_complex_numIdES1_PKPKS1_PKPS1_EviT_T9_T10_S9_lSB_S9_lSA_T11_S9_li.uses_flat_scratch, 0
	.set _ZL29rocblas_internal_gemmt_kernelIiLi16ELi32ELi8ELc84ELc67ELc76ELb0ELb1E19rocblas_complex_numIdES1_PKPKS1_PKPS1_EviT_T9_T10_S9_lSB_S9_lSA_T11_S9_li.has_dyn_sized_stack, 0
	.set _ZL29rocblas_internal_gemmt_kernelIiLi16ELi32ELi8ELc84ELc67ELc76ELb0ELb1E19rocblas_complex_numIdES1_PKPKS1_PKPS1_EviT_T9_T10_S9_lSB_S9_lSA_T11_S9_li.has_recursion, 0
	.set _ZL29rocblas_internal_gemmt_kernelIiLi16ELi32ELi8ELc84ELc67ELc76ELb0ELb1E19rocblas_complex_numIdES1_PKPKS1_PKPS1_EviT_T9_T10_S9_lSB_S9_lSA_T11_S9_li.has_indirect_call, 0
	.section	.AMDGPU.csdata,"",@progbits
; Kernel info:
; codeLenInByte = 3532
; TotalNumSgprs: 38
; NumVgprs: 127
; ScratchSize: 0
; MemoryBound: 1
; FloatMode: 240
; IeeeMode: 1
; LDSByteSize: 8192 bytes/workgroup (compile time only)
; SGPRBlocks: 0
; VGPRBlocks: 15
; NumSGPRsForWavesPerEU: 38
; NumVGPRsForWavesPerEU: 127
; Occupancy: 8
; WaveLimiterHint : 1
; COMPUTE_PGM_RSRC2:SCRATCH_EN: 0
; COMPUTE_PGM_RSRC2:USER_SGPR: 6
; COMPUTE_PGM_RSRC2:TRAP_HANDLER: 0
; COMPUTE_PGM_RSRC2:TGID_X_EN: 1
; COMPUTE_PGM_RSRC2:TGID_Y_EN: 1
; COMPUTE_PGM_RSRC2:TGID_Z_EN: 1
; COMPUTE_PGM_RSRC2:TIDIG_COMP_CNT: 1
	.section	.text._ZL29rocblas_internal_gemmt_kernelIiLi16ELi32ELi8ELc67ELc78ELc76ELb1ELb0E19rocblas_complex_numIdES1_PKPKS1_PKPS1_EviT_T9_T10_S9_lSB_S9_lSA_T11_S9_li,"axG",@progbits,_ZL29rocblas_internal_gemmt_kernelIiLi16ELi32ELi8ELc67ELc78ELc76ELb1ELb0E19rocblas_complex_numIdES1_PKPKS1_PKPS1_EviT_T9_T10_S9_lSB_S9_lSA_T11_S9_li,comdat
	.globl	_ZL29rocblas_internal_gemmt_kernelIiLi16ELi32ELi8ELc67ELc78ELc76ELb1ELb0E19rocblas_complex_numIdES1_PKPKS1_PKPS1_EviT_T9_T10_S9_lSB_S9_lSA_T11_S9_li ; -- Begin function _ZL29rocblas_internal_gemmt_kernelIiLi16ELi32ELi8ELc67ELc78ELc76ELb1ELb0E19rocblas_complex_numIdES1_PKPKS1_PKPS1_EviT_T9_T10_S9_lSB_S9_lSA_T11_S9_li
	.p2align	8
	.type	_ZL29rocblas_internal_gemmt_kernelIiLi16ELi32ELi8ELc67ELc78ELc76ELb1ELb0E19rocblas_complex_numIdES1_PKPKS1_PKPS1_EviT_T9_T10_S9_lSB_S9_lSA_T11_S9_li,@function
_ZL29rocblas_internal_gemmt_kernelIiLi16ELi32ELi8ELc67ELc78ELc76ELb1ELb0E19rocblas_complex_numIdES1_PKPKS1_PKPS1_EviT_T9_T10_S9_lSB_S9_lSA_T11_S9_li: ; @_ZL29rocblas_internal_gemmt_kernelIiLi16ELi32ELi8ELc67ELc78ELc76ELb1ELb0E19rocblas_complex_numIdES1_PKPKS1_PKPS1_EviT_T9_T10_S9_lSB_S9_lSA_T11_S9_li
; %bb.0:
	s_clause 0x2
	s_load_dwordx8 s[12:19], s[4:5], 0x40
	s_load_dwordx2 s[2:3], s[4:5], 0x0
	s_load_dwordx4 s[20:23], s[4:5], 0x8
	s_waitcnt lgkmcnt(0)
	v_cmp_eq_f64_e64 s0, s[14:15], 1.0
	v_cmp_eq_f64_e64 s28, s[16:17], 0
	s_and_b32 s0, s0, s28
	s_andn2_b32 vcc_lo, exec_lo, s0
	s_mov_b32 s0, -1
	s_cbranch_vccnz .LBB429_3
; %bb.1:
	s_cmp_lg_u32 s3, 0
	s_cbranch_scc0 .LBB429_29
; %bb.2:
	v_cmp_neq_f64_e64 s0, s[20:21], 0
	v_cmp_neq_f64_e64 s1, s[22:23], 0
	s_or_b32 s0, s0, s1
.LBB429_3:
	s_and_b32 vcc_lo, exec_lo, s0
	s_cbranch_vccz .LBB429_30
; %bb.4:
	v_cmp_eq_f64_e64 s24, s[20:21], 0
	v_cmp_eq_f64_e64 s25, s[22:23], 0
	s_mov_b32 s9, 0
	v_mov_b32_e32 v23, 0
	s_lshl_b64 s[0:1], s[8:9], 3
	v_mov_b32_e32 v25, 0
	s_add_u32 s10, s18, s0
	s_addc_u32 s11, s19, s1
	s_lshl_b32 s6, s6, 5
	s_load_dwordx2 s[10:11], s[10:11], 0x0
	s_lshl_b32 s7, s7, 5
	v_mov_b32_e32 v19, 0
	v_mov_b32_e32 v21, 0
	v_mov_b32_e32 v15, 0
	v_mov_b32_e32 v17, 0
	v_mov_b32_e32 v9, 0
	v_mov_b32_e32 v7, 0
	v_mov_b32_e32 v24, 0
	v_mov_b32_e32 v26, 0
	v_mov_b32_e32 v20, 0
	v_mov_b32_e32 v22, 0
	v_mov_b32_e32 v16, 0
	v_mov_b32_e32 v18, 0
	s_and_b32 s8, s24, s25
	s_cmp_lt_i32 s3, 1
	v_mov_b32_e32 v10, 0
	s_cselect_b32 s18, -1, 0
	v_mov_b32_e32 v8, 0
	s_or_b32 s8, s8, s18
	s_and_b32 vcc_lo, exec_lo, s8
	s_cbranch_vccnz .LBB429_13
; %bb.5:
	s_clause 0x3
	s_load_dwordx4 s[24:27], s[4:5], 0x28
	s_load_dword s8, s[4:5], 0x20
	s_load_dword s29, s[4:5], 0x38
	s_load_dwordx2 s[18:19], s[4:5], 0x18
	v_lshl_add_u32 v2, v1, 4, v0
	v_and_b32_e32 v27, 7, v0
	v_mov_b32_e32 v17, 0
	v_mov_b32_e32 v15, 0
	;; [unrolled: 1-line block ×3, first 2 shown]
	v_and_b32_e32 v3, 31, v2
	v_lshrrev_b32_e32 v4, 3, v2
	v_lshrrev_b32_e32 v28, 5, v2
	v_lshlrev_b32_e32 v6, 4, v27
	v_mov_b32_e32 v19, 0
	v_or_b32_e32 v2, s6, v3
	v_lshlrev_b32_e32 v8, 4, v3
	v_add_nc_u32_e32 v3, s6, v3
	v_add_nc_u32_e32 v7, s7, v4
	v_lshl_or_b32 v9, v4, 7, v6
	v_cmp_gt_i32_e32 vcc_lo, s2, v2
	v_lshl_or_b32 v29, v28, 9, v8
	s_waitcnt lgkmcnt(0)
	s_add_u32 s26, s26, s0
	v_mad_i64_i32 v[2:3], null, s8, v3, 0
	s_addc_u32 s27, s27, s1
	v_mad_i64_i32 v[4:5], null, s29, v7, 0
	s_add_u32 s0, s18, s0
	s_addc_u32 s1, s19, s1
	s_load_dwordx2 s[18:19], s[26:27], 0x0
	s_load_dwordx2 s[26:27], s[0:1], 0x0
	v_lshlrev_b64 v[2:3], 4, v[2:3]
	s_lshl_b64 s[24:25], s[24:25], 4
	v_cmp_gt_i32_e64 s0, s2, v7
	v_lshlrev_b64 v[4:5], 4, v[4:5]
	v_lshlrev_b32_e32 v7, 4, v28
	s_lshl_b64 s[12:13], s[12:13], 4
	v_add_co_u32 v2, s1, v2, s24
	v_add_co_ci_u32_e64 v3, null, s25, v3, s1
	v_add_co_u32 v4, s1, v4, s12
	v_add_co_ci_u32_e64 v5, null, s13, v5, s1
	v_add_co_u32 v2, s1, v2, v7
	v_add_co_ci_u32_e64 v3, null, 0, v3, s1
	v_add_co_u32 v4, s1, v4, v6
	v_add_co_ci_u32_e64 v5, null, 0, v5, s1
	s_waitcnt lgkmcnt(0)
	v_add_co_u32 v11, s1, s26, v2
	v_add_co_ci_u32_e64 v12, null, s27, v3, s1
	v_add_co_u32 v13, s1, s18, v4
	v_add_nc_u32_e32 v30, 0x1000, v9
	v_mov_b32_e32 v7, 0
	v_mov_b32_e32 v9, 0
	;; [unrolled: 1-line block ×4, first 2 shown]
	v_lshlrev_b32_e32 v31, 4, v0
	v_lshl_add_u32 v32, v1, 7, 0x1000
	v_add_co_ci_u32_e64 v14, null, s19, v5, s1
	v_mov_b32_e32 v8, 0
	v_mov_b32_e32 v10, 0
	;; [unrolled: 1-line block ×9, first 2 shown]
	s_xor_b32 s1, s0, -1
	s_branch .LBB429_7
.LBB429_6:                              ;   in Loop: Header=BB429_7 Depth=1
	s_or_b32 exec_lo, exec_lo, s0
	s_waitcnt lgkmcnt(0)
	s_barrier
	buffer_gl0_inv
	ds_read_b128 v[3:6], v32
	ds_read_b128 v[33:36], v31
	ds_read_b128 v[37:40], v31 offset:256
	ds_read_b128 v[41:44], v32 offset:2048
	;; [unrolled: 1-line block ×12, first 2 shown]
	v_add_co_u32 v11, s0, 0x80, v11
	v_add_co_ci_u32_e64 v12, null, 0, v12, s0
	v_add_co_u32 v13, s0, 0x80, v13
	v_add_co_ci_u32_e64 v14, null, 0, v14, s0
	s_waitcnt lgkmcnt(12)
	v_mul_f64 v[85:86], v[5:6], v[35:36]
	v_mul_f64 v[87:88], v[3:4], v[35:36]
	s_waitcnt lgkmcnt(11)
	v_mul_f64 v[89:90], v[5:6], v[39:40]
	v_mul_f64 v[91:92], v[3:4], v[39:40]
	;; [unrolled: 3-line block ×3, first 2 shown]
	v_mul_f64 v[95:96], v[43:44], v[39:40]
	v_mul_f64 v[39:40], v[41:42], v[39:40]
	s_waitcnt lgkmcnt(8)
	v_mul_f64 v[97:98], v[47:48], v[51:52]
	v_mul_f64 v[99:100], v[45:46], v[51:52]
	s_waitcnt lgkmcnt(7)
	;; [unrolled: 3-line block ×3, first 2 shown]
	v_mul_f64 v[105:106], v[59:60], v[51:52]
	v_mul_f64 v[51:52], v[57:58], v[51:52]
	;; [unrolled: 1-line block ×4, first 2 shown]
	s_waitcnt lgkmcnt(4)
	v_mul_f64 v[109:110], v[63:64], v[67:68]
	v_mul_f64 v[111:112], v[61:62], v[67:68]
	s_waitcnt lgkmcnt(3)
	v_mul_f64 v[113:114], v[63:64], v[71:72]
	v_mul_f64 v[115:116], v[61:62], v[71:72]
	;; [unrolled: 3-line block ×3, first 2 shown]
	v_fma_f64 v[85:86], v[3:4], v[33:34], -v[85:86]
	v_fma_f64 v[87:88], v[5:6], v[33:34], v[87:88]
	v_fma_f64 v[89:90], v[3:4], v[37:38], -v[89:90]
	v_fma_f64 v[91:92], v[5:6], v[37:38], v[91:92]
	;; [unrolled: 2-line block ×4, first 2 shown]
	v_mul_f64 v[123:124], v[75:76], v[71:72]
	v_mul_f64 v[71:72], v[73:74], v[71:72]
	v_fma_f64 v[97:98], v[45:46], v[49:50], -v[97:98]
	v_fma_f64 v[99:100], v[47:48], v[49:50], v[99:100]
	v_fma_f64 v[101:102], v[45:46], v[53:54], -v[101:102]
	v_fma_f64 v[103:104], v[47:48], v[53:54], v[103:104]
	;; [unrolled: 2-line block ×7, first 2 shown]
	v_add_f64 v[23:24], v[23:24], v[85:86]
	v_add_f64 v[25:26], v[87:88], v[25:26]
	v_add_f64 v[19:20], v[19:20], v[89:90]
	v_add_f64 v[21:22], v[91:92], v[21:22]
	v_add_f64 v[9:10], v[9:10], v[95:96]
	v_add_f64 v[85:86], v[121:122], v[7:8]
	v_fma_f64 v[73:74], v[73:74], v[69:70], -v[123:124]
	v_fma_f64 v[69:70], v[75:76], v[69:70], v[71:72]
	v_add_f64 v[71:72], v[15:16], v[93:94]
	v_add_f64 v[75:76], v[119:120], v[17:18]
	ds_read_b128 v[3:6], v31 offset:1536
	ds_read_b128 v[33:36], v31 offset:1792
	;; [unrolled: 1-line block ×7, first 2 shown]
	s_add_i32 s9, s9, 8
	s_cmp_lt_i32 s9, s3
	v_add_f64 v[97:98], v[23:24], v[97:98]
	v_add_f64 v[99:100], v[99:100], v[25:26]
	;; [unrolled: 1-line block ×6, first 2 shown]
	ds_read_b128 v[19:22], v31 offset:2560
	ds_read_b128 v[23:26], v31 offset:2816
	s_waitcnt lgkmcnt(8)
	v_mul_f64 v[109:110], v[79:80], v[5:6]
	v_mul_f64 v[111:112], v[77:78], v[5:6]
	s_waitcnt lgkmcnt(7)
	v_mul_f64 v[67:68], v[79:80], v[35:36]
	v_mul_f64 v[113:114], v[77:78], v[35:36]
	;; [unrolled: 1-line block ×6, first 2 shown]
	s_waitcnt lgkmcnt(4)
	v_mul_f64 v[95:96], v[39:40], v[47:48]
	v_add_f64 v[71:72], v[71:72], v[105:106]
	v_add_f64 v[75:76], v[125:126], v[75:76]
	v_mul_f64 v[93:94], v[37:38], v[43:44]
	ds_read_b128 v[5:8], v32 offset:80
	v_add_f64 v[55:56], v[97:98], v[55:56]
	v_add_f64 v[59:60], v[59:60], v[99:100]
	;; [unrolled: 1-line block ×6, first 2 shown]
	s_waitcnt lgkmcnt(2)
	v_mul_f64 v[99:100], v[17:18], v[21:22]
	s_waitcnt lgkmcnt(1)
	v_mul_f64 v[101:102], v[17:18], v[25:26]
	v_fma_f64 v[89:90], v[77:78], v[3:4], -v[109:110]
	v_fma_f64 v[91:92], v[79:80], v[3:4], v[111:112]
	v_fma_f64 v[67:68], v[77:78], v[33:34], -v[67:68]
	v_mul_f64 v[77:78], v[39:40], v[43:44]
	v_mul_f64 v[109:110], v[37:38], v[47:48]
	v_fma_f64 v[79:80], v[79:80], v[33:34], v[113:114]
	v_mul_f64 v[111:112], v[51:52], v[43:44]
	v_mul_f64 v[43:44], v[49:50], v[43:44]
	v_fma_f64 v[57:58], v[81:82], v[3:4], -v[115:116]
	v_fma_f64 v[3:4], v[83:84], v[3:4], v[117:118]
	v_fma_f64 v[81:82], v[81:82], v[33:34], -v[87:88]
	v_fma_f64 v[83:84], v[83:84], v[33:34], v[35:36]
	v_fma_f64 v[87:88], v[37:38], v[45:46], -v[95:96]
	v_mul_f64 v[95:96], v[51:52], v[47:48]
	v_mul_f64 v[47:48], v[49:50], v[47:48]
	v_add_f64 v[71:72], v[71:72], v[107:108]
	v_add_f64 v[65:66], v[65:66], v[75:76]
	v_fma_f64 v[85:86], v[39:40], v[41:42], v[93:94]
	s_waitcnt lgkmcnt(0)
	v_mul_f64 v[69:70], v[7:8], v[21:22]
	v_mul_f64 v[73:74], v[5:6], v[21:22]
	;; [unrolled: 1-line block ×6, first 2 shown]
	v_add_f64 v[55:56], v[55:56], v[89:90]
	v_fma_f64 v[77:78], v[37:38], v[41:42], -v[77:78]
	v_fma_f64 v[93:94], v[39:40], v[45:46], v[109:110]
	v_add_f64 v[59:60], v[91:92], v[59:60]
	v_fma_f64 v[105:106], v[49:50], v[41:42], -v[111:112]
	v_fma_f64 v[109:110], v[51:52], v[41:42], v[43:44]
	v_add_f64 v[61:62], v[61:62], v[67:68]
	v_add_f64 v[63:64], v[79:80], v[63:64]
	;; [unrolled: 1-line block ×4, first 2 shown]
	ds_read_b128 v[33:36], v32 offset:96
	ds_read_b128 v[37:40], v31 offset:3072
	v_fma_f64 v[49:50], v[49:50], v[45:46], -v[95:96]
	v_fma_f64 v[51:52], v[51:52], v[45:46], v[47:48]
	v_add_f64 v[57:58], v[71:72], v[57:58]
	v_add_f64 v[65:66], v[3:4], v[65:66]
	ds_read_b128 v[41:44], v31 offset:3328
	ds_read_b128 v[45:48], v32 offset:2144
	v_fma_f64 v[69:70], v[5:6], v[19:20], -v[69:70]
	v_fma_f64 v[71:72], v[7:8], v[19:20], v[73:74]
	v_fma_f64 v[73:74], v[5:6], v[23:24], -v[75:76]
	v_fma_f64 v[75:76], v[7:8], v[23:24], v[97:98]
	;; [unrolled: 2-line block ×4, first 2 shown]
	v_add_f64 v[55:56], v[55:56], v[77:78]
	v_add_f64 v[59:60], v[85:86], v[59:60]
	ds_read_b128 v[3:6], v32 offset:112
	ds_read_b128 v[7:10], v32 offset:2160
	v_add_f64 v[61:62], v[61:62], v[87:88]
	v_add_f64 v[63:64], v[93:94], v[63:64]
	s_waitcnt lgkmcnt(4)
	v_mul_f64 v[89:90], v[35:36], v[39:40]
	v_mul_f64 v[25:26], v[33:34], v[39:40]
	ds_read_b128 v[15:18], v31 offset:3584
	ds_read_b128 v[19:22], v31 offset:3840
	v_add_f64 v[49:50], v[67:68], v[49:50]
	s_waitcnt lgkmcnt(5)
	v_mul_f64 v[91:92], v[35:36], v[43:44]
	v_mul_f64 v[95:96], v[33:34], v[43:44]
	s_waitcnt lgkmcnt(4)
	v_mul_f64 v[97:98], v[47:48], v[39:40]
	v_mul_f64 v[39:40], v[45:46], v[39:40]
	v_add_f64 v[57:58], v[57:58], v[105:106]
	v_add_f64 v[65:66], v[109:110], v[65:66]
	;; [unrolled: 1-line block ×3, first 2 shown]
	v_mul_f64 v[53:54], v[47:48], v[43:44]
	v_mul_f64 v[43:44], v[45:46], v[43:44]
	s_waitcnt lgkmcnt(0)
	s_barrier
	buffer_gl0_inv
	v_fma_f64 v[67:68], v[33:34], v[37:38], -v[89:90]
	v_fma_f64 v[25:26], v[35:36], v[37:38], v[25:26]
	v_add_f64 v[49:50], v[49:50], v[83:84]
	v_fma_f64 v[33:34], v[33:34], v[41:42], -v[91:92]
	v_fma_f64 v[35:36], v[35:36], v[41:42], v[95:96]
	v_fma_f64 v[77:78], v[45:46], v[37:38], -v[97:98]
	v_fma_f64 v[37:38], v[47:48], v[37:38], v[39:40]
	v_add_f64 v[39:40], v[55:56], v[69:70]
	v_add_f64 v[55:56], v[71:72], v[59:60]
	;; [unrolled: 1-line block ×7, first 2 shown]
	v_fma_f64 v[45:46], v[45:46], v[41:42], -v[53:54]
	v_fma_f64 v[41:42], v[47:48], v[41:42], v[43:44]
	v_mul_f64 v[43:44], v[5:6], v[17:18]
	v_mul_f64 v[47:48], v[3:4], v[17:18]
	;; [unrolled: 1-line block ×8, first 2 shown]
	v_add_f64 v[39:40], v[39:40], v[67:68]
	v_add_f64 v[25:26], v[25:26], v[55:56]
	;; [unrolled: 1-line block ×8, first 2 shown]
	v_fma_f64 v[23:24], v[3:4], v[15:16], -v[43:44]
	v_fma_f64 v[43:44], v[5:6], v[15:16], v[47:48]
	v_fma_f64 v[3:4], v[3:4], v[19:20], -v[51:52]
	v_fma_f64 v[5:6], v[5:6], v[19:20], v[53:54]
	;; [unrolled: 2-line block ×4, first 2 shown]
	v_add_f64 v[23:24], v[39:40], v[23:24]
	v_add_f64 v[25:26], v[43:44], v[25:26]
	;; [unrolled: 1-line block ×8, first 2 shown]
	s_cbranch_scc0 .LBB429_13
.LBB429_7:                              ; =>This Inner Loop Header: Depth=1
	v_add_nc_u32_e32 v3, s9, v28
	v_mov_b32_e32 v5, 0
	v_mov_b32_e32 v6, 0
	v_cmp_gt_i32_e64 s0, s3, v3
	v_mov_b32_e32 v3, 0
	v_mov_b32_e32 v4, 0
	s_and_b32 s8, vcc_lo, s0
	s_and_saveexec_b32 s0, s8
	s_cbranch_execz .LBB429_9
; %bb.8:                                ;   in Loop: Header=BB429_7 Depth=1
	flat_load_dwordx4 v[3:6], v[11:12]
	s_waitcnt vmcnt(0) lgkmcnt(0)
	v_xor_b32_e32 v6, 0x80000000, v6
.LBB429_9:                              ;   in Loop: Header=BB429_7 Depth=1
	s_or_b32 exec_lo, exec_lo, s0
	v_add_nc_u32_e32 v33, s9, v27
	ds_write_b128 v29, v[3:6]
	v_cmp_le_i32_e64 s0, s3, v33
	s_or_b32 s0, s0, s1
	s_and_saveexec_b32 s8, s0
	s_xor_b32 s0, exec_lo, s8
	s_cbranch_execz .LBB429_11
; %bb.10:                               ;   in Loop: Header=BB429_7 Depth=1
	v_mov_b32_e32 v3, v2
	v_mov_b32_e32 v4, v2
	v_mov_b32_e32 v5, v2
	ds_write_b128 v30, v[2:5]
.LBB429_11:                             ;   in Loop: Header=BB429_7 Depth=1
	s_andn2_saveexec_b32 s0, s0
	s_cbranch_execz .LBB429_6
; %bb.12:                               ;   in Loop: Header=BB429_7 Depth=1
	flat_load_dwordx4 v[3:6], v[13:14]
	s_waitcnt vmcnt(0) lgkmcnt(0)
	ds_write2_b64 v30, v[3:4], v[5:6] offset1:1
	s_branch .LBB429_6
.LBB429_13:
	s_clause 0x1
	s_load_dword s3, s[4:5], 0x60
	s_load_dwordx2 s[4:5], s[4:5], 0x68
	v_cmp_neq_f64_e64 s8, s[14:15], 0
	v_add_nc_u32_e32 v27, s7, v1
	v_add_nc_u32_e32 v4, s6, v0
	v_cmp_le_i32_e32 vcc_lo, v27, v4
	v_cmp_gt_i32_e64 s0, s2, v4
	v_ashrrev_i32_e32 v5, 31, v4
	s_waitcnt lgkmcnt(0)
	v_mad_i64_i32 v[0:1], null, v27, s3, 0
	s_lshl_b64 s[4:5], s[4:5], 4
	s_add_u32 s4, s10, s4
	s_addc_u32 s5, s11, s5
	s_xor_b32 s6, s28, -1
	s_and_b32 s7, vcc_lo, s0
	v_lshlrev_b64 v[0:1], 4, v[0:1]
	s_or_b32 s6, s8, s6
	v_cndmask_b32_e64 v6, 0, 1, s6
	v_add_co_u32 v13, s1, s4, v0
	v_add_co_ci_u32_e64 v14, null, s5, v1, s1
	s_and_saveexec_b32 s1, s7
	s_cbranch_execz .LBB429_17
; %bb.14:
	v_mul_f64 v[0:1], s[22:23], v[25:26]
	v_mul_f64 v[2:3], s[20:21], v[25:26]
	v_lshlrev_b64 v[11:12], 4, v[4:5]
	v_add_co_u32 v11, vcc_lo, v13, v11
	v_add_co_ci_u32_e64 v12, null, v14, v12, vcc_lo
	s_andn2_b32 vcc_lo, exec_lo, s6
	v_fma_f64 v[0:1], s[20:21], v[23:24], -v[0:1]
	v_fma_f64 v[2:3], s[22:23], v[23:24], v[2:3]
	s_cbranch_vccnz .LBB429_16
; %bb.15:
	flat_load_dwordx4 v[23:26], v[11:12]
	s_waitcnt vmcnt(0) lgkmcnt(0)
	v_mul_f64 v[28:29], s[16:17], v[25:26]
	v_mul_f64 v[25:26], s[14:15], v[25:26]
	v_fma_f64 v[28:29], s[14:15], v[23:24], -v[28:29]
	v_fma_f64 v[23:24], s[16:17], v[23:24], v[25:26]
	v_add_f64 v[0:1], v[0:1], v[28:29]
	v_add_f64 v[2:3], v[2:3], v[23:24]
.LBB429_16:
	flat_store_dwordx4 v[11:12], v[0:3]
.LBB429_17:
	s_or_b32 exec_lo, exec_lo, s1
	v_add_nc_u32_e32 v11, 16, v4
	v_cmp_le_i32_e32 vcc_lo, v27, v11
	v_cmp_gt_i32_e64 s1, s2, v11
	v_ashrrev_i32_e32 v12, 31, v11
	s_and_b32 s2, vcc_lo, s1
	s_and_saveexec_b32 s6, s2
	s_cbranch_execz .LBB429_21
; %bb.18:
	v_mul_f64 v[0:1], s[22:23], v[21:22]
	v_mul_f64 v[2:3], s[20:21], v[21:22]
	v_cmp_ne_u32_e32 vcc_lo, 1, v6
	s_and_b32 vcc_lo, exec_lo, vcc_lo
	v_fma_f64 v[0:1], s[20:21], v[19:20], -v[0:1]
	v_fma_f64 v[2:3], s[22:23], v[19:20], v[2:3]
	v_lshlrev_b64 v[19:20], 4, v[11:12]
	v_add_co_u32 v13, s2, v13, v19
	v_add_co_ci_u32_e64 v14, null, v14, v20, s2
	s_cbranch_vccnz .LBB429_20
; %bb.19:
	flat_load_dwordx4 v[19:22], v[13:14]
	s_waitcnt vmcnt(0) lgkmcnt(0)
	v_mul_f64 v[23:24], s[16:17], v[21:22]
	v_mul_f64 v[21:22], s[14:15], v[21:22]
	v_fma_f64 v[23:24], s[14:15], v[19:20], -v[23:24]
	v_fma_f64 v[19:20], s[16:17], v[19:20], v[21:22]
	v_add_f64 v[0:1], v[0:1], v[23:24]
	v_add_f64 v[2:3], v[2:3], v[19:20]
.LBB429_20:
	flat_store_dwordx4 v[13:14], v[0:3]
.LBB429_21:
	s_or_b32 exec_lo, exec_lo, s6
	v_add_nc_u32_e32 v19, 16, v27
	v_mad_i64_i32 v[0:1], null, v19, s3, 0
	v_cmp_le_i32_e32 vcc_lo, v19, v4
	s_and_b32 s0, vcc_lo, s0
	v_lshlrev_b64 v[0:1], 4, v[0:1]
	v_add_co_u32 v13, s2, s4, v0
	v_add_co_ci_u32_e64 v14, null, s5, v1, s2
	s_and_saveexec_b32 s2, s0
	s_cbranch_execz .LBB429_25
; %bb.22:
	v_mul_f64 v[0:1], s[22:23], v[17:18]
	v_mul_f64 v[2:3], s[20:21], v[17:18]
	v_lshlrev_b64 v[4:5], 4, v[4:5]
	v_cmp_ne_u32_e32 vcc_lo, 1, v6
	s_and_b32 vcc_lo, exec_lo, vcc_lo
	v_add_co_u32 v4, s0, v13, v4
	v_add_co_ci_u32_e64 v5, null, v14, v5, s0
	v_fma_f64 v[0:1], s[20:21], v[15:16], -v[0:1]
	v_fma_f64 v[2:3], s[22:23], v[15:16], v[2:3]
	s_cbranch_vccnz .LBB429_24
; %bb.23:
	flat_load_dwordx4 v[15:18], v[4:5]
	s_waitcnt vmcnt(0) lgkmcnt(0)
	v_mul_f64 v[20:21], s[16:17], v[17:18]
	v_mul_f64 v[17:18], s[14:15], v[17:18]
	v_fma_f64 v[20:21], s[14:15], v[15:16], -v[20:21]
	v_fma_f64 v[15:16], s[16:17], v[15:16], v[17:18]
	v_add_f64 v[0:1], v[0:1], v[20:21]
	v_add_f64 v[2:3], v[2:3], v[15:16]
.LBB429_24:
	flat_store_dwordx4 v[4:5], v[0:3]
.LBB429_25:
	s_or_b32 exec_lo, exec_lo, s2
	v_cmp_le_i32_e32 vcc_lo, v19, v11
	s_and_b32 s0, vcc_lo, s1
	s_and_saveexec_b32 s1, s0
	s_cbranch_execz .LBB429_30
; %bb.26:
	v_mul_f64 v[0:1], s[22:23], v[7:8]
	v_mul_f64 v[2:3], s[20:21], v[7:8]
	v_lshlrev_b64 v[4:5], 4, v[11:12]
	v_cmp_ne_u32_e32 vcc_lo, 1, v6
	s_and_b32 vcc_lo, exec_lo, vcc_lo
	v_add_co_u32 v4, s0, v13, v4
	v_add_co_ci_u32_e64 v5, null, v14, v5, s0
	v_fma_f64 v[0:1], s[20:21], v[9:10], -v[0:1]
	v_fma_f64 v[2:3], s[22:23], v[9:10], v[2:3]
	s_cbranch_vccnz .LBB429_28
; %bb.27:
	flat_load_dwordx4 v[6:9], v[4:5]
	s_waitcnt vmcnt(0) lgkmcnt(0)
	v_mul_f64 v[10:11], s[16:17], v[8:9]
	v_mul_f64 v[8:9], s[14:15], v[8:9]
	v_fma_f64 v[10:11], s[14:15], v[6:7], -v[10:11]
	v_fma_f64 v[6:7], s[16:17], v[6:7], v[8:9]
	v_add_f64 v[0:1], v[0:1], v[10:11]
	v_add_f64 v[2:3], v[2:3], v[6:7]
.LBB429_28:
	flat_store_dwordx4 v[4:5], v[0:3]
	s_endpgm
.LBB429_29:
.LBB429_30:
	s_endpgm
	.section	.rodata,"a",@progbits
	.p2align	6, 0x0
	.amdhsa_kernel _ZL29rocblas_internal_gemmt_kernelIiLi16ELi32ELi8ELc67ELc78ELc76ELb1ELb0E19rocblas_complex_numIdES1_PKPKS1_PKPS1_EviT_T9_T10_S9_lSB_S9_lSA_T11_S9_li
		.amdhsa_group_segment_fixed_size 8192
		.amdhsa_private_segment_fixed_size 0
		.amdhsa_kernarg_size 116
		.amdhsa_user_sgpr_count 6
		.amdhsa_user_sgpr_private_segment_buffer 1
		.amdhsa_user_sgpr_dispatch_ptr 0
		.amdhsa_user_sgpr_queue_ptr 0
		.amdhsa_user_sgpr_kernarg_segment_ptr 1
		.amdhsa_user_sgpr_dispatch_id 0
		.amdhsa_user_sgpr_flat_scratch_init 0
		.amdhsa_user_sgpr_private_segment_size 0
		.amdhsa_wavefront_size32 1
		.amdhsa_uses_dynamic_stack 0
		.amdhsa_system_sgpr_private_segment_wavefront_offset 0
		.amdhsa_system_sgpr_workgroup_id_x 1
		.amdhsa_system_sgpr_workgroup_id_y 1
		.amdhsa_system_sgpr_workgroup_id_z 1
		.amdhsa_system_sgpr_workgroup_info 0
		.amdhsa_system_vgpr_workitem_id 1
		.amdhsa_next_free_vgpr 127
		.amdhsa_next_free_sgpr 30
		.amdhsa_reserve_vcc 1
		.amdhsa_reserve_flat_scratch 0
		.amdhsa_float_round_mode_32 0
		.amdhsa_float_round_mode_16_64 0
		.amdhsa_float_denorm_mode_32 3
		.amdhsa_float_denorm_mode_16_64 3
		.amdhsa_dx10_clamp 1
		.amdhsa_ieee_mode 1
		.amdhsa_fp16_overflow 0
		.amdhsa_workgroup_processor_mode 1
		.amdhsa_memory_ordered 1
		.amdhsa_forward_progress 1
		.amdhsa_shared_vgpr_count 0
		.amdhsa_exception_fp_ieee_invalid_op 0
		.amdhsa_exception_fp_denorm_src 0
		.amdhsa_exception_fp_ieee_div_zero 0
		.amdhsa_exception_fp_ieee_overflow 0
		.amdhsa_exception_fp_ieee_underflow 0
		.amdhsa_exception_fp_ieee_inexact 0
		.amdhsa_exception_int_div_zero 0
	.end_amdhsa_kernel
	.section	.text._ZL29rocblas_internal_gemmt_kernelIiLi16ELi32ELi8ELc67ELc78ELc76ELb1ELb0E19rocblas_complex_numIdES1_PKPKS1_PKPS1_EviT_T9_T10_S9_lSB_S9_lSA_T11_S9_li,"axG",@progbits,_ZL29rocblas_internal_gemmt_kernelIiLi16ELi32ELi8ELc67ELc78ELc76ELb1ELb0E19rocblas_complex_numIdES1_PKPKS1_PKPS1_EviT_T9_T10_S9_lSB_S9_lSA_T11_S9_li,comdat
.Lfunc_end429:
	.size	_ZL29rocblas_internal_gemmt_kernelIiLi16ELi32ELi8ELc67ELc78ELc76ELb1ELb0E19rocblas_complex_numIdES1_PKPKS1_PKPS1_EviT_T9_T10_S9_lSB_S9_lSA_T11_S9_li, .Lfunc_end429-_ZL29rocblas_internal_gemmt_kernelIiLi16ELi32ELi8ELc67ELc78ELc76ELb1ELb0E19rocblas_complex_numIdES1_PKPKS1_PKPS1_EviT_T9_T10_S9_lSB_S9_lSA_T11_S9_li
                                        ; -- End function
	.set _ZL29rocblas_internal_gemmt_kernelIiLi16ELi32ELi8ELc67ELc78ELc76ELb1ELb0E19rocblas_complex_numIdES1_PKPKS1_PKPS1_EviT_T9_T10_S9_lSB_S9_lSA_T11_S9_li.num_vgpr, 127
	.set _ZL29rocblas_internal_gemmt_kernelIiLi16ELi32ELi8ELc67ELc78ELc76ELb1ELb0E19rocblas_complex_numIdES1_PKPKS1_PKPS1_EviT_T9_T10_S9_lSB_S9_lSA_T11_S9_li.num_agpr, 0
	.set _ZL29rocblas_internal_gemmt_kernelIiLi16ELi32ELi8ELc67ELc78ELc76ELb1ELb0E19rocblas_complex_numIdES1_PKPKS1_PKPS1_EviT_T9_T10_S9_lSB_S9_lSA_T11_S9_li.numbered_sgpr, 30
	.set _ZL29rocblas_internal_gemmt_kernelIiLi16ELi32ELi8ELc67ELc78ELc76ELb1ELb0E19rocblas_complex_numIdES1_PKPKS1_PKPS1_EviT_T9_T10_S9_lSB_S9_lSA_T11_S9_li.num_named_barrier, 0
	.set _ZL29rocblas_internal_gemmt_kernelIiLi16ELi32ELi8ELc67ELc78ELc76ELb1ELb0E19rocblas_complex_numIdES1_PKPKS1_PKPS1_EviT_T9_T10_S9_lSB_S9_lSA_T11_S9_li.private_seg_size, 0
	.set _ZL29rocblas_internal_gemmt_kernelIiLi16ELi32ELi8ELc67ELc78ELc76ELb1ELb0E19rocblas_complex_numIdES1_PKPKS1_PKPS1_EviT_T9_T10_S9_lSB_S9_lSA_T11_S9_li.uses_vcc, 1
	.set _ZL29rocblas_internal_gemmt_kernelIiLi16ELi32ELi8ELc67ELc78ELc76ELb1ELb0E19rocblas_complex_numIdES1_PKPKS1_PKPS1_EviT_T9_T10_S9_lSB_S9_lSA_T11_S9_li.uses_flat_scratch, 0
	.set _ZL29rocblas_internal_gemmt_kernelIiLi16ELi32ELi8ELc67ELc78ELc76ELb1ELb0E19rocblas_complex_numIdES1_PKPKS1_PKPS1_EviT_T9_T10_S9_lSB_S9_lSA_T11_S9_li.has_dyn_sized_stack, 0
	.set _ZL29rocblas_internal_gemmt_kernelIiLi16ELi32ELi8ELc67ELc78ELc76ELb1ELb0E19rocblas_complex_numIdES1_PKPKS1_PKPS1_EviT_T9_T10_S9_lSB_S9_lSA_T11_S9_li.has_recursion, 0
	.set _ZL29rocblas_internal_gemmt_kernelIiLi16ELi32ELi8ELc67ELc78ELc76ELb1ELb0E19rocblas_complex_numIdES1_PKPKS1_PKPS1_EviT_T9_T10_S9_lSB_S9_lSA_T11_S9_li.has_indirect_call, 0
	.section	.AMDGPU.csdata,"",@progbits
; Kernel info:
; codeLenInByte = 3516
; TotalNumSgprs: 32
; NumVgprs: 127
; ScratchSize: 0
; MemoryBound: 1
; FloatMode: 240
; IeeeMode: 1
; LDSByteSize: 8192 bytes/workgroup (compile time only)
; SGPRBlocks: 0
; VGPRBlocks: 15
; NumSGPRsForWavesPerEU: 32
; NumVGPRsForWavesPerEU: 127
; Occupancy: 8
; WaveLimiterHint : 1
; COMPUTE_PGM_RSRC2:SCRATCH_EN: 0
; COMPUTE_PGM_RSRC2:USER_SGPR: 6
; COMPUTE_PGM_RSRC2:TRAP_HANDLER: 0
; COMPUTE_PGM_RSRC2:TGID_X_EN: 1
; COMPUTE_PGM_RSRC2:TGID_Y_EN: 1
; COMPUTE_PGM_RSRC2:TGID_Z_EN: 1
; COMPUTE_PGM_RSRC2:TIDIG_COMP_CNT: 1
	.section	.text._ZL29rocblas_internal_gemmt_kernelIiLi16ELi32ELi8ELc67ELc84ELc76ELb1ELb0E19rocblas_complex_numIdES1_PKPKS1_PKPS1_EviT_T9_T10_S9_lSB_S9_lSA_T11_S9_li,"axG",@progbits,_ZL29rocblas_internal_gemmt_kernelIiLi16ELi32ELi8ELc67ELc84ELc76ELb1ELb0E19rocblas_complex_numIdES1_PKPKS1_PKPS1_EviT_T9_T10_S9_lSB_S9_lSA_T11_S9_li,comdat
	.globl	_ZL29rocblas_internal_gemmt_kernelIiLi16ELi32ELi8ELc67ELc84ELc76ELb1ELb0E19rocblas_complex_numIdES1_PKPKS1_PKPS1_EviT_T9_T10_S9_lSB_S9_lSA_T11_S9_li ; -- Begin function _ZL29rocblas_internal_gemmt_kernelIiLi16ELi32ELi8ELc67ELc84ELc76ELb1ELb0E19rocblas_complex_numIdES1_PKPKS1_PKPS1_EviT_T9_T10_S9_lSB_S9_lSA_T11_S9_li
	.p2align	8
	.type	_ZL29rocblas_internal_gemmt_kernelIiLi16ELi32ELi8ELc67ELc84ELc76ELb1ELb0E19rocblas_complex_numIdES1_PKPKS1_PKPS1_EviT_T9_T10_S9_lSB_S9_lSA_T11_S9_li,@function
_ZL29rocblas_internal_gemmt_kernelIiLi16ELi32ELi8ELc67ELc84ELc76ELb1ELb0E19rocblas_complex_numIdES1_PKPKS1_PKPS1_EviT_T9_T10_S9_lSB_S9_lSA_T11_S9_li: ; @_ZL29rocblas_internal_gemmt_kernelIiLi16ELi32ELi8ELc67ELc84ELc76ELb1ELb0E19rocblas_complex_numIdES1_PKPKS1_PKPS1_EviT_T9_T10_S9_lSB_S9_lSA_T11_S9_li
; %bb.0:
	s_clause 0x2
	s_load_dwordx8 s[12:19], s[4:5], 0x40
	s_load_dwordx2 s[2:3], s[4:5], 0x0
	s_load_dwordx4 s[20:23], s[4:5], 0x8
	s_waitcnt lgkmcnt(0)
	v_cmp_eq_f64_e64 s0, s[14:15], 1.0
	v_cmp_eq_f64_e64 s28, s[16:17], 0
	s_and_b32 s0, s0, s28
	s_andn2_b32 vcc_lo, exec_lo, s0
	s_mov_b32 s0, -1
	s_cbranch_vccnz .LBB430_3
; %bb.1:
	s_cmp_lg_u32 s3, 0
	s_cbranch_scc0 .LBB430_29
; %bb.2:
	v_cmp_neq_f64_e64 s0, s[20:21], 0
	v_cmp_neq_f64_e64 s1, s[22:23], 0
	s_or_b32 s0, s0, s1
.LBB430_3:
	s_and_b32 vcc_lo, exec_lo, s0
	s_cbranch_vccz .LBB430_30
; %bb.4:
	v_cmp_eq_f64_e64 s24, s[20:21], 0
	v_cmp_eq_f64_e64 s25, s[22:23], 0
	s_mov_b32 s9, 0
	v_mov_b32_e32 v23, 0
	s_lshl_b64 s[0:1], s[8:9], 3
	v_mov_b32_e32 v25, 0
	s_add_u32 s10, s18, s0
	s_addc_u32 s11, s19, s1
	s_lshl_b32 s8, s6, 5
	s_load_dwordx2 s[10:11], s[10:11], 0x0
	s_lshl_b32 s18, s7, 5
	v_mov_b32_e32 v19, 0
	v_mov_b32_e32 v21, 0
	;; [unrolled: 1-line block ×12, first 2 shown]
	s_and_b32 s6, s24, s25
	s_cmp_lt_i32 s3, 1
	v_mov_b32_e32 v10, 0
	s_cselect_b32 s7, -1, 0
	v_mov_b32_e32 v8, 0
	s_or_b32 s6, s6, s7
	s_and_b32 vcc_lo, exec_lo, s6
	s_cbranch_vccnz .LBB430_13
; %bb.5:
	s_clause 0x3
	s_load_dword s6, s[4:5], 0x38
	s_load_dwordx4 s[24:27], s[4:5], 0x28
	s_load_dword s19, s[4:5], 0x20
	s_load_dwordx2 s[30:31], s[4:5], 0x18
	v_lshl_add_u32 v2, v1, 4, v0
	v_and_b32_e32 v27, 7, v0
	v_mov_b32_e32 v9, 0
	v_mov_b32_e32 v17, 0
	v_mov_b32_e32 v15, 0
	v_and_b32_e32 v3, 31, v2
	v_lshrrev_b32_e32 v4, 3, v2
	v_lshlrev_b32_e32 v5, 4, v27
	v_lshrrev_b32_e32 v28, 5, v2
	v_mov_b32_e32 v21, 0
	v_or_b32_e32 v6, s8, v3
	v_lshlrev_b32_e32 v7, 4, v3
	v_add_nc_u32_e32 v3, s8, v3
	v_add_nc_u32_e32 v2, s18, v4
	v_lshl_or_b32 v8, v4, 7, v5
	v_cmp_gt_i32_e32 vcc_lo, s2, v6
	s_waitcnt lgkmcnt(0)
	s_ashr_i32 s7, s6, 31
	s_add_u32 s26, s26, s0
	v_mad_i64_i32 v[4:5], null, s19, v3, 0
	s_addc_u32 s27, s27, s1
	v_lshl_or_b32 v29, v28, 9, v7
	s_add_u32 s0, s30, s0
	v_mad_i64_i32 v[6:7], null, s6, v27, 0
	s_addc_u32 s1, s31, s1
	s_load_dwordx2 s[26:27], s[26:27], 0x0
	s_load_dwordx2 s[30:31], s[0:1], 0x0
	v_lshlrev_b64 v[4:5], 4, v[4:5]
	v_ashrrev_i32_e32 v3, 31, v2
	s_lshl_b64 s[24:25], s[24:25], 4
	v_add_nc_u32_e32 v30, 0x1000, v8
	v_lshlrev_b64 v[6:7], 4, v[6:7]
	v_lshlrev_b32_e32 v8, 4, v28
	v_add_co_u32 v4, s1, v4, s24
	s_lshl_b64 s[12:13], s[12:13], 4
	v_cmp_gt_i32_e64 s0, s2, v2
	v_lshlrev_b64 v[2:3], 4, v[2:3]
	v_add_co_ci_u32_e64 v5, null, s25, v5, s1
	v_add_co_u32 v6, s1, v6, s12
	v_add_co_ci_u32_e64 v7, null, s13, v7, s1
	v_add_co_u32 v4, s1, v4, v8
	;; [unrolled: 2-line block ×3, first 2 shown]
	v_add_co_ci_u32_e64 v3, null, v7, v3, s1
	s_waitcnt lgkmcnt(0)
	v_add_co_u32 v11, s1, s30, v4
	v_add_co_ci_u32_e64 v12, null, s31, v5, s1
	v_add_co_u32 v13, s1, s26, v2
	v_mov_b32_e32 v7, 0
	v_mov_b32_e32 v19, 0
	;; [unrolled: 1-line block ×4, first 2 shown]
	v_lshlrev_b32_e32 v31, 4, v0
	v_lshl_add_u32 v32, v1, 7, 0x1000
	v_add_co_ci_u32_e64 v14, null, s27, v3, s1
	v_mov_b32_e32 v8, 0
	v_mov_b32_e32 v10, 0
	;; [unrolled: 1-line block ×9, first 2 shown]
	s_lshl_b64 s[6:7], s[6:7], 7
	s_xor_b32 s1, s0, -1
	s_branch .LBB430_7
.LBB430_6:                              ;   in Loop: Header=BB430_7 Depth=1
	s_or_b32 exec_lo, exec_lo, s0
	s_waitcnt lgkmcnt(0)
	s_barrier
	buffer_gl0_inv
	ds_read_b128 v[3:6], v32
	ds_read_b128 v[33:36], v31
	ds_read_b128 v[37:40], v31 offset:256
	ds_read_b128 v[41:44], v32 offset:2048
	;; [unrolled: 1-line block ×12, first 2 shown]
	v_add_co_u32 v11, s0, 0x80, v11
	v_add_co_ci_u32_e64 v12, null, 0, v12, s0
	v_add_co_u32 v13, s0, v13, s6
	v_add_co_ci_u32_e64 v14, null, s7, v14, s0
	s_waitcnt lgkmcnt(12)
	v_mul_f64 v[85:86], v[5:6], v[35:36]
	v_mul_f64 v[87:88], v[3:4], v[35:36]
	s_waitcnt lgkmcnt(11)
	v_mul_f64 v[89:90], v[5:6], v[39:40]
	v_mul_f64 v[91:92], v[3:4], v[39:40]
	;; [unrolled: 3-line block ×3, first 2 shown]
	v_mul_f64 v[95:96], v[43:44], v[39:40]
	v_mul_f64 v[39:40], v[41:42], v[39:40]
	s_waitcnt lgkmcnt(8)
	v_mul_f64 v[97:98], v[47:48], v[51:52]
	v_mul_f64 v[99:100], v[45:46], v[51:52]
	s_waitcnt lgkmcnt(7)
	;; [unrolled: 3-line block ×3, first 2 shown]
	v_mul_f64 v[105:106], v[59:60], v[51:52]
	v_mul_f64 v[51:52], v[57:58], v[51:52]
	;; [unrolled: 1-line block ×4, first 2 shown]
	s_waitcnt lgkmcnt(4)
	v_mul_f64 v[109:110], v[63:64], v[67:68]
	v_mul_f64 v[111:112], v[61:62], v[67:68]
	s_waitcnt lgkmcnt(3)
	v_mul_f64 v[113:114], v[63:64], v[71:72]
	v_mul_f64 v[115:116], v[61:62], v[71:72]
	;; [unrolled: 3-line block ×3, first 2 shown]
	v_fma_f64 v[85:86], v[3:4], v[33:34], -v[85:86]
	v_fma_f64 v[87:88], v[5:6], v[33:34], v[87:88]
	v_fma_f64 v[89:90], v[3:4], v[37:38], -v[89:90]
	v_fma_f64 v[91:92], v[5:6], v[37:38], v[91:92]
	;; [unrolled: 2-line block ×4, first 2 shown]
	v_mul_f64 v[123:124], v[75:76], v[71:72]
	v_mul_f64 v[71:72], v[73:74], v[71:72]
	v_fma_f64 v[97:98], v[45:46], v[49:50], -v[97:98]
	v_fma_f64 v[99:100], v[47:48], v[49:50], v[99:100]
	v_fma_f64 v[101:102], v[45:46], v[53:54], -v[101:102]
	v_fma_f64 v[103:104], v[47:48], v[53:54], v[103:104]
	;; [unrolled: 2-line block ×7, first 2 shown]
	v_add_f64 v[23:24], v[23:24], v[85:86]
	v_add_f64 v[25:26], v[87:88], v[25:26]
	;; [unrolled: 1-line block ×6, first 2 shown]
	v_fma_f64 v[73:74], v[73:74], v[69:70], -v[123:124]
	v_fma_f64 v[69:70], v[75:76], v[69:70], v[71:72]
	v_add_f64 v[71:72], v[15:16], v[93:94]
	v_add_f64 v[75:76], v[119:120], v[17:18]
	ds_read_b128 v[3:6], v31 offset:1536
	ds_read_b128 v[33:36], v31 offset:1792
	;; [unrolled: 1-line block ×7, first 2 shown]
	s_add_i32 s9, s9, 8
	s_cmp_lt_i32 s9, s3
	v_add_f64 v[97:98], v[23:24], v[97:98]
	v_add_f64 v[99:100], v[99:100], v[25:26]
	;; [unrolled: 1-line block ×6, first 2 shown]
	ds_read_b128 v[19:22], v31 offset:2560
	ds_read_b128 v[23:26], v31 offset:2816
	s_waitcnt lgkmcnt(8)
	v_mul_f64 v[109:110], v[79:80], v[5:6]
	v_mul_f64 v[111:112], v[77:78], v[5:6]
	s_waitcnt lgkmcnt(7)
	v_mul_f64 v[67:68], v[79:80], v[35:36]
	v_mul_f64 v[113:114], v[77:78], v[35:36]
	;; [unrolled: 1-line block ×6, first 2 shown]
	s_waitcnt lgkmcnt(4)
	v_mul_f64 v[95:96], v[39:40], v[47:48]
	v_add_f64 v[71:72], v[71:72], v[105:106]
	v_add_f64 v[75:76], v[125:126], v[75:76]
	v_mul_f64 v[93:94], v[37:38], v[43:44]
	ds_read_b128 v[5:8], v32 offset:80
	v_add_f64 v[55:56], v[97:98], v[55:56]
	v_add_f64 v[59:60], v[59:60], v[99:100]
	;; [unrolled: 1-line block ×6, first 2 shown]
	s_waitcnt lgkmcnt(2)
	v_mul_f64 v[99:100], v[17:18], v[21:22]
	s_waitcnt lgkmcnt(1)
	v_mul_f64 v[101:102], v[17:18], v[25:26]
	v_fma_f64 v[89:90], v[77:78], v[3:4], -v[109:110]
	v_fma_f64 v[91:92], v[79:80], v[3:4], v[111:112]
	v_fma_f64 v[67:68], v[77:78], v[33:34], -v[67:68]
	v_mul_f64 v[77:78], v[39:40], v[43:44]
	v_mul_f64 v[109:110], v[37:38], v[47:48]
	v_fma_f64 v[79:80], v[79:80], v[33:34], v[113:114]
	v_mul_f64 v[111:112], v[51:52], v[43:44]
	v_mul_f64 v[43:44], v[49:50], v[43:44]
	v_fma_f64 v[57:58], v[81:82], v[3:4], -v[115:116]
	v_fma_f64 v[3:4], v[83:84], v[3:4], v[117:118]
	v_fma_f64 v[81:82], v[81:82], v[33:34], -v[87:88]
	v_fma_f64 v[83:84], v[83:84], v[33:34], v[35:36]
	v_fma_f64 v[87:88], v[37:38], v[45:46], -v[95:96]
	v_mul_f64 v[95:96], v[51:52], v[47:48]
	v_mul_f64 v[47:48], v[49:50], v[47:48]
	v_add_f64 v[71:72], v[71:72], v[107:108]
	v_add_f64 v[65:66], v[65:66], v[75:76]
	v_fma_f64 v[85:86], v[39:40], v[41:42], v[93:94]
	s_waitcnt lgkmcnt(0)
	v_mul_f64 v[69:70], v[7:8], v[21:22]
	v_mul_f64 v[73:74], v[5:6], v[21:22]
	;; [unrolled: 1-line block ×6, first 2 shown]
	v_add_f64 v[55:56], v[55:56], v[89:90]
	v_fma_f64 v[77:78], v[37:38], v[41:42], -v[77:78]
	v_fma_f64 v[93:94], v[39:40], v[45:46], v[109:110]
	v_add_f64 v[59:60], v[91:92], v[59:60]
	v_fma_f64 v[105:106], v[49:50], v[41:42], -v[111:112]
	v_fma_f64 v[109:110], v[51:52], v[41:42], v[43:44]
	v_add_f64 v[61:62], v[61:62], v[67:68]
	v_add_f64 v[63:64], v[79:80], v[63:64]
	;; [unrolled: 1-line block ×4, first 2 shown]
	ds_read_b128 v[33:36], v32 offset:96
	ds_read_b128 v[37:40], v31 offset:3072
	v_fma_f64 v[49:50], v[49:50], v[45:46], -v[95:96]
	v_fma_f64 v[51:52], v[51:52], v[45:46], v[47:48]
	v_add_f64 v[57:58], v[71:72], v[57:58]
	v_add_f64 v[65:66], v[3:4], v[65:66]
	ds_read_b128 v[41:44], v31 offset:3328
	ds_read_b128 v[45:48], v32 offset:2144
	v_fma_f64 v[69:70], v[5:6], v[19:20], -v[69:70]
	v_fma_f64 v[71:72], v[7:8], v[19:20], v[73:74]
	v_fma_f64 v[73:74], v[5:6], v[23:24], -v[75:76]
	v_fma_f64 v[75:76], v[7:8], v[23:24], v[97:98]
	;; [unrolled: 2-line block ×4, first 2 shown]
	v_add_f64 v[55:56], v[55:56], v[77:78]
	v_add_f64 v[59:60], v[85:86], v[59:60]
	ds_read_b128 v[3:6], v32 offset:112
	ds_read_b128 v[7:10], v32 offset:2160
	v_add_f64 v[61:62], v[61:62], v[87:88]
	v_add_f64 v[63:64], v[93:94], v[63:64]
	s_waitcnt lgkmcnt(4)
	v_mul_f64 v[89:90], v[35:36], v[39:40]
	v_mul_f64 v[25:26], v[33:34], v[39:40]
	ds_read_b128 v[15:18], v31 offset:3584
	ds_read_b128 v[19:22], v31 offset:3840
	v_add_f64 v[49:50], v[67:68], v[49:50]
	s_waitcnt lgkmcnt(5)
	v_mul_f64 v[91:92], v[35:36], v[43:44]
	v_mul_f64 v[95:96], v[33:34], v[43:44]
	s_waitcnt lgkmcnt(4)
	v_mul_f64 v[97:98], v[47:48], v[39:40]
	v_mul_f64 v[39:40], v[45:46], v[39:40]
	v_add_f64 v[57:58], v[57:58], v[105:106]
	v_add_f64 v[65:66], v[109:110], v[65:66]
	;; [unrolled: 1-line block ×3, first 2 shown]
	v_mul_f64 v[53:54], v[47:48], v[43:44]
	v_mul_f64 v[43:44], v[45:46], v[43:44]
	s_waitcnt lgkmcnt(0)
	s_barrier
	buffer_gl0_inv
	v_fma_f64 v[67:68], v[33:34], v[37:38], -v[89:90]
	v_fma_f64 v[25:26], v[35:36], v[37:38], v[25:26]
	v_add_f64 v[49:50], v[49:50], v[83:84]
	v_fma_f64 v[33:34], v[33:34], v[41:42], -v[91:92]
	v_fma_f64 v[35:36], v[35:36], v[41:42], v[95:96]
	v_fma_f64 v[77:78], v[45:46], v[37:38], -v[97:98]
	v_fma_f64 v[37:38], v[47:48], v[37:38], v[39:40]
	v_add_f64 v[39:40], v[55:56], v[69:70]
	v_add_f64 v[55:56], v[71:72], v[59:60]
	;; [unrolled: 1-line block ×7, first 2 shown]
	v_fma_f64 v[45:46], v[45:46], v[41:42], -v[53:54]
	v_fma_f64 v[41:42], v[47:48], v[41:42], v[43:44]
	v_mul_f64 v[43:44], v[5:6], v[17:18]
	v_mul_f64 v[47:48], v[3:4], v[17:18]
	;; [unrolled: 1-line block ×8, first 2 shown]
	v_add_f64 v[39:40], v[39:40], v[67:68]
	v_add_f64 v[25:26], v[25:26], v[55:56]
	;; [unrolled: 1-line block ×8, first 2 shown]
	v_fma_f64 v[23:24], v[3:4], v[15:16], -v[43:44]
	v_fma_f64 v[43:44], v[5:6], v[15:16], v[47:48]
	v_fma_f64 v[3:4], v[3:4], v[19:20], -v[51:52]
	v_fma_f64 v[5:6], v[5:6], v[19:20], v[53:54]
	;; [unrolled: 2-line block ×4, first 2 shown]
	v_add_f64 v[23:24], v[39:40], v[23:24]
	v_add_f64 v[25:26], v[43:44], v[25:26]
	v_add_f64 v[19:20], v[33:34], v[3:4]
	v_add_f64 v[21:22], v[5:6], v[35:36]
	v_add_f64 v[15:16], v[55:56], v[47:48]
	v_add_f64 v[17:18], v[17:18], v[37:38]
	v_add_f64 v[9:10], v[45:46], v[7:8]
	v_add_f64 v[7:8], v[49:50], v[41:42]
	s_cbranch_scc0 .LBB430_13
.LBB430_7:                              ; =>This Inner Loop Header: Depth=1
	v_add_nc_u32_e32 v3, s9, v28
	v_mov_b32_e32 v5, 0
	v_mov_b32_e32 v6, 0
	v_cmp_gt_i32_e64 s0, s3, v3
	v_mov_b32_e32 v3, 0
	v_mov_b32_e32 v4, 0
	s_and_b32 s12, vcc_lo, s0
	s_and_saveexec_b32 s0, s12
	s_cbranch_execz .LBB430_9
; %bb.8:                                ;   in Loop: Header=BB430_7 Depth=1
	flat_load_dwordx4 v[3:6], v[11:12]
	s_waitcnt vmcnt(0) lgkmcnt(0)
	v_xor_b32_e32 v6, 0x80000000, v6
.LBB430_9:                              ;   in Loop: Header=BB430_7 Depth=1
	s_or_b32 exec_lo, exec_lo, s0
	v_add_nc_u32_e32 v33, s9, v27
	ds_write_b128 v29, v[3:6]
	v_cmp_le_i32_e64 s0, s3, v33
	s_or_b32 s0, s0, s1
	s_and_saveexec_b32 s12, s0
	s_xor_b32 s0, exec_lo, s12
	s_cbranch_execz .LBB430_11
; %bb.10:                               ;   in Loop: Header=BB430_7 Depth=1
	v_mov_b32_e32 v3, v2
	v_mov_b32_e32 v4, v2
	;; [unrolled: 1-line block ×3, first 2 shown]
	ds_write_b128 v30, v[2:5]
.LBB430_11:                             ;   in Loop: Header=BB430_7 Depth=1
	s_andn2_saveexec_b32 s0, s0
	s_cbranch_execz .LBB430_6
; %bb.12:                               ;   in Loop: Header=BB430_7 Depth=1
	flat_load_dwordx4 v[3:6], v[13:14]
	s_waitcnt vmcnt(0) lgkmcnt(0)
	ds_write2_b64 v30, v[3:4], v[5:6] offset1:1
	s_branch .LBB430_6
.LBB430_13:
	s_clause 0x1
	s_load_dword s3, s[4:5], 0x60
	s_load_dwordx2 s[4:5], s[4:5], 0x68
	v_cmp_neq_f64_e64 s6, s[14:15], 0
	v_add_nc_u32_e32 v27, s18, v1
	v_add_nc_u32_e32 v4, s8, v0
	v_cmp_le_i32_e32 vcc_lo, v27, v4
	v_cmp_gt_i32_e64 s0, s2, v4
	v_ashrrev_i32_e32 v5, 31, v4
	s_waitcnt lgkmcnt(0)
	v_mad_i64_i32 v[0:1], null, v27, s3, 0
	s_lshl_b64 s[4:5], s[4:5], 4
	s_add_u32 s4, s10, s4
	s_addc_u32 s5, s11, s5
	s_xor_b32 s7, s28, -1
	s_or_b32 s6, s6, s7
	v_lshlrev_b64 v[0:1], 4, v[0:1]
	v_cndmask_b32_e64 v6, 0, 1, s6
	s_and_b32 s7, vcc_lo, s0
	v_add_co_u32 v13, s1, s4, v0
	v_add_co_ci_u32_e64 v14, null, s5, v1, s1
	s_and_saveexec_b32 s1, s7
	s_cbranch_execz .LBB430_17
; %bb.14:
	v_mul_f64 v[0:1], s[22:23], v[25:26]
	v_mul_f64 v[2:3], s[20:21], v[25:26]
	v_lshlrev_b64 v[11:12], 4, v[4:5]
	v_add_co_u32 v11, vcc_lo, v13, v11
	v_add_co_ci_u32_e64 v12, null, v14, v12, vcc_lo
	s_andn2_b32 vcc_lo, exec_lo, s6
	v_fma_f64 v[0:1], s[20:21], v[23:24], -v[0:1]
	v_fma_f64 v[2:3], s[22:23], v[23:24], v[2:3]
	s_cbranch_vccnz .LBB430_16
; %bb.15:
	flat_load_dwordx4 v[23:26], v[11:12]
	s_waitcnt vmcnt(0) lgkmcnt(0)
	v_mul_f64 v[28:29], s[16:17], v[25:26]
	v_mul_f64 v[25:26], s[14:15], v[25:26]
	v_fma_f64 v[28:29], s[14:15], v[23:24], -v[28:29]
	v_fma_f64 v[23:24], s[16:17], v[23:24], v[25:26]
	v_add_f64 v[0:1], v[0:1], v[28:29]
	v_add_f64 v[2:3], v[2:3], v[23:24]
.LBB430_16:
	flat_store_dwordx4 v[11:12], v[0:3]
.LBB430_17:
	s_or_b32 exec_lo, exec_lo, s1
	v_add_nc_u32_e32 v11, 16, v4
	v_cmp_le_i32_e32 vcc_lo, v27, v11
	v_cmp_gt_i32_e64 s1, s2, v11
	v_ashrrev_i32_e32 v12, 31, v11
	s_and_b32 s2, vcc_lo, s1
	s_and_saveexec_b32 s6, s2
	s_cbranch_execz .LBB430_21
; %bb.18:
	v_mul_f64 v[0:1], s[22:23], v[21:22]
	v_mul_f64 v[2:3], s[20:21], v[21:22]
	v_cmp_ne_u32_e32 vcc_lo, 1, v6
	s_and_b32 vcc_lo, exec_lo, vcc_lo
	v_fma_f64 v[0:1], s[20:21], v[19:20], -v[0:1]
	v_fma_f64 v[2:3], s[22:23], v[19:20], v[2:3]
	v_lshlrev_b64 v[19:20], 4, v[11:12]
	v_add_co_u32 v13, s2, v13, v19
	v_add_co_ci_u32_e64 v14, null, v14, v20, s2
	s_cbranch_vccnz .LBB430_20
; %bb.19:
	flat_load_dwordx4 v[19:22], v[13:14]
	s_waitcnt vmcnt(0) lgkmcnt(0)
	v_mul_f64 v[23:24], s[16:17], v[21:22]
	v_mul_f64 v[21:22], s[14:15], v[21:22]
	v_fma_f64 v[23:24], s[14:15], v[19:20], -v[23:24]
	v_fma_f64 v[19:20], s[16:17], v[19:20], v[21:22]
	v_add_f64 v[0:1], v[0:1], v[23:24]
	v_add_f64 v[2:3], v[2:3], v[19:20]
.LBB430_20:
	flat_store_dwordx4 v[13:14], v[0:3]
.LBB430_21:
	s_or_b32 exec_lo, exec_lo, s6
	v_add_nc_u32_e32 v19, 16, v27
	v_mad_i64_i32 v[0:1], null, v19, s3, 0
	v_cmp_le_i32_e32 vcc_lo, v19, v4
	s_and_b32 s0, vcc_lo, s0
	v_lshlrev_b64 v[0:1], 4, v[0:1]
	v_add_co_u32 v13, s2, s4, v0
	v_add_co_ci_u32_e64 v14, null, s5, v1, s2
	s_and_saveexec_b32 s2, s0
	s_cbranch_execz .LBB430_25
; %bb.22:
	v_mul_f64 v[0:1], s[22:23], v[17:18]
	v_mul_f64 v[2:3], s[20:21], v[17:18]
	v_lshlrev_b64 v[4:5], 4, v[4:5]
	v_cmp_ne_u32_e32 vcc_lo, 1, v6
	s_and_b32 vcc_lo, exec_lo, vcc_lo
	v_add_co_u32 v4, s0, v13, v4
	v_add_co_ci_u32_e64 v5, null, v14, v5, s0
	v_fma_f64 v[0:1], s[20:21], v[15:16], -v[0:1]
	v_fma_f64 v[2:3], s[22:23], v[15:16], v[2:3]
	s_cbranch_vccnz .LBB430_24
; %bb.23:
	flat_load_dwordx4 v[15:18], v[4:5]
	s_waitcnt vmcnt(0) lgkmcnt(0)
	v_mul_f64 v[20:21], s[16:17], v[17:18]
	v_mul_f64 v[17:18], s[14:15], v[17:18]
	v_fma_f64 v[20:21], s[14:15], v[15:16], -v[20:21]
	v_fma_f64 v[15:16], s[16:17], v[15:16], v[17:18]
	v_add_f64 v[0:1], v[0:1], v[20:21]
	v_add_f64 v[2:3], v[2:3], v[15:16]
.LBB430_24:
	flat_store_dwordx4 v[4:5], v[0:3]
.LBB430_25:
	s_or_b32 exec_lo, exec_lo, s2
	v_cmp_le_i32_e32 vcc_lo, v19, v11
	s_and_b32 s0, vcc_lo, s1
	s_and_saveexec_b32 s1, s0
	s_cbranch_execz .LBB430_30
; %bb.26:
	v_mul_f64 v[0:1], s[22:23], v[7:8]
	v_mul_f64 v[2:3], s[20:21], v[7:8]
	v_lshlrev_b64 v[4:5], 4, v[11:12]
	v_cmp_ne_u32_e32 vcc_lo, 1, v6
	s_and_b32 vcc_lo, exec_lo, vcc_lo
	v_add_co_u32 v4, s0, v13, v4
	v_add_co_ci_u32_e64 v5, null, v14, v5, s0
	v_fma_f64 v[0:1], s[20:21], v[9:10], -v[0:1]
	v_fma_f64 v[2:3], s[22:23], v[9:10], v[2:3]
	s_cbranch_vccnz .LBB430_28
; %bb.27:
	flat_load_dwordx4 v[6:9], v[4:5]
	s_waitcnt vmcnt(0) lgkmcnt(0)
	v_mul_f64 v[10:11], s[16:17], v[8:9]
	v_mul_f64 v[8:9], s[14:15], v[8:9]
	v_fma_f64 v[10:11], s[14:15], v[6:7], -v[10:11]
	v_fma_f64 v[6:7], s[16:17], v[6:7], v[8:9]
	v_add_f64 v[0:1], v[0:1], v[10:11]
	v_add_f64 v[2:3], v[2:3], v[6:7]
.LBB430_28:
	flat_store_dwordx4 v[4:5], v[0:3]
	s_endpgm
.LBB430_29:
.LBB430_30:
	s_endpgm
	.section	.rodata,"a",@progbits
	.p2align	6, 0x0
	.amdhsa_kernel _ZL29rocblas_internal_gemmt_kernelIiLi16ELi32ELi8ELc67ELc84ELc76ELb1ELb0E19rocblas_complex_numIdES1_PKPKS1_PKPS1_EviT_T9_T10_S9_lSB_S9_lSA_T11_S9_li
		.amdhsa_group_segment_fixed_size 8192
		.amdhsa_private_segment_fixed_size 0
		.amdhsa_kernarg_size 116
		.amdhsa_user_sgpr_count 6
		.amdhsa_user_sgpr_private_segment_buffer 1
		.amdhsa_user_sgpr_dispatch_ptr 0
		.amdhsa_user_sgpr_queue_ptr 0
		.amdhsa_user_sgpr_kernarg_segment_ptr 1
		.amdhsa_user_sgpr_dispatch_id 0
		.amdhsa_user_sgpr_flat_scratch_init 0
		.amdhsa_user_sgpr_private_segment_size 0
		.amdhsa_wavefront_size32 1
		.amdhsa_uses_dynamic_stack 0
		.amdhsa_system_sgpr_private_segment_wavefront_offset 0
		.amdhsa_system_sgpr_workgroup_id_x 1
		.amdhsa_system_sgpr_workgroup_id_y 1
		.amdhsa_system_sgpr_workgroup_id_z 1
		.amdhsa_system_sgpr_workgroup_info 0
		.amdhsa_system_vgpr_workitem_id 1
		.amdhsa_next_free_vgpr 127
		.amdhsa_next_free_sgpr 32
		.amdhsa_reserve_vcc 1
		.amdhsa_reserve_flat_scratch 0
		.amdhsa_float_round_mode_32 0
		.amdhsa_float_round_mode_16_64 0
		.amdhsa_float_denorm_mode_32 3
		.amdhsa_float_denorm_mode_16_64 3
		.amdhsa_dx10_clamp 1
		.amdhsa_ieee_mode 1
		.amdhsa_fp16_overflow 0
		.amdhsa_workgroup_processor_mode 1
		.amdhsa_memory_ordered 1
		.amdhsa_forward_progress 1
		.amdhsa_shared_vgpr_count 0
		.amdhsa_exception_fp_ieee_invalid_op 0
		.amdhsa_exception_fp_denorm_src 0
		.amdhsa_exception_fp_ieee_div_zero 0
		.amdhsa_exception_fp_ieee_overflow 0
		.amdhsa_exception_fp_ieee_underflow 0
		.amdhsa_exception_fp_ieee_inexact 0
		.amdhsa_exception_int_div_zero 0
	.end_amdhsa_kernel
	.section	.text._ZL29rocblas_internal_gemmt_kernelIiLi16ELi32ELi8ELc67ELc84ELc76ELb1ELb0E19rocblas_complex_numIdES1_PKPKS1_PKPS1_EviT_T9_T10_S9_lSB_S9_lSA_T11_S9_li,"axG",@progbits,_ZL29rocblas_internal_gemmt_kernelIiLi16ELi32ELi8ELc67ELc84ELc76ELb1ELb0E19rocblas_complex_numIdES1_PKPKS1_PKPS1_EviT_T9_T10_S9_lSB_S9_lSA_T11_S9_li,comdat
.Lfunc_end430:
	.size	_ZL29rocblas_internal_gemmt_kernelIiLi16ELi32ELi8ELc67ELc84ELc76ELb1ELb0E19rocblas_complex_numIdES1_PKPKS1_PKPS1_EviT_T9_T10_S9_lSB_S9_lSA_T11_S9_li, .Lfunc_end430-_ZL29rocblas_internal_gemmt_kernelIiLi16ELi32ELi8ELc67ELc84ELc76ELb1ELb0E19rocblas_complex_numIdES1_PKPKS1_PKPS1_EviT_T9_T10_S9_lSB_S9_lSA_T11_S9_li
                                        ; -- End function
	.set _ZL29rocblas_internal_gemmt_kernelIiLi16ELi32ELi8ELc67ELc84ELc76ELb1ELb0E19rocblas_complex_numIdES1_PKPKS1_PKPS1_EviT_T9_T10_S9_lSB_S9_lSA_T11_S9_li.num_vgpr, 127
	.set _ZL29rocblas_internal_gemmt_kernelIiLi16ELi32ELi8ELc67ELc84ELc76ELb1ELb0E19rocblas_complex_numIdES1_PKPKS1_PKPS1_EviT_T9_T10_S9_lSB_S9_lSA_T11_S9_li.num_agpr, 0
	.set _ZL29rocblas_internal_gemmt_kernelIiLi16ELi32ELi8ELc67ELc84ELc76ELb1ELb0E19rocblas_complex_numIdES1_PKPKS1_PKPS1_EviT_T9_T10_S9_lSB_S9_lSA_T11_S9_li.numbered_sgpr, 32
	.set _ZL29rocblas_internal_gemmt_kernelIiLi16ELi32ELi8ELc67ELc84ELc76ELb1ELb0E19rocblas_complex_numIdES1_PKPKS1_PKPS1_EviT_T9_T10_S9_lSB_S9_lSA_T11_S9_li.num_named_barrier, 0
	.set _ZL29rocblas_internal_gemmt_kernelIiLi16ELi32ELi8ELc67ELc84ELc76ELb1ELb0E19rocblas_complex_numIdES1_PKPKS1_PKPS1_EviT_T9_T10_S9_lSB_S9_lSA_T11_S9_li.private_seg_size, 0
	.set _ZL29rocblas_internal_gemmt_kernelIiLi16ELi32ELi8ELc67ELc84ELc76ELb1ELb0E19rocblas_complex_numIdES1_PKPKS1_PKPS1_EviT_T9_T10_S9_lSB_S9_lSA_T11_S9_li.uses_vcc, 1
	.set _ZL29rocblas_internal_gemmt_kernelIiLi16ELi32ELi8ELc67ELc84ELc76ELb1ELb0E19rocblas_complex_numIdES1_PKPKS1_PKPS1_EviT_T9_T10_S9_lSB_S9_lSA_T11_S9_li.uses_flat_scratch, 0
	.set _ZL29rocblas_internal_gemmt_kernelIiLi16ELi32ELi8ELc67ELc84ELc76ELb1ELb0E19rocblas_complex_numIdES1_PKPKS1_PKPS1_EviT_T9_T10_S9_lSB_S9_lSA_T11_S9_li.has_dyn_sized_stack, 0
	.set _ZL29rocblas_internal_gemmt_kernelIiLi16ELi32ELi8ELc67ELc84ELc76ELb1ELb0E19rocblas_complex_numIdES1_PKPKS1_PKPS1_EviT_T9_T10_S9_lSB_S9_lSA_T11_S9_li.has_recursion, 0
	.set _ZL29rocblas_internal_gemmt_kernelIiLi16ELi32ELi8ELc67ELc84ELc76ELb1ELb0E19rocblas_complex_numIdES1_PKPKS1_PKPS1_EviT_T9_T10_S9_lSB_S9_lSA_T11_S9_li.has_indirect_call, 0
	.section	.AMDGPU.csdata,"",@progbits
; Kernel info:
; codeLenInByte = 3532
; TotalNumSgprs: 34
; NumVgprs: 127
; ScratchSize: 0
; MemoryBound: 1
; FloatMode: 240
; IeeeMode: 1
; LDSByteSize: 8192 bytes/workgroup (compile time only)
; SGPRBlocks: 0
; VGPRBlocks: 15
; NumSGPRsForWavesPerEU: 34
; NumVGPRsForWavesPerEU: 127
; Occupancy: 8
; WaveLimiterHint : 1
; COMPUTE_PGM_RSRC2:SCRATCH_EN: 0
; COMPUTE_PGM_RSRC2:USER_SGPR: 6
; COMPUTE_PGM_RSRC2:TRAP_HANDLER: 0
; COMPUTE_PGM_RSRC2:TGID_X_EN: 1
; COMPUTE_PGM_RSRC2:TGID_Y_EN: 1
; COMPUTE_PGM_RSRC2:TGID_Z_EN: 1
; COMPUTE_PGM_RSRC2:TIDIG_COMP_CNT: 1
	.section	.text._ZL29rocblas_internal_gemmt_kernelIiLi16ELi32ELi8ELc67ELc67ELc76ELb1ELb1E19rocblas_complex_numIdES1_PKPKS1_PKPS1_EviT_T9_T10_S9_lSB_S9_lSA_T11_S9_li,"axG",@progbits,_ZL29rocblas_internal_gemmt_kernelIiLi16ELi32ELi8ELc67ELc67ELc76ELb1ELb1E19rocblas_complex_numIdES1_PKPKS1_PKPS1_EviT_T9_T10_S9_lSB_S9_lSA_T11_S9_li,comdat
	.globl	_ZL29rocblas_internal_gemmt_kernelIiLi16ELi32ELi8ELc67ELc67ELc76ELb1ELb1E19rocblas_complex_numIdES1_PKPKS1_PKPS1_EviT_T9_T10_S9_lSB_S9_lSA_T11_S9_li ; -- Begin function _ZL29rocblas_internal_gemmt_kernelIiLi16ELi32ELi8ELc67ELc67ELc76ELb1ELb1E19rocblas_complex_numIdES1_PKPKS1_PKPS1_EviT_T9_T10_S9_lSB_S9_lSA_T11_S9_li
	.p2align	8
	.type	_ZL29rocblas_internal_gemmt_kernelIiLi16ELi32ELi8ELc67ELc67ELc76ELb1ELb1E19rocblas_complex_numIdES1_PKPKS1_PKPS1_EviT_T9_T10_S9_lSB_S9_lSA_T11_S9_li,@function
_ZL29rocblas_internal_gemmt_kernelIiLi16ELi32ELi8ELc67ELc67ELc76ELb1ELb1E19rocblas_complex_numIdES1_PKPKS1_PKPS1_EviT_T9_T10_S9_lSB_S9_lSA_T11_S9_li: ; @_ZL29rocblas_internal_gemmt_kernelIiLi16ELi32ELi8ELc67ELc67ELc76ELb1ELb1E19rocblas_complex_numIdES1_PKPKS1_PKPS1_EviT_T9_T10_S9_lSB_S9_lSA_T11_S9_li
; %bb.0:
	s_clause 0x2
	s_load_dwordx8 s[12:19], s[4:5], 0x40
	s_load_dwordx2 s[2:3], s[4:5], 0x0
	s_load_dwordx4 s[20:23], s[4:5], 0x8
	s_waitcnt lgkmcnt(0)
	v_cmp_eq_f64_e64 s0, s[14:15], 1.0
	v_cmp_eq_f64_e64 s30, s[16:17], 0
	s_and_b32 s0, s0, s30
	s_andn2_b32 vcc_lo, exec_lo, s0
	s_mov_b32 s0, -1
	s_cbranch_vccnz .LBB431_3
; %bb.1:
	s_cmp_lg_u32 s3, 0
	s_cbranch_scc0 .LBB431_27
; %bb.2:
	v_cmp_neq_f64_e64 s0, s[20:21], 0
	v_cmp_neq_f64_e64 s1, s[22:23], 0
	s_or_b32 s0, s0, s1
.LBB431_3:
	s_and_b32 vcc_lo, exec_lo, s0
	s_cbranch_vccz .LBB431_28
; %bb.4:
	v_cmp_eq_f64_e64 s24, s[20:21], 0
	v_cmp_eq_f64_e64 s25, s[22:23], 0
	s_mov_b32 s9, 0
	v_mov_b32_e32 v26, 0
	s_lshl_b64 s[28:29], s[8:9], 3
	v_mov_b32_e32 v28, 0
	s_add_u32 s0, s18, s28
	s_addc_u32 s1, s19, s29
	s_lshl_b32 s8, s6, 5
	s_load_dwordx2 s[10:11], s[0:1], 0x0
	s_lshl_b32 s18, s7, 5
	v_mov_b32_e32 v22, 0
	v_mov_b32_e32 v24, 0
	;; [unrolled: 1-line block ×12, first 2 shown]
	s_and_b32 s0, s24, s25
	s_cmp_lt_i32 s3, 1
	v_mov_b32_e32 v13, 0
	s_cselect_b32 s1, -1, 0
	v_mov_b32_e32 v11, 0
	s_or_b32 s0, s0, s1
	s_and_b32 vcc_lo, exec_lo, s0
	s_cbranch_vccnz .LBB431_11
; %bb.5:
	s_clause 0x3
	s_load_dword s6, s[4:5], 0x38
	s_load_dword s1, s[4:5], 0x20
	s_load_dwordx4 s[24:27], s[4:5], 0x28
	s_load_dwordx2 s[34:35], s[4:5], 0x18
	v_lshl_add_u32 v2, v1, 4, v0
	v_and_b32_e32 v30, 7, v0
	v_mov_b32_e32 v12, 0
	v_mov_b32_e32 v20, 0
	;; [unrolled: 1-line block ×3, first 2 shown]
	v_and_b32_e32 v3, 31, v2
	v_lshrrev_b32_e32 v4, 3, v2
	v_lshlrev_b32_e32 v5, 4, v30
	v_lshrrev_b32_e32 v31, 5, v2
	v_mov_b32_e32 v24, 0
	v_or_b32_e32 v6, s8, v3
	v_lshlrev_b32_e32 v7, 4, v3
	v_add_nc_u32_e32 v3, s8, v3
	v_add_nc_u32_e32 v2, s18, v4
	v_lshl_or_b32 v8, v4, 7, v5
	v_cmp_gt_i32_e32 vcc_lo, s2, v6
	v_lshl_or_b32 v32, v31, 9, v7
	s_waitcnt lgkmcnt(0)
	v_mad_i64_i32 v[4:5], null, s1, v3, 0
	s_ashr_i32 s7, s6, 31
	s_add_u32 s26, s26, s28
	s_addc_u32 s27, s27, s29
	s_add_u32 s28, s34, s28
	s_addc_u32 s29, s35, s29
	s_load_dwordx2 s[26:27], s[26:27], 0x0
	s_load_dwordx2 s[28:29], s[28:29], 0x0
	v_lshlrev_b64 v[4:5], 4, v[4:5]
	v_mad_i64_i32 v[6:7], null, s6, v30, 0
	s_lshl_b64 s[24:25], s[24:25], 4
	v_add_nc_u32_e32 v33, 0x1000, v8
	v_lshlrev_b32_e32 v8, 4, v31
	v_add_co_u32 v9, s1, v4, s24
	v_ashrrev_i32_e32 v3, 31, v2
	v_add_co_ci_u32_e64 v10, null, s25, v5, s1
	v_lshlrev_b64 v[4:5], 4, v[6:7]
	v_add_co_u32 v6, s1, v9, v8
	s_lshl_b64 s[12:13], s[12:13], 4
	v_cmp_gt_i32_e64 s0, s2, v2
	v_lshlrev_b64 v[2:3], 4, v[2:3]
	v_add_co_ci_u32_e64 v7, null, 0, v10, s1
	v_add_co_u32 v4, s1, v4, s12
	v_add_co_ci_u32_e64 v5, null, s13, v5, s1
	s_waitcnt lgkmcnt(0)
	v_add_co_u32 v14, s1, s28, v6
	v_add_co_ci_u32_e64 v15, null, s29, v7, s1
	v_add_co_u32 v2, s1, v4, v2
	v_add_co_ci_u32_e64 v3, null, v5, v3, s1
	v_mov_b32_e32 v10, 0
	v_add_co_u32 v18, s1, s26, v2
	v_mov_b32_e32 v22, 0
	v_mov_b32_e32 v28, 0
	v_mov_b32_e32 v26, 0
	v_lshlrev_b32_e32 v34, 4, v0
	v_lshl_add_u32 v35, v1, 7, 0x1000
	v_mov_b32_e32 v11, 0
	v_mov_b32_e32 v13, 0
	v_mov_b32_e32 v21, 0
	v_mov_b32_e32 v17, 0
	v_mov_b32_e32 v25, 0
	v_mov_b32_e32 v23, 0
	v_mov_b32_e32 v29, 0
	v_mov_b32_e32 v27, 0
	v_add_co_ci_u32_e64 v19, null, s27, v3, s1
	s_lshl_b64 s[6:7], s[6:7], 7
	s_branch .LBB431_7
.LBB431_6:                              ;   in Loop: Header=BB431_7 Depth=1
	s_or_b32 exec_lo, exec_lo, s1
	ds_write_b128 v33, v[6:9]
	s_waitcnt lgkmcnt(0)
	s_barrier
	buffer_gl0_inv
	ds_read_b128 v[2:5], v35
	ds_read_b128 v[6:9], v34
	ds_read_b128 v[36:39], v34 offset:256
	ds_read_b128 v[40:43], v35 offset:2048
	;; [unrolled: 1-line block ×12, first 2 shown]
	v_add_co_u32 v14, s1, 0x80, v14
	v_add_co_ci_u32_e64 v15, null, 0, v15, s1
	v_add_co_u32 v18, s1, v18, s6
	v_add_co_ci_u32_e64 v19, null, s7, v19, s1
	s_waitcnt lgkmcnt(12)
	v_mul_f64 v[84:85], v[4:5], v[8:9]
	v_mul_f64 v[86:87], v[2:3], v[8:9]
	s_waitcnt lgkmcnt(11)
	v_mul_f64 v[88:89], v[4:5], v[38:39]
	v_mul_f64 v[90:91], v[2:3], v[38:39]
	;; [unrolled: 3-line block ×3, first 2 shown]
	v_mul_f64 v[94:95], v[42:43], v[38:39]
	v_mul_f64 v[38:39], v[40:41], v[38:39]
	s_waitcnt lgkmcnt(8)
	v_mul_f64 v[96:97], v[46:47], v[50:51]
	v_mul_f64 v[98:99], v[44:45], v[50:51]
	s_waitcnt lgkmcnt(7)
	;; [unrolled: 3-line block ×3, first 2 shown]
	v_mul_f64 v[104:105], v[58:59], v[50:51]
	v_mul_f64 v[50:51], v[56:57], v[50:51]
	;; [unrolled: 1-line block ×4, first 2 shown]
	s_waitcnt lgkmcnt(4)
	v_mul_f64 v[108:109], v[62:63], v[66:67]
	v_mul_f64 v[110:111], v[60:61], v[66:67]
	s_waitcnt lgkmcnt(3)
	v_mul_f64 v[112:113], v[62:63], v[70:71]
	v_mul_f64 v[114:115], v[60:61], v[70:71]
	;; [unrolled: 3-line block ×3, first 2 shown]
	v_fma_f64 v[84:85], v[2:3], v[6:7], -v[84:85]
	v_fma_f64 v[86:87], v[4:5], v[6:7], v[86:87]
	v_fma_f64 v[88:89], v[2:3], v[36:37], -v[88:89]
	v_fma_f64 v[90:91], v[4:5], v[36:37], v[90:91]
	;; [unrolled: 2-line block ×4, first 2 shown]
	v_mul_f64 v[122:123], v[74:75], v[70:71]
	v_mul_f64 v[70:71], v[72:73], v[70:71]
	ds_read_b128 v[2:5], v34 offset:1536
	ds_read_b128 v[6:9], v34 offset:1792
	v_fma_f64 v[96:97], v[44:45], v[48:49], -v[96:97]
	v_fma_f64 v[98:99], v[46:47], v[48:49], v[98:99]
	v_fma_f64 v[100:101], v[44:45], v[52:53], -v[100:101]
	v_fma_f64 v[102:103], v[46:47], v[52:53], v[102:103]
	;; [unrolled: 2-line block ×7, first 2 shown]
	v_add_f64 v[26:27], v[26:27], v[84:85]
	v_add_f64 v[28:29], v[86:87], v[28:29]
	;; [unrolled: 1-line block ×4, first 2 shown]
	s_waitcnt lgkmcnt(1)
	v_mul_f64 v[108:109], v[78:79], v[4:5]
	v_mul_f64 v[110:111], v[76:77], v[4:5]
	s_waitcnt lgkmcnt(0)
	v_mul_f64 v[66:67], v[78:79], v[8:9]
	v_fma_f64 v[72:73], v[72:73], v[68:69], -v[122:123]
	v_mul_f64 v[114:115], v[82:83], v[4:5]
	v_mul_f64 v[4:5], v[80:81], v[4:5]
	v_fma_f64 v[68:69], v[74:75], v[68:69], v[70:71]
	v_add_f64 v[70:71], v[22:23], v[88:89]
	v_add_f64 v[74:75], v[118:119], v[20:21]
	;; [unrolled: 1-line block ×4, first 2 shown]
	ds_read_b128 v[36:39], v35 offset:64
	ds_read_b128 v[40:43], v34 offset:2048
	;; [unrolled: 1-line block ×3, first 2 shown]
	v_mul_f64 v[112:113], v[76:77], v[8:9]
	v_mul_f64 v[86:87], v[82:83], v[8:9]
	;; [unrolled: 1-line block ×3, first 2 shown]
	ds_read_b128 v[48:51], v35 offset:2112
	ds_read_b128 v[20:23], v35 offset:2128
	v_add_f64 v[96:97], v[26:27], v[96:97]
	v_add_f64 v[28:29], v[98:99], v[28:29]
	;; [unrolled: 1-line block ×4, first 2 shown]
	v_fma_f64 v[88:89], v[76:77], v[2:3], -v[108:109]
	v_fma_f64 v[90:91], v[78:79], v[2:3], v[110:111]
	v_fma_f64 v[66:67], v[76:77], v[6:7], -v[66:67]
	ds_read_b128 v[8:11], v35 offset:80
	ds_read_b128 v[24:27], v34 offset:2816
	s_add_i32 s9, s9, 8
	v_add_f64 v[70:71], v[70:71], v[100:101]
	v_add_f64 v[74:75], v[124:125], v[74:75]
	s_waitcnt lgkmcnt(5)
	v_mul_f64 v[76:77], v[38:39], v[42:43]
	v_mul_f64 v[94:95], v[36:37], v[42:43]
	v_add_f64 v[12:13], v[12:13], v[56:57]
	v_add_f64 v[52:53], v[52:53], v[84:85]
	v_fma_f64 v[56:57], v[80:81], v[2:3], -v[114:115]
	v_fma_f64 v[84:85], v[82:83], v[2:3], v[4:5]
	ds_read_b128 v[2:5], v34 offset:2560
	s_waitcnt lgkmcnt(5)
	v_mul_f64 v[108:109], v[38:39], v[46:47]
	v_mul_f64 v[110:111], v[36:37], v[46:47]
	v_fma_f64 v[78:79], v[78:79], v[6:7], v[112:113]
	s_waitcnt lgkmcnt(4)
	v_mul_f64 v[112:113], v[50:51], v[42:43]
	v_mul_f64 v[42:43], v[48:49], v[42:43]
	v_fma_f64 v[80:81], v[80:81], v[6:7], -v[86:87]
	v_fma_f64 v[82:83], v[82:83], v[6:7], v[92:93]
	v_add_f64 v[54:55], v[96:97], v[54:55]
	v_add_f64 v[58:59], v[58:59], v[28:29]
	;; [unrolled: 1-line block ×4, first 2 shown]
	s_waitcnt lgkmcnt(1)
	v_mul_f64 v[102:103], v[22:23], v[26:27]
	v_mul_f64 v[104:105], v[20:21], v[26:27]
	v_add_f64 v[60:61], v[70:71], v[60:61]
	v_add_f64 v[64:65], v[64:65], v[74:75]
	v_fma_f64 v[76:77], v[36:37], v[40:41], -v[76:77]
	v_fma_f64 v[86:87], v[38:39], v[40:41], v[94:95]
	v_add_f64 v[12:13], v[12:13], v[72:73]
	v_add_f64 v[52:53], v[68:69], v[52:53]
	s_waitcnt lgkmcnt(0)
	v_mul_f64 v[68:69], v[10:11], v[4:5]
	v_mul_f64 v[70:71], v[8:9], v[4:5]
	;; [unrolled: 1-line block ×3, first 2 shown]
	v_fma_f64 v[92:93], v[36:37], v[44:45], -v[108:109]
	v_fma_f64 v[94:95], v[38:39], v[44:45], v[110:111]
	v_mul_f64 v[36:37], v[50:51], v[46:47]
	v_mul_f64 v[38:39], v[48:49], v[46:47]
	v_fma_f64 v[46:47], v[48:49], v[40:41], -v[112:113]
	v_fma_f64 v[100:101], v[50:51], v[40:41], v[42:43]
	v_mul_f64 v[74:75], v[8:9], v[26:27]
	v_mul_f64 v[96:97], v[22:23], v[4:5]
	;; [unrolled: 1-line block ×3, first 2 shown]
	ds_read_b128 v[4:7], v35 offset:96
	ds_read_b128 v[26:29], v34 offset:3072
	v_add_f64 v[16:17], v[16:17], v[56:57]
	s_cmp_lt_i32 s9, s3
	v_add_f64 v[56:57], v[84:85], v[64:65]
	v_add_f64 v[12:13], v[12:13], v[80:81]
	;; [unrolled: 1-line block ×3, first 2 shown]
	v_fma_f64 v[64:65], v[10:11], v[2:3], v[70:71]
	v_fma_f64 v[48:49], v[48:49], v[44:45], -v[36:37]
	v_fma_f64 v[44:45], v[50:51], v[44:45], v[38:39]
	v_add_f64 v[50:51], v[54:55], v[88:89]
	v_add_f64 v[54:55], v[90:91], v[58:59]
	;; [unrolled: 1-line block ×4, first 2 shown]
	ds_read_b128 v[36:39], v34 offset:3328
	ds_read_b128 v[40:43], v35 offset:2144
	v_fma_f64 v[62:63], v[8:9], v[2:3], -v[68:69]
	v_fma_f64 v[66:67], v[8:9], v[24:25], -v[72:73]
	v_fma_f64 v[68:69], v[10:11], v[24:25], v[74:75]
	v_fma_f64 v[70:71], v[20:21], v[2:3], -v[96:97]
	v_fma_f64 v[2:3], v[22:23], v[2:3], v[98:99]
	v_fma_f64 v[72:73], v[20:21], v[24:25], -v[102:103]
	s_waitcnt lgkmcnt(2)
	v_mul_f64 v[74:75], v[6:7], v[28:29]
	v_fma_f64 v[24:25], v[22:23], v[24:25], v[104:105]
	v_mul_f64 v[78:79], v[4:5], v[28:29]
	v_add_f64 v[16:17], v[16:17], v[46:47]
	v_add_f64 v[56:57], v[100:101], v[56:57]
	ds_read_b128 v[8:11], v35 offset:112
	ds_read_b128 v[20:23], v35 offset:2160
	v_add_f64 v[12:13], v[12:13], v[48:49]
	v_add_f64 v[52:53], v[44:45], v[52:53]
	;; [unrolled: 1-line block ×3, first 2 shown]
	s_waitcnt lgkmcnt(3)
	v_mul_f64 v[80:81], v[6:7], v[38:39]
	v_mul_f64 v[82:83], v[4:5], v[38:39]
	s_waitcnt lgkmcnt(2)
	v_mul_f64 v[84:85], v[42:43], v[28:29]
	v_mul_f64 v[28:29], v[40:41], v[28:29]
	v_add_f64 v[54:55], v[86:87], v[54:55]
	v_add_f64 v[58:59], v[58:59], v[92:93]
	;; [unrolled: 1-line block ×3, first 2 shown]
	v_mul_f64 v[86:87], v[42:43], v[38:39]
	v_mul_f64 v[38:39], v[40:41], v[38:39]
	ds_read_b128 v[44:47], v34 offset:3584
	ds_read_b128 v[48:51], v34 offset:3840
	v_fma_f64 v[74:75], v[4:5], v[26:27], -v[74:75]
	s_waitcnt lgkmcnt(0)
	v_fma_f64 v[78:79], v[6:7], v[26:27], v[78:79]
	v_add_f64 v[16:17], v[16:17], v[70:71]
	v_add_f64 v[2:3], v[2:3], v[56:57]
	s_barrier
	buffer_gl0_inv
	v_add_f64 v[12:13], v[12:13], v[72:73]
	v_add_f64 v[24:25], v[24:25], v[52:53]
	v_fma_f64 v[4:5], v[4:5], v[36:37], -v[80:81]
	v_fma_f64 v[6:7], v[6:7], v[36:37], v[82:83]
	v_fma_f64 v[80:81], v[40:41], v[26:27], -v[84:85]
	v_fma_f64 v[26:27], v[42:43], v[26:27], v[28:29]
	v_add_f64 v[28:29], v[76:77], v[62:63]
	v_add_f64 v[54:55], v[64:65], v[54:55]
	;; [unrolled: 1-line block ×4, first 2 shown]
	v_fma_f64 v[40:41], v[40:41], v[36:37], -v[86:87]
	v_fma_f64 v[36:37], v[42:43], v[36:37], v[38:39]
	v_mul_f64 v[38:39], v[10:11], v[46:47]
	v_mul_f64 v[42:43], v[8:9], v[46:47]
	;; [unrolled: 1-line block ×8, first 2 shown]
	v_add_f64 v[16:17], v[16:17], v[80:81]
	v_add_f64 v[2:3], v[26:27], v[2:3]
	;; [unrolled: 1-line block ×8, first 2 shown]
	v_fma_f64 v[24:25], v[8:9], v[44:45], -v[38:39]
	v_fma_f64 v[38:39], v[10:11], v[44:45], v[42:43]
	v_fma_f64 v[8:9], v[8:9], v[48:49], -v[52:53]
	v_fma_f64 v[10:11], v[10:11], v[48:49], v[56:57]
	;; [unrolled: 2-line block ×4, first 2 shown]
	v_add_f64 v[26:27], v[28:29], v[24:25]
	v_add_f64 v[28:29], v[38:39], v[54:55]
	;; [unrolled: 1-line block ×8, first 2 shown]
	s_cbranch_scc0 .LBB431_11
.LBB431_7:                              ; =>This Inner Loop Header: Depth=1
	v_add_nc_u32_e32 v2, s9, v31
	v_mov_b32_e32 v4, 0
	v_mov_b32_e32 v5, 0
	v_cmp_gt_i32_e64 s1, s3, v2
	v_mov_b32_e32 v2, 0
	v_mov_b32_e32 v3, 0
	s_and_b32 s12, vcc_lo, s1
	s_and_saveexec_b32 s1, s12
	s_cbranch_execz .LBB431_9
; %bb.8:                                ;   in Loop: Header=BB431_7 Depth=1
	flat_load_dwordx4 v[2:5], v[14:15]
	s_waitcnt vmcnt(0) lgkmcnt(0)
	v_xor_b32_e32 v5, 0x80000000, v5
.LBB431_9:                              ;   in Loop: Header=BB431_7 Depth=1
	s_or_b32 exec_lo, exec_lo, s1
	v_add_nc_u32_e32 v6, s9, v30
	v_mov_b32_e32 v8, 0
	v_mov_b32_e32 v9, 0
	ds_write_b128 v32, v[2:5]
	v_cmp_gt_i32_e64 s1, s3, v6
	v_mov_b32_e32 v6, 0
	v_mov_b32_e32 v7, 0
	s_and_b32 s12, s1, s0
	s_and_saveexec_b32 s1, s12
	s_cbranch_execz .LBB431_6
; %bb.10:                               ;   in Loop: Header=BB431_7 Depth=1
	flat_load_dwordx4 v[6:9], v[18:19]
	s_waitcnt vmcnt(0) lgkmcnt(0)
	v_xor_b32_e32 v9, 0x80000000, v9
	s_branch .LBB431_6
.LBB431_11:
	s_clause 0x1
	s_load_dword s3, s[4:5], 0x60
	s_load_dwordx2 s[4:5], s[4:5], 0x68
	v_cmp_neq_f64_e64 s6, s[14:15], 0
	v_add_nc_u32_e32 v15, s18, v1
	v_add_nc_u32_e32 v4, s8, v0
	v_cmp_le_i32_e32 vcc_lo, v15, v4
	v_cmp_gt_i32_e64 s0, s2, v4
	v_ashrrev_i32_e32 v5, 31, v4
	s_waitcnt lgkmcnt(0)
	v_mad_i64_i32 v[0:1], null, v15, s3, 0
	s_lshl_b64 s[4:5], s[4:5], 4
	s_add_u32 s4, s10, s4
	s_addc_u32 s5, s11, s5
	s_xor_b32 s7, s30, -1
	s_or_b32 s6, s6, s7
	v_lshlrev_b64 v[0:1], 4, v[0:1]
	v_cndmask_b32_e64 v14, 0, 1, s6
	s_and_b32 s7, vcc_lo, s0
	v_add_co_u32 v8, s1, s4, v0
	v_add_co_ci_u32_e64 v9, null, s5, v1, s1
	s_and_saveexec_b32 s1, s7
	s_cbranch_execz .LBB431_15
; %bb.12:
	v_mul_f64 v[0:1], s[22:23], v[28:29]
	v_mul_f64 v[2:3], s[20:21], v[28:29]
	v_lshlrev_b64 v[6:7], 4, v[4:5]
	v_add_co_u32 v6, vcc_lo, v8, v6
	v_add_co_ci_u32_e64 v7, null, v9, v7, vcc_lo
	s_andn2_b32 vcc_lo, exec_lo, s6
	v_fma_f64 v[0:1], s[20:21], v[26:27], -v[0:1]
	v_fma_f64 v[2:3], s[22:23], v[26:27], v[2:3]
	s_cbranch_vccnz .LBB431_14
; %bb.13:
	flat_load_dwordx4 v[26:29], v[6:7]
	s_waitcnt vmcnt(0) lgkmcnt(0)
	v_mul_f64 v[18:19], s[16:17], v[28:29]
	v_mul_f64 v[28:29], s[14:15], v[28:29]
	v_fma_f64 v[18:19], s[14:15], v[26:27], -v[18:19]
	v_fma_f64 v[26:27], s[16:17], v[26:27], v[28:29]
	v_add_f64 v[0:1], v[0:1], v[18:19]
	v_add_f64 v[2:3], v[2:3], v[26:27]
.LBB431_14:
	flat_store_dwordx4 v[6:7], v[0:3]
.LBB431_15:
	s_or_b32 exec_lo, exec_lo, s1
	v_add_nc_u32_e32 v6, 16, v4
	v_cmp_le_i32_e32 vcc_lo, v15, v6
	v_cmp_gt_i32_e64 s1, s2, v6
	v_ashrrev_i32_e32 v7, 31, v6
	s_and_b32 s2, vcc_lo, s1
	s_and_saveexec_b32 s6, s2
	s_cbranch_execz .LBB431_19
; %bb.16:
	v_mul_f64 v[0:1], s[22:23], v[24:25]
	v_mul_f64 v[2:3], s[20:21], v[24:25]
	v_lshlrev_b64 v[18:19], 4, v[6:7]
	v_cmp_ne_u32_e32 vcc_lo, 1, v14
	s_and_b32 vcc_lo, exec_lo, vcc_lo
	v_add_co_u32 v8, s2, v8, v18
	v_add_co_ci_u32_e64 v9, null, v9, v19, s2
	v_fma_f64 v[0:1], s[20:21], v[22:23], -v[0:1]
	v_fma_f64 v[2:3], s[22:23], v[22:23], v[2:3]
	s_cbranch_vccnz .LBB431_18
; %bb.17:
	flat_load_dwordx4 v[22:25], v[8:9]
	s_waitcnt vmcnt(0) lgkmcnt(0)
	v_mul_f64 v[18:19], s[16:17], v[24:25]
	v_mul_f64 v[24:25], s[14:15], v[24:25]
	v_fma_f64 v[18:19], s[14:15], v[22:23], -v[18:19]
	v_fma_f64 v[22:23], s[16:17], v[22:23], v[24:25]
	v_add_f64 v[0:1], v[0:1], v[18:19]
	v_add_f64 v[2:3], v[2:3], v[22:23]
.LBB431_18:
	flat_store_dwordx4 v[8:9], v[0:3]
.LBB431_19:
	s_or_b32 exec_lo, exec_lo, s6
	v_add_nc_u32_e32 v15, 16, v15
	v_mad_i64_i32 v[0:1], null, v15, s3, 0
	v_cmp_le_i32_e32 vcc_lo, v15, v4
	s_and_b32 s0, vcc_lo, s0
	v_lshlrev_b64 v[0:1], 4, v[0:1]
	v_add_co_u32 v8, s2, s4, v0
	v_add_co_ci_u32_e64 v9, null, s5, v1, s2
	s_and_saveexec_b32 s2, s0
	s_cbranch_execz .LBB431_23
; %bb.20:
	v_mul_f64 v[0:1], s[22:23], v[20:21]
	v_mul_f64 v[2:3], s[20:21], v[20:21]
	v_lshlrev_b64 v[4:5], 4, v[4:5]
	v_cmp_ne_u32_e32 vcc_lo, 1, v14
	s_and_b32 vcc_lo, exec_lo, vcc_lo
	v_add_co_u32 v4, s0, v8, v4
	v_add_co_ci_u32_e64 v5, null, v9, v5, s0
	v_fma_f64 v[0:1], s[20:21], v[16:17], -v[0:1]
	v_fma_f64 v[2:3], s[22:23], v[16:17], v[2:3]
	s_cbranch_vccnz .LBB431_22
; %bb.21:
	flat_load_dwordx4 v[16:19], v[4:5]
	s_waitcnt vmcnt(0) lgkmcnt(0)
	v_mul_f64 v[20:21], s[16:17], v[18:19]
	v_mul_f64 v[18:19], s[14:15], v[18:19]
	v_fma_f64 v[20:21], s[14:15], v[16:17], -v[20:21]
	v_fma_f64 v[16:17], s[16:17], v[16:17], v[18:19]
	v_add_f64 v[0:1], v[0:1], v[20:21]
	v_add_f64 v[2:3], v[2:3], v[16:17]
.LBB431_22:
	flat_store_dwordx4 v[4:5], v[0:3]
.LBB431_23:
	s_or_b32 exec_lo, exec_lo, s2
	v_cmp_le_i32_e32 vcc_lo, v15, v6
	s_and_b32 s0, vcc_lo, s1
	s_and_saveexec_b32 s1, s0
	s_cbranch_execz .LBB431_28
; %bb.24:
	v_mul_f64 v[0:1], s[22:23], v[10:11]
	v_mul_f64 v[2:3], s[20:21], v[10:11]
	v_lshlrev_b64 v[4:5], 4, v[6:7]
	v_cmp_ne_u32_e32 vcc_lo, 1, v14
	s_and_b32 vcc_lo, exec_lo, vcc_lo
	v_add_co_u32 v4, s0, v8, v4
	v_add_co_ci_u32_e64 v5, null, v9, v5, s0
	v_fma_f64 v[0:1], s[20:21], v[12:13], -v[0:1]
	v_fma_f64 v[2:3], s[22:23], v[12:13], v[2:3]
	s_cbranch_vccnz .LBB431_26
; %bb.25:
	flat_load_dwordx4 v[6:9], v[4:5]
	s_waitcnt vmcnt(0) lgkmcnt(0)
	v_mul_f64 v[10:11], s[16:17], v[8:9]
	v_mul_f64 v[8:9], s[14:15], v[8:9]
	v_fma_f64 v[10:11], s[14:15], v[6:7], -v[10:11]
	v_fma_f64 v[6:7], s[16:17], v[6:7], v[8:9]
	v_add_f64 v[0:1], v[0:1], v[10:11]
	v_add_f64 v[2:3], v[2:3], v[6:7]
.LBB431_26:
	flat_store_dwordx4 v[4:5], v[0:3]
	s_endpgm
.LBB431_27:
.LBB431_28:
	s_endpgm
	.section	.rodata,"a",@progbits
	.p2align	6, 0x0
	.amdhsa_kernel _ZL29rocblas_internal_gemmt_kernelIiLi16ELi32ELi8ELc67ELc67ELc76ELb1ELb1E19rocblas_complex_numIdES1_PKPKS1_PKPS1_EviT_T9_T10_S9_lSB_S9_lSA_T11_S9_li
		.amdhsa_group_segment_fixed_size 8192
		.amdhsa_private_segment_fixed_size 0
		.amdhsa_kernarg_size 116
		.amdhsa_user_sgpr_count 6
		.amdhsa_user_sgpr_private_segment_buffer 1
		.amdhsa_user_sgpr_dispatch_ptr 0
		.amdhsa_user_sgpr_queue_ptr 0
		.amdhsa_user_sgpr_kernarg_segment_ptr 1
		.amdhsa_user_sgpr_dispatch_id 0
		.amdhsa_user_sgpr_flat_scratch_init 0
		.amdhsa_user_sgpr_private_segment_size 0
		.amdhsa_wavefront_size32 1
		.amdhsa_uses_dynamic_stack 0
		.amdhsa_system_sgpr_private_segment_wavefront_offset 0
		.amdhsa_system_sgpr_workgroup_id_x 1
		.amdhsa_system_sgpr_workgroup_id_y 1
		.amdhsa_system_sgpr_workgroup_id_z 1
		.amdhsa_system_sgpr_workgroup_info 0
		.amdhsa_system_vgpr_workitem_id 1
		.amdhsa_next_free_vgpr 126
		.amdhsa_next_free_sgpr 36
		.amdhsa_reserve_vcc 1
		.amdhsa_reserve_flat_scratch 0
		.amdhsa_float_round_mode_32 0
		.amdhsa_float_round_mode_16_64 0
		.amdhsa_float_denorm_mode_32 3
		.amdhsa_float_denorm_mode_16_64 3
		.amdhsa_dx10_clamp 1
		.amdhsa_ieee_mode 1
		.amdhsa_fp16_overflow 0
		.amdhsa_workgroup_processor_mode 1
		.amdhsa_memory_ordered 1
		.amdhsa_forward_progress 1
		.amdhsa_shared_vgpr_count 0
		.amdhsa_exception_fp_ieee_invalid_op 0
		.amdhsa_exception_fp_denorm_src 0
		.amdhsa_exception_fp_ieee_div_zero 0
		.amdhsa_exception_fp_ieee_overflow 0
		.amdhsa_exception_fp_ieee_underflow 0
		.amdhsa_exception_fp_ieee_inexact 0
		.amdhsa_exception_int_div_zero 0
	.end_amdhsa_kernel
	.section	.text._ZL29rocblas_internal_gemmt_kernelIiLi16ELi32ELi8ELc67ELc67ELc76ELb1ELb1E19rocblas_complex_numIdES1_PKPKS1_PKPS1_EviT_T9_T10_S9_lSB_S9_lSA_T11_S9_li,"axG",@progbits,_ZL29rocblas_internal_gemmt_kernelIiLi16ELi32ELi8ELc67ELc67ELc76ELb1ELb1E19rocblas_complex_numIdES1_PKPKS1_PKPS1_EviT_T9_T10_S9_lSB_S9_lSA_T11_S9_li,comdat
.Lfunc_end431:
	.size	_ZL29rocblas_internal_gemmt_kernelIiLi16ELi32ELi8ELc67ELc67ELc76ELb1ELb1E19rocblas_complex_numIdES1_PKPKS1_PKPS1_EviT_T9_T10_S9_lSB_S9_lSA_T11_S9_li, .Lfunc_end431-_ZL29rocblas_internal_gemmt_kernelIiLi16ELi32ELi8ELc67ELc67ELc76ELb1ELb1E19rocblas_complex_numIdES1_PKPKS1_PKPS1_EviT_T9_T10_S9_lSB_S9_lSA_T11_S9_li
                                        ; -- End function
	.set _ZL29rocblas_internal_gemmt_kernelIiLi16ELi32ELi8ELc67ELc67ELc76ELb1ELb1E19rocblas_complex_numIdES1_PKPKS1_PKPS1_EviT_T9_T10_S9_lSB_S9_lSA_T11_S9_li.num_vgpr, 126
	.set _ZL29rocblas_internal_gemmt_kernelIiLi16ELi32ELi8ELc67ELc67ELc76ELb1ELb1E19rocblas_complex_numIdES1_PKPKS1_PKPS1_EviT_T9_T10_S9_lSB_S9_lSA_T11_S9_li.num_agpr, 0
	.set _ZL29rocblas_internal_gemmt_kernelIiLi16ELi32ELi8ELc67ELc67ELc76ELb1ELb1E19rocblas_complex_numIdES1_PKPKS1_PKPS1_EviT_T9_T10_S9_lSB_S9_lSA_T11_S9_li.numbered_sgpr, 36
	.set _ZL29rocblas_internal_gemmt_kernelIiLi16ELi32ELi8ELc67ELc67ELc76ELb1ELb1E19rocblas_complex_numIdES1_PKPKS1_PKPS1_EviT_T9_T10_S9_lSB_S9_lSA_T11_S9_li.num_named_barrier, 0
	.set _ZL29rocblas_internal_gemmt_kernelIiLi16ELi32ELi8ELc67ELc67ELc76ELb1ELb1E19rocblas_complex_numIdES1_PKPKS1_PKPS1_EviT_T9_T10_S9_lSB_S9_lSA_T11_S9_li.private_seg_size, 0
	.set _ZL29rocblas_internal_gemmt_kernelIiLi16ELi32ELi8ELc67ELc67ELc76ELb1ELb1E19rocblas_complex_numIdES1_PKPKS1_PKPS1_EviT_T9_T10_S9_lSB_S9_lSA_T11_S9_li.uses_vcc, 1
	.set _ZL29rocblas_internal_gemmt_kernelIiLi16ELi32ELi8ELc67ELc67ELc76ELb1ELb1E19rocblas_complex_numIdES1_PKPKS1_PKPS1_EviT_T9_T10_S9_lSB_S9_lSA_T11_S9_li.uses_flat_scratch, 0
	.set _ZL29rocblas_internal_gemmt_kernelIiLi16ELi32ELi8ELc67ELc67ELc76ELb1ELb1E19rocblas_complex_numIdES1_PKPKS1_PKPS1_EviT_T9_T10_S9_lSB_S9_lSA_T11_S9_li.has_dyn_sized_stack, 0
	.set _ZL29rocblas_internal_gemmt_kernelIiLi16ELi32ELi8ELc67ELc67ELc76ELb1ELb1E19rocblas_complex_numIdES1_PKPKS1_PKPS1_EviT_T9_T10_S9_lSB_S9_lSA_T11_S9_li.has_recursion, 0
	.set _ZL29rocblas_internal_gemmt_kernelIiLi16ELi32ELi8ELc67ELc67ELc76ELb1ELb1E19rocblas_complex_numIdES1_PKPKS1_PKPS1_EviT_T9_T10_S9_lSB_S9_lSA_T11_S9_li.has_indirect_call, 0
	.section	.AMDGPU.csdata,"",@progbits
; Kernel info:
; codeLenInByte = 3520
; TotalNumSgprs: 38
; NumVgprs: 126
; ScratchSize: 0
; MemoryBound: 1
; FloatMode: 240
; IeeeMode: 1
; LDSByteSize: 8192 bytes/workgroup (compile time only)
; SGPRBlocks: 0
; VGPRBlocks: 15
; NumSGPRsForWavesPerEU: 38
; NumVGPRsForWavesPerEU: 126
; Occupancy: 8
; WaveLimiterHint : 1
; COMPUTE_PGM_RSRC2:SCRATCH_EN: 0
; COMPUTE_PGM_RSRC2:USER_SGPR: 6
; COMPUTE_PGM_RSRC2:TRAP_HANDLER: 0
; COMPUTE_PGM_RSRC2:TGID_X_EN: 1
; COMPUTE_PGM_RSRC2:TGID_Y_EN: 1
; COMPUTE_PGM_RSRC2:TGID_Z_EN: 1
; COMPUTE_PGM_RSRC2:TIDIG_COMP_CNT: 1
	.section	.text._ZL29rocblas_internal_gemmt_kernelIlLi16ELi32ELi8ELc78ELc78ELc85ELb0ELb0EfPKfPKS1_PKPfEviT_T9_T10_S7_lS9_S7_lS8_T11_S7_li,"axG",@progbits,_ZL29rocblas_internal_gemmt_kernelIlLi16ELi32ELi8ELc78ELc78ELc85ELb0ELb0EfPKfPKS1_PKPfEviT_T9_T10_S7_lS9_S7_lS8_T11_S7_li,comdat
	.globl	_ZL29rocblas_internal_gemmt_kernelIlLi16ELi32ELi8ELc78ELc78ELc85ELb0ELb0EfPKfPKS1_PKPfEviT_T9_T10_S7_lS9_S7_lS8_T11_S7_li ; -- Begin function _ZL29rocblas_internal_gemmt_kernelIlLi16ELi32ELi8ELc78ELc78ELc85ELb0ELb0EfPKfPKS1_PKPfEviT_T9_T10_S7_lS9_S7_lS8_T11_S7_li
	.p2align	8
	.type	_ZL29rocblas_internal_gemmt_kernelIlLi16ELi32ELi8ELc78ELc78ELc85ELb0ELb0EfPKfPKS1_PKPfEviT_T9_T10_S7_lS9_S7_lS8_T11_S7_li,@function
_ZL29rocblas_internal_gemmt_kernelIlLi16ELi32ELi8ELc78ELc78ELc85ELb0ELb0EfPKfPKS1_PKPfEviT_T9_T10_S7_lS9_S7_lS8_T11_S7_li: ; @_ZL29rocblas_internal_gemmt_kernelIlLi16ELi32ELi8ELc78ELc78ELc85ELb0ELb0EfPKfPKS1_PKPfEviT_T9_T10_S7_lS9_S7_lS8_T11_S7_li
; %bb.0:
	s_clause 0x1
	s_load_dwordx8 s[36:43], s[4:5], 0x48
	s_load_dwordx16 s[12:27], s[4:5], 0x8
	s_waitcnt lgkmcnt(0)
	s_load_dword s10, s[36:37], 0x0
	s_load_dword s11, s[14:15], 0x0
	s_waitcnt lgkmcnt(0)
	v_cmp_neq_f32_e64 s0, s10, 1.0
	s_and_b32 vcc_lo, exec_lo, s0
	s_cbranch_vccnz .LBB432_2
; %bb.1:
	v_cmp_neq_f32_e64 s0, s11, 0
	s_cmp_lg_u64 s[12:13], 0
	s_cselect_b32 s1, -1, 0
	s_and_b32 s0, s1, s0
.LBB432_2:
	s_andn2_b32 vcc_lo, exec_lo, s0
	s_cbranch_vccnz .LBB432_28
; %bb.3:
	s_mov_b32 s9, 0
	v_mov_b32_e32 v8, 0
	s_lshl_b64 s[0:1], s[8:9], 3
	v_mov_b32_e32 v4, 0
	s_add_u32 s2, s38, s0
	s_addc_u32 s3, s39, s1
	s_load_dword s8, s[4:5], 0x0
	s_load_dwordx2 s[2:3], s[2:3], 0x0
	v_cmp_lt_i64_e64 s4, s[12:13], 1
	v_cmp_eq_f32_e64 s5, s11, 0
	v_mov_b32_e32 v7, 0
	v_mov_b32_e32 v6, 0
	s_lshl_b32 s6, s6, 5
	s_lshl_b32 s7, s7, 5
	s_or_b32 s4, s5, s4
	s_and_b32 vcc_lo, exec_lo, s4
	s_cbranch_vccnz .LBB432_12
; %bb.4:
	s_add_u32 s4, s22, s0
	s_addc_u32 s5, s23, s1
	v_lshl_add_u32 v2, v1, 4, v0
	s_load_dwordx2 s[4:5], s[4:5], 0x0
	s_lshl_b64 s[14:15], s[26:27], 2
	v_and_b32_e32 v5, 7, v0
	v_lshlrev_b32_e32 v9, 2, v0
	v_lshrrev_b32_e32 v8, 3, v2
	v_and_b32_e32 v12, 31, v2
	v_lshrrev_b32_e32 v11, 5, v2
	v_lshlrev_b32_e32 v18, 2, v5
	v_lshl_add_u32 v10, v1, 5, 0x400
	v_add_nc_u32_e32 v19, s7, v8
	v_or_b32_e32 v15, s6, v12
	v_lshlrev_b32_e32 v2, 2, v12
	v_lshl_or_b32 v8, v8, 5, v18
	v_mov_b32_e32 v3, 0
	v_ashrrev_i32_e32 v4, 31, v19
	v_mul_lo_u32 v16, s25, v19
	v_mad_u64_u32 v[13:14], null, s24, v19, 0
	v_mov_b32_e32 v6, 0
	v_mul_lo_u32 v17, s24, v4
	s_waitcnt lgkmcnt(0)
	s_add_u32 s9, s4, s14
	s_addc_u32 s22, s5, s15
	s_add_u32 s0, s16, s0
	s_addc_u32 s1, s17, s1
	s_lshl_b64 s[14:15], s[20:21], 2
	s_load_dwordx2 s[4:5], s[0:1], 0x0
	v_cmp_gt_i32_e64 s1, s8, v19
	v_add3_u32 v14, v14, v17, v16
	v_ashrrev_i32_e32 v16, 31, v15
	v_cmp_gt_i32_e64 s0, s8, v15
	v_mov_b32_e32 v7, 0
	v_mov_b32_e32 v4, 0
	v_lshlrev_b64 v[17:18], 2, v[13:14]
	v_lshlrev_b64 v[19:20], 2, v[15:16]
	v_lshl_or_b32 v12, v11, 7, v2
	v_add_nc_u32_e32 v13, 0x400, v8
	v_mov_b32_e32 v8, 0
	v_add_co_u32 v14, vcc_lo, s9, v17
	v_add_co_ci_u32_e64 v15, null, s22, v18, vcc_lo
	s_waitcnt lgkmcnt(0)
	s_add_u32 s4, s4, s14
	s_addc_u32 s5, s5, s15
	v_add_co_u32 v16, vcc_lo, s4, v19
	v_add_co_ci_u32_e64 v17, null, s5, v20, vcc_lo
	s_mov_b64 s[4:5], 0
	s_branch .LBB432_6
.LBB432_5:                              ;   in Loop: Header=BB432_6 Depth=1
	s_or_b32 exec_lo, exec_lo, s9
	s_waitcnt vmcnt(0) lgkmcnt(0)
	ds_write_b32 v13, v19
	s_waitcnt lgkmcnt(0)
	s_barrier
	buffer_gl0_inv
	ds_read_b128 v[18:21], v10
	ds_read2_b32 v[34:35], v9 offset1:16
	ds_read_b128 v[22:25], v10 offset:512
	ds_read2_b32 v[36:37], v9 offset0:32 offset1:48
	ds_read2_b32 v[38:39], v9 offset0:64 offset1:80
	;; [unrolled: 1-line block ×3, first 2 shown]
	ds_read_b128 v[26:29], v10 offset:16
	ds_read2_b32 v[42:43], v9 offset0:128 offset1:144
	ds_read_b128 v[30:33], v10 offset:528
	ds_read2_b32 v[44:45], v9 offset0:160 offset1:176
	s_add_u32 s4, s4, 8
	s_addc_u32 s5, s5, 0
	v_cmp_gt_i64_e64 s9, s[12:13], s[4:5]
	s_and_b32 vcc_lo, exec_lo, s9
	s_waitcnt lgkmcnt(8)
	v_fmac_f32_e32 v8, v34, v18
	v_fmac_f32_e32 v4, v35, v18
	s_waitcnt lgkmcnt(7)
	v_fmac_f32_e32 v7, v34, v22
	v_fmac_f32_e32 v6, v35, v22
	ds_read2_b32 v[34:35], v9 offset0:192 offset1:208
	s_waitcnt lgkmcnt(7)
	v_fmac_f32_e32 v8, v36, v19
	v_fmac_f32_e32 v4, v37, v19
	;; [unrolled: 1-line block ×4, first 2 shown]
	ds_read2_b32 v[18:19], v9 offset0:224 offset1:240
	s_waitcnt lgkmcnt(7)
	v_fmac_f32_e32 v8, v38, v20
	v_fmac_f32_e32 v4, v39, v20
	;; [unrolled: 1-line block ×4, first 2 shown]
	s_waitcnt lgkmcnt(0)
	v_fmac_f32_e32 v8, v40, v21
	v_fmac_f32_e32 v4, v41, v21
	;; [unrolled: 1-line block ×4, first 2 shown]
	s_barrier
	v_fmac_f32_e32 v8, v42, v26
	v_fmac_f32_e32 v4, v43, v26
	;; [unrolled: 1-line block ×4, first 2 shown]
	buffer_gl0_inv
	v_fmac_f32_e32 v8, v44, v27
	v_fmac_f32_e32 v4, v45, v27
	;; [unrolled: 1-line block ×12, first 2 shown]
	s_cbranch_vccz .LBB432_12
.LBB432_6:                              ; =>This Inner Loop Header: Depth=1
	v_mov_b32_e32 v18, 0
	s_and_saveexec_b32 s9, s0
	s_cbranch_execz .LBB432_10
; %bb.7:                                ;   in Loop: Header=BB432_6 Depth=1
	v_add_nc_u32_e32 v2, s4, v11
	v_mov_b32_e32 v18, 0
	s_mov_b32 s14, exec_lo
	v_cmpx_gt_u64_e64 s[12:13], v[2:3]
	s_cbranch_execz .LBB432_9
; %bb.8:                                ;   in Loop: Header=BB432_6 Depth=1
	v_mad_u64_u32 v[18:19], null, s18, v2, 0
	v_mad_u64_u32 v[19:20], null, s19, v2, v[19:20]
	v_lshlrev_b64 v[18:19], 2, v[18:19]
	v_add_co_u32 v18, vcc_lo, v16, v18
	v_add_co_ci_u32_e64 v19, null, v17, v19, vcc_lo
	flat_load_dword v18, v[18:19]
.LBB432_9:                              ;   in Loop: Header=BB432_6 Depth=1
	s_or_b32 exec_lo, exec_lo, s14
.LBB432_10:                             ;   in Loop: Header=BB432_6 Depth=1
	s_or_b32 exec_lo, exec_lo, s9
	v_add_nc_u32_e32 v2, s4, v5
	v_mov_b32_e32 v19, 0
	s_waitcnt vmcnt(0) lgkmcnt(0)
	ds_write_b32 v12, v18
	v_cmp_gt_u64_e32 vcc_lo, s[12:13], v[2:3]
	s_and_b32 s14, vcc_lo, s1
	s_and_saveexec_b32 s9, s14
	s_cbranch_execz .LBB432_5
; %bb.11:                               ;   in Loop: Header=BB432_6 Depth=1
	v_lshlrev_b64 v[18:19], 2, v[2:3]
	v_add_co_u32 v18, vcc_lo, v14, v18
	v_add_co_ci_u32_e64 v19, null, v15, v19, vcc_lo
	flat_load_dword v19, v[18:19]
	s_branch .LBB432_5
.LBB432_12:
	v_add_nc_u32_e32 v10, s7, v1
	v_add_nc_u32_e32 v0, s6, v0
	s_lshl_b64 s[0:1], s[42:43], 2
	v_cmp_neq_f32_e64 s4, s10, 0
	s_waitcnt lgkmcnt(0)
	s_add_u32 s2, s2, s0
	v_ashrrev_i32_e32 v3, 31, v10
	v_mul_lo_u32 v5, s41, v10
	v_mad_u64_u32 v[1:2], null, s40, v10, 0
	s_addc_u32 s3, s3, s1
	v_mul_lo_u32 v3, s40, v3
	v_cmp_gt_i32_e64 s0, s8, v10
	v_cmp_le_i32_e32 vcc_lo, v0, v10
	v_cndmask_b32_e64 v9, 0, 1, s4
	s_and_b32 s5, s0, vcc_lo
	v_add3_u32 v2, v2, v3, v5
	v_lshlrev_b64 v[2:3], 2, v[1:2]
	v_ashrrev_i32_e32 v1, 31, v0
	v_add_co_u32 v5, s1, s2, v2
	v_add_co_ci_u32_e64 v11, null, s3, v3, s1
	s_and_saveexec_b32 s1, s5
	s_cbranch_execz .LBB432_16
; %bb.13:
	v_lshlrev_b64 v[2:3], 2, v[0:1]
	v_mul_f32_e32 v8, s11, v8
	v_add_co_u32 v2, vcc_lo, v5, v2
	v_add_co_ci_u32_e64 v3, null, v11, v3, vcc_lo
	s_andn2_b32 vcc_lo, exec_lo, s4
	s_cbranch_vccnz .LBB432_15
; %bb.14:
	flat_load_dword v12, v[2:3]
	s_waitcnt vmcnt(0) lgkmcnt(0)
	v_fmac_f32_e32 v8, s10, v12
.LBB432_15:
	flat_store_dword v[2:3], v8
.LBB432_16:
	s_or_b32 exec_lo, exec_lo, s1
	v_add_nc_u32_e32 v2, 16, v0
	v_cmp_le_i32_e32 vcc_lo, v2, v10
	v_ashrrev_i32_e32 v3, 31, v2
	s_and_b32 s0, s0, vcc_lo
	s_and_saveexec_b32 s1, s0
	s_cbranch_execz .LBB432_20
; %bb.17:
	v_lshlrev_b64 v[12:13], 2, v[2:3]
	v_mul_f32_e32 v8, s11, v4
	v_cmp_ne_u32_e32 vcc_lo, 1, v9
	v_add_co_u32 v4, s0, v5, v12
	v_add_co_ci_u32_e64 v5, null, v11, v13, s0
	s_cbranch_vccnz .LBB432_19
; %bb.18:
	flat_load_dword v11, v[4:5]
	s_waitcnt vmcnt(0) lgkmcnt(0)
	v_fmac_f32_e32 v8, s10, v11
.LBB432_19:
	flat_store_dword v[4:5], v8
.LBB432_20:
	s_or_b32 exec_lo, exec_lo, s1
	v_add_nc_u32_e32 v8, 16, v10
	v_ashrrev_i32_e32 v10, 31, v8
	v_mul_lo_u32 v11, s41, v8
	v_mad_u64_u32 v[4:5], null, s40, v8, 0
	v_cmp_gt_i32_e64 s0, s8, v8
	v_mul_lo_u32 v10, s40, v10
	v_cmp_le_i32_e32 vcc_lo, v0, v8
	v_add3_u32 v5, v5, v10, v11
	v_lshlrev_b64 v[4:5], 2, v[4:5]
	v_add_co_u32 v4, s1, s2, v4
	v_add_co_ci_u32_e64 v5, null, s3, v5, s1
	s_and_b32 s1, s0, vcc_lo
	s_and_saveexec_b32 s2, s1
	s_cbranch_execz .LBB432_24
; %bb.21:
	v_lshlrev_b64 v[0:1], 2, v[0:1]
	v_cmp_ne_u32_e32 vcc_lo, 1, v9
	v_mul_f32_e32 v7, s11, v7
	v_add_co_u32 v0, s1, v4, v0
	v_add_co_ci_u32_e64 v1, null, v5, v1, s1
	s_cbranch_vccnz .LBB432_23
; %bb.22:
	flat_load_dword v10, v[0:1]
	s_waitcnt vmcnt(0) lgkmcnt(0)
	v_fmac_f32_e32 v7, s10, v10
.LBB432_23:
	flat_store_dword v[0:1], v7
.LBB432_24:
	s_or_b32 exec_lo, exec_lo, s2
	v_cmp_le_i32_e32 vcc_lo, v2, v8
	s_and_b32 s0, s0, vcc_lo
	s_and_saveexec_b32 s1, s0
	s_cbranch_execz .LBB432_28
; %bb.25:
	v_lshlrev_b64 v[0:1], 2, v[2:3]
	v_cmp_ne_u32_e32 vcc_lo, 1, v9
	v_mul_f32_e32 v2, s11, v6
	v_add_co_u32 v0, s0, v4, v0
	v_add_co_ci_u32_e64 v1, null, v5, v1, s0
	s_cbranch_vccnz .LBB432_27
; %bb.26:
	flat_load_dword v3, v[0:1]
	s_waitcnt vmcnt(0) lgkmcnt(0)
	v_fmac_f32_e32 v2, s10, v3
.LBB432_27:
	flat_store_dword v[0:1], v2
.LBB432_28:
	s_endpgm
	.section	.rodata,"a",@progbits
	.p2align	6, 0x0
	.amdhsa_kernel _ZL29rocblas_internal_gemmt_kernelIlLi16ELi32ELi8ELc78ELc78ELc85ELb0ELb0EfPKfPKS1_PKPfEviT_T9_T10_S7_lS9_S7_lS8_T11_S7_li
		.amdhsa_group_segment_fixed_size 2048
		.amdhsa_private_segment_fixed_size 0
		.amdhsa_kernarg_size 108
		.amdhsa_user_sgpr_count 6
		.amdhsa_user_sgpr_private_segment_buffer 1
		.amdhsa_user_sgpr_dispatch_ptr 0
		.amdhsa_user_sgpr_queue_ptr 0
		.amdhsa_user_sgpr_kernarg_segment_ptr 1
		.amdhsa_user_sgpr_dispatch_id 0
		.amdhsa_user_sgpr_flat_scratch_init 0
		.amdhsa_user_sgpr_private_segment_size 0
		.amdhsa_wavefront_size32 1
		.amdhsa_uses_dynamic_stack 0
		.amdhsa_system_sgpr_private_segment_wavefront_offset 0
		.amdhsa_system_sgpr_workgroup_id_x 1
		.amdhsa_system_sgpr_workgroup_id_y 1
		.amdhsa_system_sgpr_workgroup_id_z 1
		.amdhsa_system_sgpr_workgroup_info 0
		.amdhsa_system_vgpr_workitem_id 1
		.amdhsa_next_free_vgpr 46
		.amdhsa_next_free_sgpr 44
		.amdhsa_reserve_vcc 1
		.amdhsa_reserve_flat_scratch 0
		.amdhsa_float_round_mode_32 0
		.amdhsa_float_round_mode_16_64 0
		.amdhsa_float_denorm_mode_32 3
		.amdhsa_float_denorm_mode_16_64 3
		.amdhsa_dx10_clamp 1
		.amdhsa_ieee_mode 1
		.amdhsa_fp16_overflow 0
		.amdhsa_workgroup_processor_mode 1
		.amdhsa_memory_ordered 1
		.amdhsa_forward_progress 1
		.amdhsa_shared_vgpr_count 0
		.amdhsa_exception_fp_ieee_invalid_op 0
		.amdhsa_exception_fp_denorm_src 0
		.amdhsa_exception_fp_ieee_div_zero 0
		.amdhsa_exception_fp_ieee_overflow 0
		.amdhsa_exception_fp_ieee_underflow 0
		.amdhsa_exception_fp_ieee_inexact 0
		.amdhsa_exception_int_div_zero 0
	.end_amdhsa_kernel
	.section	.text._ZL29rocblas_internal_gemmt_kernelIlLi16ELi32ELi8ELc78ELc78ELc85ELb0ELb0EfPKfPKS1_PKPfEviT_T9_T10_S7_lS9_S7_lS8_T11_S7_li,"axG",@progbits,_ZL29rocblas_internal_gemmt_kernelIlLi16ELi32ELi8ELc78ELc78ELc85ELb0ELb0EfPKfPKS1_PKPfEviT_T9_T10_S7_lS9_S7_lS8_T11_S7_li,comdat
.Lfunc_end432:
	.size	_ZL29rocblas_internal_gemmt_kernelIlLi16ELi32ELi8ELc78ELc78ELc85ELb0ELb0EfPKfPKS1_PKPfEviT_T9_T10_S7_lS9_S7_lS8_T11_S7_li, .Lfunc_end432-_ZL29rocblas_internal_gemmt_kernelIlLi16ELi32ELi8ELc78ELc78ELc85ELb0ELb0EfPKfPKS1_PKPfEviT_T9_T10_S7_lS9_S7_lS8_T11_S7_li
                                        ; -- End function
	.set _ZL29rocblas_internal_gemmt_kernelIlLi16ELi32ELi8ELc78ELc78ELc85ELb0ELb0EfPKfPKS1_PKPfEviT_T9_T10_S7_lS9_S7_lS8_T11_S7_li.num_vgpr, 46
	.set _ZL29rocblas_internal_gemmt_kernelIlLi16ELi32ELi8ELc78ELc78ELc85ELb0ELb0EfPKfPKS1_PKPfEviT_T9_T10_S7_lS9_S7_lS8_T11_S7_li.num_agpr, 0
	.set _ZL29rocblas_internal_gemmt_kernelIlLi16ELi32ELi8ELc78ELc78ELc85ELb0ELb0EfPKfPKS1_PKPfEviT_T9_T10_S7_lS9_S7_lS8_T11_S7_li.numbered_sgpr, 44
	.set _ZL29rocblas_internal_gemmt_kernelIlLi16ELi32ELi8ELc78ELc78ELc85ELb0ELb0EfPKfPKS1_PKPfEviT_T9_T10_S7_lS9_S7_lS8_T11_S7_li.num_named_barrier, 0
	.set _ZL29rocblas_internal_gemmt_kernelIlLi16ELi32ELi8ELc78ELc78ELc85ELb0ELb0EfPKfPKS1_PKPfEviT_T9_T10_S7_lS9_S7_lS8_T11_S7_li.private_seg_size, 0
	.set _ZL29rocblas_internal_gemmt_kernelIlLi16ELi32ELi8ELc78ELc78ELc85ELb0ELb0EfPKfPKS1_PKPfEviT_T9_T10_S7_lS9_S7_lS8_T11_S7_li.uses_vcc, 1
	.set _ZL29rocblas_internal_gemmt_kernelIlLi16ELi32ELi8ELc78ELc78ELc85ELb0ELb0EfPKfPKS1_PKPfEviT_T9_T10_S7_lS9_S7_lS8_T11_S7_li.uses_flat_scratch, 0
	.set _ZL29rocblas_internal_gemmt_kernelIlLi16ELi32ELi8ELc78ELc78ELc85ELb0ELb0EfPKfPKS1_PKPfEviT_T9_T10_S7_lS9_S7_lS8_T11_S7_li.has_dyn_sized_stack, 0
	.set _ZL29rocblas_internal_gemmt_kernelIlLi16ELi32ELi8ELc78ELc78ELc85ELb0ELb0EfPKfPKS1_PKPfEviT_T9_T10_S7_lS9_S7_lS8_T11_S7_li.has_recursion, 0
	.set _ZL29rocblas_internal_gemmt_kernelIlLi16ELi32ELi8ELc78ELc78ELc85ELb0ELb0EfPKfPKS1_PKPfEviT_T9_T10_S7_lS9_S7_lS8_T11_S7_li.has_indirect_call, 0
	.section	.AMDGPU.csdata,"",@progbits
; Kernel info:
; codeLenInByte = 1436
; TotalNumSgprs: 46
; NumVgprs: 46
; ScratchSize: 0
; MemoryBound: 0
; FloatMode: 240
; IeeeMode: 1
; LDSByteSize: 2048 bytes/workgroup (compile time only)
; SGPRBlocks: 0
; VGPRBlocks: 5
; NumSGPRsForWavesPerEU: 46
; NumVGPRsForWavesPerEU: 46
; Occupancy: 16
; WaveLimiterHint : 1
; COMPUTE_PGM_RSRC2:SCRATCH_EN: 0
; COMPUTE_PGM_RSRC2:USER_SGPR: 6
; COMPUTE_PGM_RSRC2:TRAP_HANDLER: 0
; COMPUTE_PGM_RSRC2:TGID_X_EN: 1
; COMPUTE_PGM_RSRC2:TGID_Y_EN: 1
; COMPUTE_PGM_RSRC2:TGID_Z_EN: 1
; COMPUTE_PGM_RSRC2:TIDIG_COMP_CNT: 1
	.section	.text._ZL29rocblas_internal_gemmt_kernelIlLi16ELi32ELi8ELc78ELc84ELc85ELb0ELb0EfPKfPKS1_PKPfEviT_T9_T10_S7_lS9_S7_lS8_T11_S7_li,"axG",@progbits,_ZL29rocblas_internal_gemmt_kernelIlLi16ELi32ELi8ELc78ELc84ELc85ELb0ELb0EfPKfPKS1_PKPfEviT_T9_T10_S7_lS9_S7_lS8_T11_S7_li,comdat
	.globl	_ZL29rocblas_internal_gemmt_kernelIlLi16ELi32ELi8ELc78ELc84ELc85ELb0ELb0EfPKfPKS1_PKPfEviT_T9_T10_S7_lS9_S7_lS8_T11_S7_li ; -- Begin function _ZL29rocblas_internal_gemmt_kernelIlLi16ELi32ELi8ELc78ELc84ELc85ELb0ELb0EfPKfPKS1_PKPfEviT_T9_T10_S7_lS9_S7_lS8_T11_S7_li
	.p2align	8
	.type	_ZL29rocblas_internal_gemmt_kernelIlLi16ELi32ELi8ELc78ELc84ELc85ELb0ELb0EfPKfPKS1_PKPfEviT_T9_T10_S7_lS9_S7_lS8_T11_S7_li,@function
_ZL29rocblas_internal_gemmt_kernelIlLi16ELi32ELi8ELc78ELc84ELc85ELb0ELb0EfPKfPKS1_PKPfEviT_T9_T10_S7_lS9_S7_lS8_T11_S7_li: ; @_ZL29rocblas_internal_gemmt_kernelIlLi16ELi32ELi8ELc78ELc84ELc85ELb0ELb0EfPKfPKS1_PKPfEviT_T9_T10_S7_lS9_S7_lS8_T11_S7_li
; %bb.0:
	s_clause 0x1
	s_load_dwordx8 s[36:43], s[4:5], 0x48
	s_load_dwordx16 s[12:27], s[4:5], 0x8
	s_waitcnt lgkmcnt(0)
	s_load_dword s10, s[36:37], 0x0
	s_load_dword s11, s[14:15], 0x0
	s_waitcnt lgkmcnt(0)
	v_cmp_neq_f32_e64 s0, s10, 1.0
	s_and_b32 vcc_lo, exec_lo, s0
	s_cbranch_vccnz .LBB433_2
; %bb.1:
	v_cmp_neq_f32_e64 s0, s11, 0
	s_cmp_lg_u64 s[12:13], 0
	s_cselect_b32 s1, -1, 0
	s_and_b32 s0, s1, s0
.LBB433_2:
	s_andn2_b32 vcc_lo, exec_lo, s0
	s_cbranch_vccnz .LBB433_28
; %bb.3:
	s_mov_b32 s9, 0
	v_mov_b32_e32 v8, 0
	s_lshl_b64 s[0:1], s[8:9], 3
	v_mov_b32_e32 v4, 0
	s_add_u32 s2, s38, s0
	s_addc_u32 s3, s39, s1
	s_load_dword s8, s[4:5], 0x0
	s_load_dwordx2 s[2:3], s[2:3], 0x0
	v_cmp_lt_i64_e64 s4, s[12:13], 1
	v_cmp_eq_f32_e64 s5, s11, 0
	v_mov_b32_e32 v7, 0
	v_mov_b32_e32 v6, 0
	s_lshl_b32 s6, s6, 5
	s_lshl_b32 s7, s7, 5
	s_or_b32 s4, s5, s4
	s_and_b32 vcc_lo, exec_lo, s4
	s_cbranch_vccnz .LBB433_12
; %bb.4:
	s_add_u32 s4, s22, s0
	s_addc_u32 s5, s23, s1
	s_lshl_b64 s[14:15], s[26:27], 2
	s_load_dwordx2 s[4:5], s[4:5], 0x0
	v_lshl_add_u32 v2, v1, 4, v0
	v_and_b32_e32 v5, 7, v0
	v_lshlrev_b32_e32 v9, 2, v0
	v_lshl_add_u32 v10, v1, 5, 0x400
	v_mov_b32_e32 v3, 0
	v_lshrrev_b32_e32 v8, 3, v2
	v_and_b32_e32 v12, 31, v2
	v_lshlrev_b32_e32 v16, 2, v5
	v_lshrrev_b32_e32 v11, 5, v2
	v_mov_b32_e32 v6, 0
	v_add_nc_u32_e32 v13, s7, v8
	v_or_b32_e32 v15, s6, v12
	v_lshl_or_b32 v8, v8, 5, v16
	v_lshlrev_b32_e32 v2, 2, v12
	v_mov_b32_e32 v7, 0
	v_ashrrev_i32_e32 v14, 31, v13
	v_ashrrev_i32_e32 v16, 31, v15
	v_mov_b32_e32 v4, 0
	v_lshl_or_b32 v12, v11, 7, v2
	s_waitcnt lgkmcnt(0)
	s_add_u32 s9, s4, s14
	s_addc_u32 s22, s5, s15
	s_add_u32 s0, s16, s0
	s_addc_u32 s1, s17, s1
	v_lshlrev_b64 v[17:18], 2, v[13:14]
	s_load_dwordx2 s[4:5], s[0:1], 0x0
	v_lshlrev_b64 v[19:20], 2, v[15:16]
	s_lshl_b64 s[14:15], s[20:21], 2
	v_cmp_gt_i32_e64 s0, s8, v15
	v_cmp_gt_i32_e64 s1, s8, v13
	v_add_co_u32 v14, vcc_lo, s9, v17
	v_add_co_ci_u32_e64 v15, null, s22, v18, vcc_lo
	v_add_nc_u32_e32 v13, 0x400, v8
	v_mov_b32_e32 v8, 0
	s_waitcnt lgkmcnt(0)
	s_add_u32 s4, s4, s14
	s_addc_u32 s5, s5, s15
	v_add_co_u32 v16, vcc_lo, s4, v19
	v_add_co_ci_u32_e64 v17, null, s5, v20, vcc_lo
	s_mov_b64 s[4:5], 0
	s_branch .LBB433_6
.LBB433_5:                              ;   in Loop: Header=BB433_6 Depth=1
	s_or_b32 exec_lo, exec_lo, s9
	s_waitcnt vmcnt(0) lgkmcnt(0)
	ds_write_b32 v13, v19
	s_waitcnt lgkmcnt(0)
	s_barrier
	buffer_gl0_inv
	ds_read_b128 v[18:21], v10
	ds_read2_b32 v[34:35], v9 offset1:16
	ds_read_b128 v[22:25], v10 offset:512
	ds_read2_b32 v[36:37], v9 offset0:32 offset1:48
	ds_read2_b32 v[38:39], v9 offset0:64 offset1:80
	;; [unrolled: 1-line block ×3, first 2 shown]
	ds_read_b128 v[26:29], v10 offset:16
	ds_read2_b32 v[42:43], v9 offset0:128 offset1:144
	ds_read_b128 v[30:33], v10 offset:528
	ds_read2_b32 v[44:45], v9 offset0:160 offset1:176
	s_add_u32 s4, s4, 8
	s_addc_u32 s5, s5, 0
	v_cmp_gt_i64_e64 s9, s[12:13], s[4:5]
	s_and_b32 vcc_lo, exec_lo, s9
	s_waitcnt lgkmcnt(8)
	v_fmac_f32_e32 v8, v34, v18
	v_fmac_f32_e32 v4, v35, v18
	s_waitcnt lgkmcnt(7)
	v_fmac_f32_e32 v7, v34, v22
	v_fmac_f32_e32 v6, v35, v22
	ds_read2_b32 v[34:35], v9 offset0:192 offset1:208
	s_waitcnt lgkmcnt(7)
	v_fmac_f32_e32 v8, v36, v19
	v_fmac_f32_e32 v4, v37, v19
	;; [unrolled: 1-line block ×4, first 2 shown]
	ds_read2_b32 v[18:19], v9 offset0:224 offset1:240
	s_waitcnt lgkmcnt(7)
	v_fmac_f32_e32 v8, v38, v20
	v_fmac_f32_e32 v4, v39, v20
	;; [unrolled: 1-line block ×4, first 2 shown]
	s_waitcnt lgkmcnt(0)
	v_fmac_f32_e32 v8, v40, v21
	v_fmac_f32_e32 v4, v41, v21
	;; [unrolled: 1-line block ×4, first 2 shown]
	s_barrier
	v_fmac_f32_e32 v8, v42, v26
	v_fmac_f32_e32 v4, v43, v26
	;; [unrolled: 1-line block ×4, first 2 shown]
	buffer_gl0_inv
	v_fmac_f32_e32 v8, v44, v27
	v_fmac_f32_e32 v4, v45, v27
	;; [unrolled: 1-line block ×12, first 2 shown]
	s_cbranch_vccz .LBB433_12
.LBB433_6:                              ; =>This Inner Loop Header: Depth=1
	v_mov_b32_e32 v18, 0
	s_and_saveexec_b32 s9, s0
	s_cbranch_execz .LBB433_10
; %bb.7:                                ;   in Loop: Header=BB433_6 Depth=1
	v_add_nc_u32_e32 v2, s4, v11
	v_mov_b32_e32 v18, 0
	s_mov_b32 s14, exec_lo
	v_cmpx_gt_u64_e64 s[12:13], v[2:3]
	s_cbranch_execz .LBB433_9
; %bb.8:                                ;   in Loop: Header=BB433_6 Depth=1
	v_mad_u64_u32 v[18:19], null, s18, v2, 0
	v_mad_u64_u32 v[19:20], null, s19, v2, v[19:20]
	v_lshlrev_b64 v[18:19], 2, v[18:19]
	v_add_co_u32 v18, vcc_lo, v16, v18
	v_add_co_ci_u32_e64 v19, null, v17, v19, vcc_lo
	flat_load_dword v18, v[18:19]
.LBB433_9:                              ;   in Loop: Header=BB433_6 Depth=1
	s_or_b32 exec_lo, exec_lo, s14
.LBB433_10:                             ;   in Loop: Header=BB433_6 Depth=1
	s_or_b32 exec_lo, exec_lo, s9
	v_add_nc_u32_e32 v2, s4, v5
	v_mov_b32_e32 v19, 0
	s_waitcnt vmcnt(0) lgkmcnt(0)
	ds_write_b32 v12, v18
	v_cmp_gt_u64_e32 vcc_lo, s[12:13], v[2:3]
	s_and_b32 s14, vcc_lo, s1
	s_and_saveexec_b32 s9, s14
	s_cbranch_execz .LBB433_5
; %bb.11:                               ;   in Loop: Header=BB433_6 Depth=1
	v_mad_u64_u32 v[18:19], null, s24, v2, 0
	v_mad_u64_u32 v[19:20], null, s25, v2, v[19:20]
	v_lshlrev_b64 v[18:19], 2, v[18:19]
	v_add_co_u32 v18, vcc_lo, v14, v18
	v_add_co_ci_u32_e64 v19, null, v15, v19, vcc_lo
	flat_load_dword v19, v[18:19]
	s_branch .LBB433_5
.LBB433_12:
	v_add_nc_u32_e32 v10, s7, v1
	v_add_nc_u32_e32 v0, s6, v0
	s_lshl_b64 s[0:1], s[42:43], 2
	v_cmp_neq_f32_e64 s4, s10, 0
	s_waitcnt lgkmcnt(0)
	s_add_u32 s2, s2, s0
	v_ashrrev_i32_e32 v3, 31, v10
	v_mul_lo_u32 v5, s41, v10
	v_mad_u64_u32 v[1:2], null, s40, v10, 0
	s_addc_u32 s3, s3, s1
	v_mul_lo_u32 v3, s40, v3
	v_cmp_gt_i32_e64 s0, s8, v10
	v_cmp_le_i32_e32 vcc_lo, v0, v10
	v_cndmask_b32_e64 v9, 0, 1, s4
	s_and_b32 s5, s0, vcc_lo
	v_add3_u32 v2, v2, v3, v5
	v_lshlrev_b64 v[2:3], 2, v[1:2]
	v_ashrrev_i32_e32 v1, 31, v0
	v_add_co_u32 v5, s1, s2, v2
	v_add_co_ci_u32_e64 v11, null, s3, v3, s1
	s_and_saveexec_b32 s1, s5
	s_cbranch_execz .LBB433_16
; %bb.13:
	v_lshlrev_b64 v[2:3], 2, v[0:1]
	v_mul_f32_e32 v8, s11, v8
	v_add_co_u32 v2, vcc_lo, v5, v2
	v_add_co_ci_u32_e64 v3, null, v11, v3, vcc_lo
	s_andn2_b32 vcc_lo, exec_lo, s4
	s_cbranch_vccnz .LBB433_15
; %bb.14:
	flat_load_dword v12, v[2:3]
	s_waitcnt vmcnt(0) lgkmcnt(0)
	v_fmac_f32_e32 v8, s10, v12
.LBB433_15:
	flat_store_dword v[2:3], v8
.LBB433_16:
	s_or_b32 exec_lo, exec_lo, s1
	v_add_nc_u32_e32 v2, 16, v0
	v_cmp_le_i32_e32 vcc_lo, v2, v10
	v_ashrrev_i32_e32 v3, 31, v2
	s_and_b32 s0, s0, vcc_lo
	s_and_saveexec_b32 s1, s0
	s_cbranch_execz .LBB433_20
; %bb.17:
	v_lshlrev_b64 v[12:13], 2, v[2:3]
	v_mul_f32_e32 v8, s11, v4
	v_cmp_ne_u32_e32 vcc_lo, 1, v9
	v_add_co_u32 v4, s0, v5, v12
	v_add_co_ci_u32_e64 v5, null, v11, v13, s0
	s_cbranch_vccnz .LBB433_19
; %bb.18:
	flat_load_dword v11, v[4:5]
	s_waitcnt vmcnt(0) lgkmcnt(0)
	v_fmac_f32_e32 v8, s10, v11
.LBB433_19:
	flat_store_dword v[4:5], v8
.LBB433_20:
	s_or_b32 exec_lo, exec_lo, s1
	v_add_nc_u32_e32 v8, 16, v10
	v_ashrrev_i32_e32 v10, 31, v8
	v_mul_lo_u32 v11, s41, v8
	v_mad_u64_u32 v[4:5], null, s40, v8, 0
	v_cmp_gt_i32_e64 s0, s8, v8
	v_mul_lo_u32 v10, s40, v10
	v_cmp_le_i32_e32 vcc_lo, v0, v8
	v_add3_u32 v5, v5, v10, v11
	v_lshlrev_b64 v[4:5], 2, v[4:5]
	v_add_co_u32 v4, s1, s2, v4
	v_add_co_ci_u32_e64 v5, null, s3, v5, s1
	s_and_b32 s1, s0, vcc_lo
	s_and_saveexec_b32 s2, s1
	s_cbranch_execz .LBB433_24
; %bb.21:
	v_lshlrev_b64 v[0:1], 2, v[0:1]
	v_cmp_ne_u32_e32 vcc_lo, 1, v9
	v_mul_f32_e32 v7, s11, v7
	v_add_co_u32 v0, s1, v4, v0
	v_add_co_ci_u32_e64 v1, null, v5, v1, s1
	s_cbranch_vccnz .LBB433_23
; %bb.22:
	flat_load_dword v10, v[0:1]
	s_waitcnt vmcnt(0) lgkmcnt(0)
	v_fmac_f32_e32 v7, s10, v10
.LBB433_23:
	flat_store_dword v[0:1], v7
.LBB433_24:
	s_or_b32 exec_lo, exec_lo, s2
	v_cmp_le_i32_e32 vcc_lo, v2, v8
	s_and_b32 s0, s0, vcc_lo
	s_and_saveexec_b32 s1, s0
	s_cbranch_execz .LBB433_28
; %bb.25:
	v_lshlrev_b64 v[0:1], 2, v[2:3]
	v_cmp_ne_u32_e32 vcc_lo, 1, v9
	v_mul_f32_e32 v2, s11, v6
	v_add_co_u32 v0, s0, v4, v0
	v_add_co_ci_u32_e64 v1, null, v5, v1, s0
	s_cbranch_vccnz .LBB433_27
; %bb.26:
	flat_load_dword v3, v[0:1]
	s_waitcnt vmcnt(0) lgkmcnt(0)
	v_fmac_f32_e32 v2, s10, v3
.LBB433_27:
	flat_store_dword v[0:1], v2
.LBB433_28:
	s_endpgm
	.section	.rodata,"a",@progbits
	.p2align	6, 0x0
	.amdhsa_kernel _ZL29rocblas_internal_gemmt_kernelIlLi16ELi32ELi8ELc78ELc84ELc85ELb0ELb0EfPKfPKS1_PKPfEviT_T9_T10_S7_lS9_S7_lS8_T11_S7_li
		.amdhsa_group_segment_fixed_size 2048
		.amdhsa_private_segment_fixed_size 0
		.amdhsa_kernarg_size 108
		.amdhsa_user_sgpr_count 6
		.amdhsa_user_sgpr_private_segment_buffer 1
		.amdhsa_user_sgpr_dispatch_ptr 0
		.amdhsa_user_sgpr_queue_ptr 0
		.amdhsa_user_sgpr_kernarg_segment_ptr 1
		.amdhsa_user_sgpr_dispatch_id 0
		.amdhsa_user_sgpr_flat_scratch_init 0
		.amdhsa_user_sgpr_private_segment_size 0
		.amdhsa_wavefront_size32 1
		.amdhsa_uses_dynamic_stack 0
		.amdhsa_system_sgpr_private_segment_wavefront_offset 0
		.amdhsa_system_sgpr_workgroup_id_x 1
		.amdhsa_system_sgpr_workgroup_id_y 1
		.amdhsa_system_sgpr_workgroup_id_z 1
		.amdhsa_system_sgpr_workgroup_info 0
		.amdhsa_system_vgpr_workitem_id 1
		.amdhsa_next_free_vgpr 46
		.amdhsa_next_free_sgpr 44
		.amdhsa_reserve_vcc 1
		.amdhsa_reserve_flat_scratch 0
		.amdhsa_float_round_mode_32 0
		.amdhsa_float_round_mode_16_64 0
		.amdhsa_float_denorm_mode_32 3
		.amdhsa_float_denorm_mode_16_64 3
		.amdhsa_dx10_clamp 1
		.amdhsa_ieee_mode 1
		.amdhsa_fp16_overflow 0
		.amdhsa_workgroup_processor_mode 1
		.amdhsa_memory_ordered 1
		.amdhsa_forward_progress 1
		.amdhsa_shared_vgpr_count 0
		.amdhsa_exception_fp_ieee_invalid_op 0
		.amdhsa_exception_fp_denorm_src 0
		.amdhsa_exception_fp_ieee_div_zero 0
		.amdhsa_exception_fp_ieee_overflow 0
		.amdhsa_exception_fp_ieee_underflow 0
		.amdhsa_exception_fp_ieee_inexact 0
		.amdhsa_exception_int_div_zero 0
	.end_amdhsa_kernel
	.section	.text._ZL29rocblas_internal_gemmt_kernelIlLi16ELi32ELi8ELc78ELc84ELc85ELb0ELb0EfPKfPKS1_PKPfEviT_T9_T10_S7_lS9_S7_lS8_T11_S7_li,"axG",@progbits,_ZL29rocblas_internal_gemmt_kernelIlLi16ELi32ELi8ELc78ELc84ELc85ELb0ELb0EfPKfPKS1_PKPfEviT_T9_T10_S7_lS9_S7_lS8_T11_S7_li,comdat
.Lfunc_end433:
	.size	_ZL29rocblas_internal_gemmt_kernelIlLi16ELi32ELi8ELc78ELc84ELc85ELb0ELb0EfPKfPKS1_PKPfEviT_T9_T10_S7_lS9_S7_lS8_T11_S7_li, .Lfunc_end433-_ZL29rocblas_internal_gemmt_kernelIlLi16ELi32ELi8ELc78ELc84ELc85ELb0ELb0EfPKfPKS1_PKPfEviT_T9_T10_S7_lS9_S7_lS8_T11_S7_li
                                        ; -- End function
	.set _ZL29rocblas_internal_gemmt_kernelIlLi16ELi32ELi8ELc78ELc84ELc85ELb0ELb0EfPKfPKS1_PKPfEviT_T9_T10_S7_lS9_S7_lS8_T11_S7_li.num_vgpr, 46
	.set _ZL29rocblas_internal_gemmt_kernelIlLi16ELi32ELi8ELc78ELc84ELc85ELb0ELb0EfPKfPKS1_PKPfEviT_T9_T10_S7_lS9_S7_lS8_T11_S7_li.num_agpr, 0
	.set _ZL29rocblas_internal_gemmt_kernelIlLi16ELi32ELi8ELc78ELc84ELc85ELb0ELb0EfPKfPKS1_PKPfEviT_T9_T10_S7_lS9_S7_lS8_T11_S7_li.numbered_sgpr, 44
	.set _ZL29rocblas_internal_gemmt_kernelIlLi16ELi32ELi8ELc78ELc84ELc85ELb0ELb0EfPKfPKS1_PKPfEviT_T9_T10_S7_lS9_S7_lS8_T11_S7_li.num_named_barrier, 0
	.set _ZL29rocblas_internal_gemmt_kernelIlLi16ELi32ELi8ELc78ELc84ELc85ELb0ELb0EfPKfPKS1_PKPfEviT_T9_T10_S7_lS9_S7_lS8_T11_S7_li.private_seg_size, 0
	.set _ZL29rocblas_internal_gemmt_kernelIlLi16ELi32ELi8ELc78ELc84ELc85ELb0ELb0EfPKfPKS1_PKPfEviT_T9_T10_S7_lS9_S7_lS8_T11_S7_li.uses_vcc, 1
	.set _ZL29rocblas_internal_gemmt_kernelIlLi16ELi32ELi8ELc78ELc84ELc85ELb0ELb0EfPKfPKS1_PKPfEviT_T9_T10_S7_lS9_S7_lS8_T11_S7_li.uses_flat_scratch, 0
	.set _ZL29rocblas_internal_gemmt_kernelIlLi16ELi32ELi8ELc78ELc84ELc85ELb0ELb0EfPKfPKS1_PKPfEviT_T9_T10_S7_lS9_S7_lS8_T11_S7_li.has_dyn_sized_stack, 0
	.set _ZL29rocblas_internal_gemmt_kernelIlLi16ELi32ELi8ELc78ELc84ELc85ELb0ELb0EfPKfPKS1_PKPfEviT_T9_T10_S7_lS9_S7_lS8_T11_S7_li.has_recursion, 0
	.set _ZL29rocblas_internal_gemmt_kernelIlLi16ELi32ELi8ELc78ELc84ELc85ELb0ELb0EfPKfPKS1_PKPfEviT_T9_T10_S7_lS9_S7_lS8_T11_S7_li.has_indirect_call, 0
	.section	.AMDGPU.csdata,"",@progbits
; Kernel info:
; codeLenInByte = 1420
; TotalNumSgprs: 46
; NumVgprs: 46
; ScratchSize: 0
; MemoryBound: 0
; FloatMode: 240
; IeeeMode: 1
; LDSByteSize: 2048 bytes/workgroup (compile time only)
; SGPRBlocks: 0
; VGPRBlocks: 5
; NumSGPRsForWavesPerEU: 46
; NumVGPRsForWavesPerEU: 46
; Occupancy: 16
; WaveLimiterHint : 1
; COMPUTE_PGM_RSRC2:SCRATCH_EN: 0
; COMPUTE_PGM_RSRC2:USER_SGPR: 6
; COMPUTE_PGM_RSRC2:TRAP_HANDLER: 0
; COMPUTE_PGM_RSRC2:TGID_X_EN: 1
; COMPUTE_PGM_RSRC2:TGID_Y_EN: 1
; COMPUTE_PGM_RSRC2:TGID_Z_EN: 1
; COMPUTE_PGM_RSRC2:TIDIG_COMP_CNT: 1
	.section	.text._ZL29rocblas_internal_gemmt_kernelIlLi16ELi32ELi8ELc78ELc67ELc85ELb0ELb0EfPKfPKS1_PKPfEviT_T9_T10_S7_lS9_S7_lS8_T11_S7_li,"axG",@progbits,_ZL29rocblas_internal_gemmt_kernelIlLi16ELi32ELi8ELc78ELc67ELc85ELb0ELb0EfPKfPKS1_PKPfEviT_T9_T10_S7_lS9_S7_lS8_T11_S7_li,comdat
	.globl	_ZL29rocblas_internal_gemmt_kernelIlLi16ELi32ELi8ELc78ELc67ELc85ELb0ELb0EfPKfPKS1_PKPfEviT_T9_T10_S7_lS9_S7_lS8_T11_S7_li ; -- Begin function _ZL29rocblas_internal_gemmt_kernelIlLi16ELi32ELi8ELc78ELc67ELc85ELb0ELb0EfPKfPKS1_PKPfEviT_T9_T10_S7_lS9_S7_lS8_T11_S7_li
	.p2align	8
	.type	_ZL29rocblas_internal_gemmt_kernelIlLi16ELi32ELi8ELc78ELc67ELc85ELb0ELb0EfPKfPKS1_PKPfEviT_T9_T10_S7_lS9_S7_lS8_T11_S7_li,@function
_ZL29rocblas_internal_gemmt_kernelIlLi16ELi32ELi8ELc78ELc67ELc85ELb0ELb0EfPKfPKS1_PKPfEviT_T9_T10_S7_lS9_S7_lS8_T11_S7_li: ; @_ZL29rocblas_internal_gemmt_kernelIlLi16ELi32ELi8ELc78ELc67ELc85ELb0ELb0EfPKfPKS1_PKPfEviT_T9_T10_S7_lS9_S7_lS8_T11_S7_li
; %bb.0:
	s_clause 0x1
	s_load_dwordx8 s[36:43], s[4:5], 0x48
	s_load_dwordx16 s[12:27], s[4:5], 0x8
	s_waitcnt lgkmcnt(0)
	s_load_dword s10, s[36:37], 0x0
	s_load_dword s11, s[14:15], 0x0
	s_waitcnt lgkmcnt(0)
	v_cmp_neq_f32_e64 s0, s10, 1.0
	s_and_b32 vcc_lo, exec_lo, s0
	s_cbranch_vccnz .LBB434_2
; %bb.1:
	v_cmp_neq_f32_e64 s0, s11, 0
	s_cmp_lg_u64 s[12:13], 0
	s_cselect_b32 s1, -1, 0
	s_and_b32 s0, s1, s0
.LBB434_2:
	s_andn2_b32 vcc_lo, exec_lo, s0
	s_cbranch_vccnz .LBB434_28
; %bb.3:
	s_mov_b32 s9, 0
	v_mov_b32_e32 v8, 0
	s_lshl_b64 s[0:1], s[8:9], 3
	v_mov_b32_e32 v4, 0
	s_add_u32 s2, s38, s0
	s_addc_u32 s3, s39, s1
	s_load_dword s8, s[4:5], 0x0
	s_load_dwordx2 s[2:3], s[2:3], 0x0
	v_cmp_lt_i64_e64 s4, s[12:13], 1
	v_cmp_eq_f32_e64 s5, s11, 0
	v_mov_b32_e32 v7, 0
	v_mov_b32_e32 v6, 0
	s_lshl_b32 s6, s6, 5
	s_lshl_b32 s7, s7, 5
	s_or_b32 s4, s5, s4
	s_and_b32 vcc_lo, exec_lo, s4
	s_cbranch_vccnz .LBB434_12
; %bb.4:
	s_add_u32 s4, s22, s0
	s_addc_u32 s5, s23, s1
	s_lshl_b64 s[14:15], s[26:27], 2
	s_load_dwordx2 s[4:5], s[4:5], 0x0
	v_lshl_add_u32 v2, v1, 4, v0
	v_and_b32_e32 v5, 7, v0
	v_lshlrev_b32_e32 v9, 2, v0
	v_lshl_add_u32 v10, v1, 5, 0x400
	v_mov_b32_e32 v3, 0
	v_lshrrev_b32_e32 v8, 3, v2
	v_and_b32_e32 v12, 31, v2
	v_lshlrev_b32_e32 v16, 2, v5
	v_lshrrev_b32_e32 v11, 5, v2
	v_mov_b32_e32 v6, 0
	v_add_nc_u32_e32 v13, s7, v8
	v_or_b32_e32 v15, s6, v12
	v_lshl_or_b32 v8, v8, 5, v16
	v_lshlrev_b32_e32 v2, 2, v12
	v_mov_b32_e32 v7, 0
	v_ashrrev_i32_e32 v14, 31, v13
	v_ashrrev_i32_e32 v16, 31, v15
	v_mov_b32_e32 v4, 0
	v_lshl_or_b32 v12, v11, 7, v2
	s_waitcnt lgkmcnt(0)
	s_add_u32 s9, s4, s14
	s_addc_u32 s22, s5, s15
	s_add_u32 s0, s16, s0
	s_addc_u32 s1, s17, s1
	v_lshlrev_b64 v[17:18], 2, v[13:14]
	s_load_dwordx2 s[4:5], s[0:1], 0x0
	v_lshlrev_b64 v[19:20], 2, v[15:16]
	s_lshl_b64 s[14:15], s[20:21], 2
	v_cmp_gt_i32_e64 s0, s8, v15
	v_cmp_gt_i32_e64 s1, s8, v13
	v_add_co_u32 v14, vcc_lo, s9, v17
	v_add_co_ci_u32_e64 v15, null, s22, v18, vcc_lo
	v_add_nc_u32_e32 v13, 0x400, v8
	v_mov_b32_e32 v8, 0
	s_waitcnt lgkmcnt(0)
	s_add_u32 s4, s4, s14
	s_addc_u32 s5, s5, s15
	v_add_co_u32 v16, vcc_lo, s4, v19
	v_add_co_ci_u32_e64 v17, null, s5, v20, vcc_lo
	s_mov_b64 s[4:5], 0
	s_branch .LBB434_6
.LBB434_5:                              ;   in Loop: Header=BB434_6 Depth=1
	s_or_b32 exec_lo, exec_lo, s9
	s_waitcnt vmcnt(0) lgkmcnt(0)
	ds_write_b32 v13, v19
	s_waitcnt lgkmcnt(0)
	s_barrier
	buffer_gl0_inv
	ds_read_b128 v[18:21], v10
	ds_read2_b32 v[34:35], v9 offset1:16
	ds_read_b128 v[22:25], v10 offset:512
	ds_read2_b32 v[36:37], v9 offset0:32 offset1:48
	ds_read2_b32 v[38:39], v9 offset0:64 offset1:80
	;; [unrolled: 1-line block ×3, first 2 shown]
	ds_read_b128 v[26:29], v10 offset:16
	ds_read2_b32 v[42:43], v9 offset0:128 offset1:144
	ds_read_b128 v[30:33], v10 offset:528
	ds_read2_b32 v[44:45], v9 offset0:160 offset1:176
	s_add_u32 s4, s4, 8
	s_addc_u32 s5, s5, 0
	v_cmp_gt_i64_e64 s9, s[12:13], s[4:5]
	s_and_b32 vcc_lo, exec_lo, s9
	s_waitcnt lgkmcnt(8)
	v_fmac_f32_e32 v8, v34, v18
	v_fmac_f32_e32 v4, v35, v18
	s_waitcnt lgkmcnt(7)
	v_fmac_f32_e32 v7, v34, v22
	v_fmac_f32_e32 v6, v35, v22
	ds_read2_b32 v[34:35], v9 offset0:192 offset1:208
	s_waitcnt lgkmcnt(7)
	v_fmac_f32_e32 v8, v36, v19
	v_fmac_f32_e32 v4, v37, v19
	;; [unrolled: 1-line block ×4, first 2 shown]
	ds_read2_b32 v[18:19], v9 offset0:224 offset1:240
	s_waitcnt lgkmcnt(7)
	v_fmac_f32_e32 v8, v38, v20
	v_fmac_f32_e32 v4, v39, v20
	;; [unrolled: 1-line block ×4, first 2 shown]
	s_waitcnt lgkmcnt(0)
	v_fmac_f32_e32 v8, v40, v21
	v_fmac_f32_e32 v4, v41, v21
	;; [unrolled: 1-line block ×4, first 2 shown]
	s_barrier
	v_fmac_f32_e32 v8, v42, v26
	v_fmac_f32_e32 v4, v43, v26
	;; [unrolled: 1-line block ×4, first 2 shown]
	buffer_gl0_inv
	v_fmac_f32_e32 v8, v44, v27
	v_fmac_f32_e32 v4, v45, v27
	v_fmac_f32_e32 v7, v44, v31
	v_fmac_f32_e32 v6, v45, v31
	v_fmac_f32_e32 v8, v34, v28
	v_fmac_f32_e32 v4, v35, v28
	v_fmac_f32_e32 v7, v34, v32
	v_fmac_f32_e32 v6, v35, v32
	v_fmac_f32_e32 v8, v18, v29
	v_fmac_f32_e32 v4, v19, v29
	v_fmac_f32_e32 v7, v18, v33
	v_fmac_f32_e32 v6, v19, v33
	s_cbranch_vccz .LBB434_12
.LBB434_6:                              ; =>This Inner Loop Header: Depth=1
	v_mov_b32_e32 v18, 0
	s_and_saveexec_b32 s9, s0
	s_cbranch_execz .LBB434_10
; %bb.7:                                ;   in Loop: Header=BB434_6 Depth=1
	v_add_nc_u32_e32 v2, s4, v11
	v_mov_b32_e32 v18, 0
	s_mov_b32 s14, exec_lo
	v_cmpx_gt_u64_e64 s[12:13], v[2:3]
	s_cbranch_execz .LBB434_9
; %bb.8:                                ;   in Loop: Header=BB434_6 Depth=1
	v_mad_u64_u32 v[18:19], null, s18, v2, 0
	v_mad_u64_u32 v[19:20], null, s19, v2, v[19:20]
	v_lshlrev_b64 v[18:19], 2, v[18:19]
	v_add_co_u32 v18, vcc_lo, v16, v18
	v_add_co_ci_u32_e64 v19, null, v17, v19, vcc_lo
	flat_load_dword v18, v[18:19]
.LBB434_9:                              ;   in Loop: Header=BB434_6 Depth=1
	s_or_b32 exec_lo, exec_lo, s14
.LBB434_10:                             ;   in Loop: Header=BB434_6 Depth=1
	s_or_b32 exec_lo, exec_lo, s9
	v_add_nc_u32_e32 v2, s4, v5
	v_mov_b32_e32 v19, 0
	s_waitcnt vmcnt(0) lgkmcnt(0)
	ds_write_b32 v12, v18
	v_cmp_gt_u64_e32 vcc_lo, s[12:13], v[2:3]
	s_and_b32 s14, vcc_lo, s1
	s_and_saveexec_b32 s9, s14
	s_cbranch_execz .LBB434_5
; %bb.11:                               ;   in Loop: Header=BB434_6 Depth=1
	v_mad_u64_u32 v[18:19], null, s24, v2, 0
	v_mad_u64_u32 v[19:20], null, s25, v2, v[19:20]
	v_lshlrev_b64 v[18:19], 2, v[18:19]
	v_add_co_u32 v18, vcc_lo, v14, v18
	v_add_co_ci_u32_e64 v19, null, v15, v19, vcc_lo
	flat_load_dword v19, v[18:19]
	s_branch .LBB434_5
.LBB434_12:
	v_add_nc_u32_e32 v10, s7, v1
	v_add_nc_u32_e32 v0, s6, v0
	s_lshl_b64 s[0:1], s[42:43], 2
	v_cmp_neq_f32_e64 s4, s10, 0
	s_waitcnt lgkmcnt(0)
	s_add_u32 s2, s2, s0
	v_ashrrev_i32_e32 v3, 31, v10
	v_mul_lo_u32 v5, s41, v10
	v_mad_u64_u32 v[1:2], null, s40, v10, 0
	s_addc_u32 s3, s3, s1
	v_mul_lo_u32 v3, s40, v3
	v_cmp_gt_i32_e64 s0, s8, v10
	v_cmp_le_i32_e32 vcc_lo, v0, v10
	v_cndmask_b32_e64 v9, 0, 1, s4
	s_and_b32 s5, s0, vcc_lo
	v_add3_u32 v2, v2, v3, v5
	v_lshlrev_b64 v[2:3], 2, v[1:2]
	v_ashrrev_i32_e32 v1, 31, v0
	v_add_co_u32 v5, s1, s2, v2
	v_add_co_ci_u32_e64 v11, null, s3, v3, s1
	s_and_saveexec_b32 s1, s5
	s_cbranch_execz .LBB434_16
; %bb.13:
	v_lshlrev_b64 v[2:3], 2, v[0:1]
	v_mul_f32_e32 v8, s11, v8
	v_add_co_u32 v2, vcc_lo, v5, v2
	v_add_co_ci_u32_e64 v3, null, v11, v3, vcc_lo
	s_andn2_b32 vcc_lo, exec_lo, s4
	s_cbranch_vccnz .LBB434_15
; %bb.14:
	flat_load_dword v12, v[2:3]
	s_waitcnt vmcnt(0) lgkmcnt(0)
	v_fmac_f32_e32 v8, s10, v12
.LBB434_15:
	flat_store_dword v[2:3], v8
.LBB434_16:
	s_or_b32 exec_lo, exec_lo, s1
	v_add_nc_u32_e32 v2, 16, v0
	v_cmp_le_i32_e32 vcc_lo, v2, v10
	v_ashrrev_i32_e32 v3, 31, v2
	s_and_b32 s0, s0, vcc_lo
	s_and_saveexec_b32 s1, s0
	s_cbranch_execz .LBB434_20
; %bb.17:
	v_lshlrev_b64 v[12:13], 2, v[2:3]
	v_mul_f32_e32 v8, s11, v4
	v_cmp_ne_u32_e32 vcc_lo, 1, v9
	v_add_co_u32 v4, s0, v5, v12
	v_add_co_ci_u32_e64 v5, null, v11, v13, s0
	s_cbranch_vccnz .LBB434_19
; %bb.18:
	flat_load_dword v11, v[4:5]
	s_waitcnt vmcnt(0) lgkmcnt(0)
	v_fmac_f32_e32 v8, s10, v11
.LBB434_19:
	flat_store_dword v[4:5], v8
.LBB434_20:
	s_or_b32 exec_lo, exec_lo, s1
	v_add_nc_u32_e32 v8, 16, v10
	v_ashrrev_i32_e32 v10, 31, v8
	v_mul_lo_u32 v11, s41, v8
	v_mad_u64_u32 v[4:5], null, s40, v8, 0
	v_cmp_gt_i32_e64 s0, s8, v8
	v_mul_lo_u32 v10, s40, v10
	v_cmp_le_i32_e32 vcc_lo, v0, v8
	v_add3_u32 v5, v5, v10, v11
	v_lshlrev_b64 v[4:5], 2, v[4:5]
	v_add_co_u32 v4, s1, s2, v4
	v_add_co_ci_u32_e64 v5, null, s3, v5, s1
	s_and_b32 s1, s0, vcc_lo
	s_and_saveexec_b32 s2, s1
	s_cbranch_execz .LBB434_24
; %bb.21:
	v_lshlrev_b64 v[0:1], 2, v[0:1]
	v_cmp_ne_u32_e32 vcc_lo, 1, v9
	v_mul_f32_e32 v7, s11, v7
	v_add_co_u32 v0, s1, v4, v0
	v_add_co_ci_u32_e64 v1, null, v5, v1, s1
	s_cbranch_vccnz .LBB434_23
; %bb.22:
	flat_load_dword v10, v[0:1]
	s_waitcnt vmcnt(0) lgkmcnt(0)
	v_fmac_f32_e32 v7, s10, v10
.LBB434_23:
	flat_store_dword v[0:1], v7
.LBB434_24:
	s_or_b32 exec_lo, exec_lo, s2
	v_cmp_le_i32_e32 vcc_lo, v2, v8
	s_and_b32 s0, s0, vcc_lo
	s_and_saveexec_b32 s1, s0
	s_cbranch_execz .LBB434_28
; %bb.25:
	v_lshlrev_b64 v[0:1], 2, v[2:3]
	v_cmp_ne_u32_e32 vcc_lo, 1, v9
	v_mul_f32_e32 v2, s11, v6
	v_add_co_u32 v0, s0, v4, v0
	v_add_co_ci_u32_e64 v1, null, v5, v1, s0
	s_cbranch_vccnz .LBB434_27
; %bb.26:
	flat_load_dword v3, v[0:1]
	s_waitcnt vmcnt(0) lgkmcnt(0)
	v_fmac_f32_e32 v2, s10, v3
.LBB434_27:
	flat_store_dword v[0:1], v2
.LBB434_28:
	s_endpgm
	.section	.rodata,"a",@progbits
	.p2align	6, 0x0
	.amdhsa_kernel _ZL29rocblas_internal_gemmt_kernelIlLi16ELi32ELi8ELc78ELc67ELc85ELb0ELb0EfPKfPKS1_PKPfEviT_T9_T10_S7_lS9_S7_lS8_T11_S7_li
		.amdhsa_group_segment_fixed_size 2048
		.amdhsa_private_segment_fixed_size 0
		.amdhsa_kernarg_size 108
		.amdhsa_user_sgpr_count 6
		.amdhsa_user_sgpr_private_segment_buffer 1
		.amdhsa_user_sgpr_dispatch_ptr 0
		.amdhsa_user_sgpr_queue_ptr 0
		.amdhsa_user_sgpr_kernarg_segment_ptr 1
		.amdhsa_user_sgpr_dispatch_id 0
		.amdhsa_user_sgpr_flat_scratch_init 0
		.amdhsa_user_sgpr_private_segment_size 0
		.amdhsa_wavefront_size32 1
		.amdhsa_uses_dynamic_stack 0
		.amdhsa_system_sgpr_private_segment_wavefront_offset 0
		.amdhsa_system_sgpr_workgroup_id_x 1
		.amdhsa_system_sgpr_workgroup_id_y 1
		.amdhsa_system_sgpr_workgroup_id_z 1
		.amdhsa_system_sgpr_workgroup_info 0
		.amdhsa_system_vgpr_workitem_id 1
		.amdhsa_next_free_vgpr 46
		.amdhsa_next_free_sgpr 44
		.amdhsa_reserve_vcc 1
		.amdhsa_reserve_flat_scratch 0
		.amdhsa_float_round_mode_32 0
		.amdhsa_float_round_mode_16_64 0
		.amdhsa_float_denorm_mode_32 3
		.amdhsa_float_denorm_mode_16_64 3
		.amdhsa_dx10_clamp 1
		.amdhsa_ieee_mode 1
		.amdhsa_fp16_overflow 0
		.amdhsa_workgroup_processor_mode 1
		.amdhsa_memory_ordered 1
		.amdhsa_forward_progress 1
		.amdhsa_shared_vgpr_count 0
		.amdhsa_exception_fp_ieee_invalid_op 0
		.amdhsa_exception_fp_denorm_src 0
		.amdhsa_exception_fp_ieee_div_zero 0
		.amdhsa_exception_fp_ieee_overflow 0
		.amdhsa_exception_fp_ieee_underflow 0
		.amdhsa_exception_fp_ieee_inexact 0
		.amdhsa_exception_int_div_zero 0
	.end_amdhsa_kernel
	.section	.text._ZL29rocblas_internal_gemmt_kernelIlLi16ELi32ELi8ELc78ELc67ELc85ELb0ELb0EfPKfPKS1_PKPfEviT_T9_T10_S7_lS9_S7_lS8_T11_S7_li,"axG",@progbits,_ZL29rocblas_internal_gemmt_kernelIlLi16ELi32ELi8ELc78ELc67ELc85ELb0ELb0EfPKfPKS1_PKPfEviT_T9_T10_S7_lS9_S7_lS8_T11_S7_li,comdat
.Lfunc_end434:
	.size	_ZL29rocblas_internal_gemmt_kernelIlLi16ELi32ELi8ELc78ELc67ELc85ELb0ELb0EfPKfPKS1_PKPfEviT_T9_T10_S7_lS9_S7_lS8_T11_S7_li, .Lfunc_end434-_ZL29rocblas_internal_gemmt_kernelIlLi16ELi32ELi8ELc78ELc67ELc85ELb0ELb0EfPKfPKS1_PKPfEviT_T9_T10_S7_lS9_S7_lS8_T11_S7_li
                                        ; -- End function
	.set _ZL29rocblas_internal_gemmt_kernelIlLi16ELi32ELi8ELc78ELc67ELc85ELb0ELb0EfPKfPKS1_PKPfEviT_T9_T10_S7_lS9_S7_lS8_T11_S7_li.num_vgpr, 46
	.set _ZL29rocblas_internal_gemmt_kernelIlLi16ELi32ELi8ELc78ELc67ELc85ELb0ELb0EfPKfPKS1_PKPfEviT_T9_T10_S7_lS9_S7_lS8_T11_S7_li.num_agpr, 0
	.set _ZL29rocblas_internal_gemmt_kernelIlLi16ELi32ELi8ELc78ELc67ELc85ELb0ELb0EfPKfPKS1_PKPfEviT_T9_T10_S7_lS9_S7_lS8_T11_S7_li.numbered_sgpr, 44
	.set _ZL29rocblas_internal_gemmt_kernelIlLi16ELi32ELi8ELc78ELc67ELc85ELb0ELb0EfPKfPKS1_PKPfEviT_T9_T10_S7_lS9_S7_lS8_T11_S7_li.num_named_barrier, 0
	.set _ZL29rocblas_internal_gemmt_kernelIlLi16ELi32ELi8ELc78ELc67ELc85ELb0ELb0EfPKfPKS1_PKPfEviT_T9_T10_S7_lS9_S7_lS8_T11_S7_li.private_seg_size, 0
	.set _ZL29rocblas_internal_gemmt_kernelIlLi16ELi32ELi8ELc78ELc67ELc85ELb0ELb0EfPKfPKS1_PKPfEviT_T9_T10_S7_lS9_S7_lS8_T11_S7_li.uses_vcc, 1
	.set _ZL29rocblas_internal_gemmt_kernelIlLi16ELi32ELi8ELc78ELc67ELc85ELb0ELb0EfPKfPKS1_PKPfEviT_T9_T10_S7_lS9_S7_lS8_T11_S7_li.uses_flat_scratch, 0
	.set _ZL29rocblas_internal_gemmt_kernelIlLi16ELi32ELi8ELc78ELc67ELc85ELb0ELb0EfPKfPKS1_PKPfEviT_T9_T10_S7_lS9_S7_lS8_T11_S7_li.has_dyn_sized_stack, 0
	.set _ZL29rocblas_internal_gemmt_kernelIlLi16ELi32ELi8ELc78ELc67ELc85ELb0ELb0EfPKfPKS1_PKPfEviT_T9_T10_S7_lS9_S7_lS8_T11_S7_li.has_recursion, 0
	.set _ZL29rocblas_internal_gemmt_kernelIlLi16ELi32ELi8ELc78ELc67ELc85ELb0ELb0EfPKfPKS1_PKPfEviT_T9_T10_S7_lS9_S7_lS8_T11_S7_li.has_indirect_call, 0
	.section	.AMDGPU.csdata,"",@progbits
; Kernel info:
; codeLenInByte = 1420
; TotalNumSgprs: 46
; NumVgprs: 46
; ScratchSize: 0
; MemoryBound: 0
; FloatMode: 240
; IeeeMode: 1
; LDSByteSize: 2048 bytes/workgroup (compile time only)
; SGPRBlocks: 0
; VGPRBlocks: 5
; NumSGPRsForWavesPerEU: 46
; NumVGPRsForWavesPerEU: 46
; Occupancy: 16
; WaveLimiterHint : 1
; COMPUTE_PGM_RSRC2:SCRATCH_EN: 0
; COMPUTE_PGM_RSRC2:USER_SGPR: 6
; COMPUTE_PGM_RSRC2:TRAP_HANDLER: 0
; COMPUTE_PGM_RSRC2:TGID_X_EN: 1
; COMPUTE_PGM_RSRC2:TGID_Y_EN: 1
; COMPUTE_PGM_RSRC2:TGID_Z_EN: 1
; COMPUTE_PGM_RSRC2:TIDIG_COMP_CNT: 1
	.section	.text._ZL29rocblas_internal_gemmt_kernelIlLi16ELi32ELi8ELc84ELc78ELc85ELb0ELb0EfPKfPKS1_PKPfEviT_T9_T10_S7_lS9_S7_lS8_T11_S7_li,"axG",@progbits,_ZL29rocblas_internal_gemmt_kernelIlLi16ELi32ELi8ELc84ELc78ELc85ELb0ELb0EfPKfPKS1_PKPfEviT_T9_T10_S7_lS9_S7_lS8_T11_S7_li,comdat
	.globl	_ZL29rocblas_internal_gemmt_kernelIlLi16ELi32ELi8ELc84ELc78ELc85ELb0ELb0EfPKfPKS1_PKPfEviT_T9_T10_S7_lS9_S7_lS8_T11_S7_li ; -- Begin function _ZL29rocblas_internal_gemmt_kernelIlLi16ELi32ELi8ELc84ELc78ELc85ELb0ELb0EfPKfPKS1_PKPfEviT_T9_T10_S7_lS9_S7_lS8_T11_S7_li
	.p2align	8
	.type	_ZL29rocblas_internal_gemmt_kernelIlLi16ELi32ELi8ELc84ELc78ELc85ELb0ELb0EfPKfPKS1_PKPfEviT_T9_T10_S7_lS9_S7_lS8_T11_S7_li,@function
_ZL29rocblas_internal_gemmt_kernelIlLi16ELi32ELi8ELc84ELc78ELc85ELb0ELb0EfPKfPKS1_PKPfEviT_T9_T10_S7_lS9_S7_lS8_T11_S7_li: ; @_ZL29rocblas_internal_gemmt_kernelIlLi16ELi32ELi8ELc84ELc78ELc85ELb0ELb0EfPKfPKS1_PKPfEviT_T9_T10_S7_lS9_S7_lS8_T11_S7_li
; %bb.0:
	s_clause 0x1
	s_load_dwordx8 s[36:43], s[4:5], 0x48
	s_load_dwordx16 s[12:27], s[4:5], 0x8
	s_waitcnt lgkmcnt(0)
	s_load_dword s10, s[36:37], 0x0
	s_load_dword s11, s[14:15], 0x0
	s_waitcnt lgkmcnt(0)
	v_cmp_neq_f32_e64 s0, s10, 1.0
	s_and_b32 vcc_lo, exec_lo, s0
	s_cbranch_vccnz .LBB435_2
; %bb.1:
	v_cmp_neq_f32_e64 s0, s11, 0
	s_cmp_lg_u64 s[12:13], 0
	s_cselect_b32 s1, -1, 0
	s_and_b32 s0, s1, s0
.LBB435_2:
	s_andn2_b32 vcc_lo, exec_lo, s0
	s_cbranch_vccnz .LBB435_28
; %bb.3:
	s_mov_b32 s9, 0
	v_mov_b32_e32 v8, 0
	s_lshl_b64 s[0:1], s[8:9], 3
	v_mov_b32_e32 v4, 0
	s_add_u32 s2, s38, s0
	s_addc_u32 s3, s39, s1
	s_load_dword s8, s[4:5], 0x0
	s_load_dwordx2 s[2:3], s[2:3], 0x0
	v_cmp_lt_i64_e64 s4, s[12:13], 1
	v_cmp_eq_f32_e64 s5, s11, 0
	v_mov_b32_e32 v7, 0
	v_mov_b32_e32 v6, 0
	s_lshl_b32 s6, s6, 5
	s_lshl_b32 s7, s7, 5
	s_or_b32 s4, s5, s4
	s_and_b32 vcc_lo, exec_lo, s4
	s_cbranch_vccnz .LBB435_12
; %bb.4:
	s_add_u32 s4, s22, s0
	s_addc_u32 s5, s23, s1
	s_lshl_b64 s[14:15], s[26:27], 2
	s_load_dwordx2 s[4:5], s[4:5], 0x0
	v_lshl_add_u32 v2, v1, 4, v0
	v_and_b32_e32 v5, 7, v0
	v_lshlrev_b32_e32 v9, 2, v0
	v_lshl_add_u32 v10, v1, 5, 0x400
	v_mov_b32_e32 v3, 0
	v_lshrrev_b32_e32 v8, 3, v2
	v_and_b32_e32 v14, 31, v2
	v_mov_b32_e32 v6, 0
	v_mov_b32_e32 v7, 0
	;; [unrolled: 1-line block ×3, first 2 shown]
	v_add_nc_u32_e32 v18, s7, v8
	v_or_b32_e32 v16, s6, v14
	v_lshlrev_b32_e32 v20, 2, v14
	v_ashrrev_i32_e32 v11, 31, v18
	v_mul_lo_u32 v17, s25, v18
	v_mad_u64_u32 v[12:13], null, s24, v18, 0
	s_waitcnt lgkmcnt(0)
	s_add_u32 s9, s4, s14
	s_addc_u32 s14, s5, s15
	s_add_u32 s0, s16, s0
	s_addc_u32 s1, s17, s1
	v_mul_lo_u32 v19, s24, v11
	s_load_dwordx2 s[0:1], s[0:1], 0x0
	v_mul_lo_u32 v21, s19, v16
	v_mad_u64_u32 v[14:15], null, s18, v16, 0
	s_lshl_b64 s[4:5], s[20:21], 2
	v_lshrrev_b32_e32 v11, 5, v2
	v_lshlrev_b32_e32 v2, 2, v5
	v_add3_u32 v13, v13, v19, v17
	v_lshl_or_b32 v2, v8, 5, v2
	v_mov_b32_e32 v8, 0
	s_waitcnt lgkmcnt(0)
	s_add_u32 s4, s0, s4
	s_addc_u32 s5, s1, s5
	s_ashr_i32 s0, s6, 31
	s_mul_i32 s1, s18, s0
	v_cmp_gt_i32_e64 s0, s8, v16
	v_add3_u32 v15, v15, s1, v21
	v_lshlrev_b64 v[16:17], 2, v[12:13]
	v_cmp_gt_i32_e64 s1, s8, v18
	v_lshl_or_b32 v12, v11, 7, v20
	v_add_nc_u32_e32 v13, 0x400, v2
	v_lshlrev_b64 v[18:19], 2, v[14:15]
	v_add_co_u32 v14, vcc_lo, s9, v16
	v_add_co_ci_u32_e64 v15, null, s14, v17, vcc_lo
	v_add_co_u32 v16, vcc_lo, s4, v18
	v_add_co_ci_u32_e64 v17, null, s5, v19, vcc_lo
	s_mov_b64 s[4:5], 0
	s_branch .LBB435_6
.LBB435_5:                              ;   in Loop: Header=BB435_6 Depth=1
	s_or_b32 exec_lo, exec_lo, s9
	s_waitcnt vmcnt(0) lgkmcnt(0)
	ds_write_b32 v13, v19
	s_waitcnt lgkmcnt(0)
	s_barrier
	buffer_gl0_inv
	ds_read_b128 v[18:21], v10
	ds_read2_b32 v[34:35], v9 offset1:16
	ds_read_b128 v[22:25], v10 offset:512
	ds_read2_b32 v[36:37], v9 offset0:32 offset1:48
	ds_read2_b32 v[38:39], v9 offset0:64 offset1:80
	;; [unrolled: 1-line block ×3, first 2 shown]
	ds_read_b128 v[26:29], v10 offset:16
	ds_read2_b32 v[42:43], v9 offset0:128 offset1:144
	ds_read_b128 v[30:33], v10 offset:528
	ds_read2_b32 v[44:45], v9 offset0:160 offset1:176
	s_add_u32 s4, s4, 8
	s_addc_u32 s5, s5, 0
	v_cmp_gt_i64_e64 s9, s[12:13], s[4:5]
	s_and_b32 vcc_lo, exec_lo, s9
	s_waitcnt lgkmcnt(8)
	v_fmac_f32_e32 v8, v34, v18
	v_fmac_f32_e32 v4, v35, v18
	s_waitcnt lgkmcnt(7)
	v_fmac_f32_e32 v7, v34, v22
	v_fmac_f32_e32 v6, v35, v22
	ds_read2_b32 v[34:35], v9 offset0:192 offset1:208
	s_waitcnt lgkmcnt(7)
	v_fmac_f32_e32 v8, v36, v19
	v_fmac_f32_e32 v4, v37, v19
	;; [unrolled: 1-line block ×4, first 2 shown]
	ds_read2_b32 v[18:19], v9 offset0:224 offset1:240
	s_waitcnt lgkmcnt(7)
	v_fmac_f32_e32 v8, v38, v20
	v_fmac_f32_e32 v4, v39, v20
	;; [unrolled: 1-line block ×4, first 2 shown]
	s_waitcnt lgkmcnt(0)
	v_fmac_f32_e32 v8, v40, v21
	v_fmac_f32_e32 v4, v41, v21
	;; [unrolled: 1-line block ×4, first 2 shown]
	s_barrier
	v_fmac_f32_e32 v8, v42, v26
	v_fmac_f32_e32 v4, v43, v26
	;; [unrolled: 1-line block ×4, first 2 shown]
	buffer_gl0_inv
	v_fmac_f32_e32 v8, v44, v27
	v_fmac_f32_e32 v4, v45, v27
	;; [unrolled: 1-line block ×12, first 2 shown]
	s_cbranch_vccz .LBB435_12
.LBB435_6:                              ; =>This Inner Loop Header: Depth=1
	v_mov_b32_e32 v18, 0
	s_and_saveexec_b32 s9, s0
	s_cbranch_execz .LBB435_10
; %bb.7:                                ;   in Loop: Header=BB435_6 Depth=1
	v_add_nc_u32_e32 v2, s4, v11
	v_mov_b32_e32 v18, 0
	s_mov_b32 s14, exec_lo
	v_cmpx_gt_u64_e64 s[12:13], v[2:3]
	s_cbranch_execz .LBB435_9
; %bb.8:                                ;   in Loop: Header=BB435_6 Depth=1
	v_lshlrev_b64 v[18:19], 2, v[2:3]
	v_add_co_u32 v18, vcc_lo, v16, v18
	v_add_co_ci_u32_e64 v19, null, v17, v19, vcc_lo
	flat_load_dword v18, v[18:19]
.LBB435_9:                              ;   in Loop: Header=BB435_6 Depth=1
	s_or_b32 exec_lo, exec_lo, s14
.LBB435_10:                             ;   in Loop: Header=BB435_6 Depth=1
	s_or_b32 exec_lo, exec_lo, s9
	v_add_nc_u32_e32 v2, s4, v5
	v_mov_b32_e32 v19, 0
	s_waitcnt vmcnt(0) lgkmcnt(0)
	ds_write_b32 v12, v18
	v_cmp_gt_u64_e32 vcc_lo, s[12:13], v[2:3]
	s_and_b32 s14, vcc_lo, s1
	s_and_saveexec_b32 s9, s14
	s_cbranch_execz .LBB435_5
; %bb.11:                               ;   in Loop: Header=BB435_6 Depth=1
	v_lshlrev_b64 v[18:19], 2, v[2:3]
	v_add_co_u32 v18, vcc_lo, v14, v18
	v_add_co_ci_u32_e64 v19, null, v15, v19, vcc_lo
	flat_load_dword v19, v[18:19]
	s_branch .LBB435_5
.LBB435_12:
	v_add_nc_u32_e32 v10, s7, v1
	v_add_nc_u32_e32 v0, s6, v0
	s_lshl_b64 s[0:1], s[42:43], 2
	v_cmp_neq_f32_e64 s4, s10, 0
	s_waitcnt lgkmcnt(0)
	s_add_u32 s2, s2, s0
	v_ashrrev_i32_e32 v3, 31, v10
	v_mul_lo_u32 v5, s41, v10
	v_mad_u64_u32 v[1:2], null, s40, v10, 0
	s_addc_u32 s3, s3, s1
	v_mul_lo_u32 v3, s40, v3
	v_cmp_gt_i32_e64 s0, s8, v10
	v_cmp_le_i32_e32 vcc_lo, v0, v10
	v_cndmask_b32_e64 v9, 0, 1, s4
	s_and_b32 s5, s0, vcc_lo
	v_add3_u32 v2, v2, v3, v5
	v_lshlrev_b64 v[2:3], 2, v[1:2]
	v_ashrrev_i32_e32 v1, 31, v0
	v_add_co_u32 v5, s1, s2, v2
	v_add_co_ci_u32_e64 v11, null, s3, v3, s1
	s_and_saveexec_b32 s1, s5
	s_cbranch_execz .LBB435_16
; %bb.13:
	v_lshlrev_b64 v[2:3], 2, v[0:1]
	v_mul_f32_e32 v8, s11, v8
	v_add_co_u32 v2, vcc_lo, v5, v2
	v_add_co_ci_u32_e64 v3, null, v11, v3, vcc_lo
	s_andn2_b32 vcc_lo, exec_lo, s4
	s_cbranch_vccnz .LBB435_15
; %bb.14:
	flat_load_dword v12, v[2:3]
	s_waitcnt vmcnt(0) lgkmcnt(0)
	v_fmac_f32_e32 v8, s10, v12
.LBB435_15:
	flat_store_dword v[2:3], v8
.LBB435_16:
	s_or_b32 exec_lo, exec_lo, s1
	v_add_nc_u32_e32 v2, 16, v0
	v_cmp_le_i32_e32 vcc_lo, v2, v10
	v_ashrrev_i32_e32 v3, 31, v2
	s_and_b32 s0, s0, vcc_lo
	s_and_saveexec_b32 s1, s0
	s_cbranch_execz .LBB435_20
; %bb.17:
	v_lshlrev_b64 v[12:13], 2, v[2:3]
	v_mul_f32_e32 v8, s11, v4
	v_cmp_ne_u32_e32 vcc_lo, 1, v9
	v_add_co_u32 v4, s0, v5, v12
	v_add_co_ci_u32_e64 v5, null, v11, v13, s0
	s_cbranch_vccnz .LBB435_19
; %bb.18:
	flat_load_dword v11, v[4:5]
	s_waitcnt vmcnt(0) lgkmcnt(0)
	v_fmac_f32_e32 v8, s10, v11
.LBB435_19:
	flat_store_dword v[4:5], v8
.LBB435_20:
	s_or_b32 exec_lo, exec_lo, s1
	v_add_nc_u32_e32 v8, 16, v10
	v_ashrrev_i32_e32 v10, 31, v8
	v_mul_lo_u32 v11, s41, v8
	v_mad_u64_u32 v[4:5], null, s40, v8, 0
	v_cmp_gt_i32_e64 s0, s8, v8
	v_mul_lo_u32 v10, s40, v10
	v_cmp_le_i32_e32 vcc_lo, v0, v8
	v_add3_u32 v5, v5, v10, v11
	v_lshlrev_b64 v[4:5], 2, v[4:5]
	v_add_co_u32 v4, s1, s2, v4
	v_add_co_ci_u32_e64 v5, null, s3, v5, s1
	s_and_b32 s1, s0, vcc_lo
	s_and_saveexec_b32 s2, s1
	s_cbranch_execz .LBB435_24
; %bb.21:
	v_lshlrev_b64 v[0:1], 2, v[0:1]
	v_cmp_ne_u32_e32 vcc_lo, 1, v9
	v_mul_f32_e32 v7, s11, v7
	v_add_co_u32 v0, s1, v4, v0
	v_add_co_ci_u32_e64 v1, null, v5, v1, s1
	s_cbranch_vccnz .LBB435_23
; %bb.22:
	flat_load_dword v10, v[0:1]
	s_waitcnt vmcnt(0) lgkmcnt(0)
	v_fmac_f32_e32 v7, s10, v10
.LBB435_23:
	flat_store_dword v[0:1], v7
.LBB435_24:
	s_or_b32 exec_lo, exec_lo, s2
	v_cmp_le_i32_e32 vcc_lo, v2, v8
	s_and_b32 s0, s0, vcc_lo
	s_and_saveexec_b32 s1, s0
	s_cbranch_execz .LBB435_28
; %bb.25:
	v_lshlrev_b64 v[0:1], 2, v[2:3]
	v_cmp_ne_u32_e32 vcc_lo, 1, v9
	v_mul_f32_e32 v2, s11, v6
	v_add_co_u32 v0, s0, v4, v0
	v_add_co_ci_u32_e64 v1, null, v5, v1, s0
	s_cbranch_vccnz .LBB435_27
; %bb.26:
	flat_load_dword v3, v[0:1]
	s_waitcnt vmcnt(0) lgkmcnt(0)
	v_fmac_f32_e32 v2, s10, v3
.LBB435_27:
	flat_store_dword v[0:1], v2
.LBB435_28:
	s_endpgm
	.section	.rodata,"a",@progbits
	.p2align	6, 0x0
	.amdhsa_kernel _ZL29rocblas_internal_gemmt_kernelIlLi16ELi32ELi8ELc84ELc78ELc85ELb0ELb0EfPKfPKS1_PKPfEviT_T9_T10_S7_lS9_S7_lS8_T11_S7_li
		.amdhsa_group_segment_fixed_size 2048
		.amdhsa_private_segment_fixed_size 0
		.amdhsa_kernarg_size 108
		.amdhsa_user_sgpr_count 6
		.amdhsa_user_sgpr_private_segment_buffer 1
		.amdhsa_user_sgpr_dispatch_ptr 0
		.amdhsa_user_sgpr_queue_ptr 0
		.amdhsa_user_sgpr_kernarg_segment_ptr 1
		.amdhsa_user_sgpr_dispatch_id 0
		.amdhsa_user_sgpr_flat_scratch_init 0
		.amdhsa_user_sgpr_private_segment_size 0
		.amdhsa_wavefront_size32 1
		.amdhsa_uses_dynamic_stack 0
		.amdhsa_system_sgpr_private_segment_wavefront_offset 0
		.amdhsa_system_sgpr_workgroup_id_x 1
		.amdhsa_system_sgpr_workgroup_id_y 1
		.amdhsa_system_sgpr_workgroup_id_z 1
		.amdhsa_system_sgpr_workgroup_info 0
		.amdhsa_system_vgpr_workitem_id 1
		.amdhsa_next_free_vgpr 46
		.amdhsa_next_free_sgpr 44
		.amdhsa_reserve_vcc 1
		.amdhsa_reserve_flat_scratch 0
		.amdhsa_float_round_mode_32 0
		.amdhsa_float_round_mode_16_64 0
		.amdhsa_float_denorm_mode_32 3
		.amdhsa_float_denorm_mode_16_64 3
		.amdhsa_dx10_clamp 1
		.amdhsa_ieee_mode 1
		.amdhsa_fp16_overflow 0
		.amdhsa_workgroup_processor_mode 1
		.amdhsa_memory_ordered 1
		.amdhsa_forward_progress 1
		.amdhsa_shared_vgpr_count 0
		.amdhsa_exception_fp_ieee_invalid_op 0
		.amdhsa_exception_fp_denorm_src 0
		.amdhsa_exception_fp_ieee_div_zero 0
		.amdhsa_exception_fp_ieee_overflow 0
		.amdhsa_exception_fp_ieee_underflow 0
		.amdhsa_exception_fp_ieee_inexact 0
		.amdhsa_exception_int_div_zero 0
	.end_amdhsa_kernel
	.section	.text._ZL29rocblas_internal_gemmt_kernelIlLi16ELi32ELi8ELc84ELc78ELc85ELb0ELb0EfPKfPKS1_PKPfEviT_T9_T10_S7_lS9_S7_lS8_T11_S7_li,"axG",@progbits,_ZL29rocblas_internal_gemmt_kernelIlLi16ELi32ELi8ELc84ELc78ELc85ELb0ELb0EfPKfPKS1_PKPfEviT_T9_T10_S7_lS9_S7_lS8_T11_S7_li,comdat
.Lfunc_end435:
	.size	_ZL29rocblas_internal_gemmt_kernelIlLi16ELi32ELi8ELc84ELc78ELc85ELb0ELb0EfPKfPKS1_PKPfEviT_T9_T10_S7_lS9_S7_lS8_T11_S7_li, .Lfunc_end435-_ZL29rocblas_internal_gemmt_kernelIlLi16ELi32ELi8ELc84ELc78ELc85ELb0ELb0EfPKfPKS1_PKPfEviT_T9_T10_S7_lS9_S7_lS8_T11_S7_li
                                        ; -- End function
	.set _ZL29rocblas_internal_gemmt_kernelIlLi16ELi32ELi8ELc84ELc78ELc85ELb0ELb0EfPKfPKS1_PKPfEviT_T9_T10_S7_lS9_S7_lS8_T11_S7_li.num_vgpr, 46
	.set _ZL29rocblas_internal_gemmt_kernelIlLi16ELi32ELi8ELc84ELc78ELc85ELb0ELb0EfPKfPKS1_PKPfEviT_T9_T10_S7_lS9_S7_lS8_T11_S7_li.num_agpr, 0
	.set _ZL29rocblas_internal_gemmt_kernelIlLi16ELi32ELi8ELc84ELc78ELc85ELb0ELb0EfPKfPKS1_PKPfEviT_T9_T10_S7_lS9_S7_lS8_T11_S7_li.numbered_sgpr, 44
	.set _ZL29rocblas_internal_gemmt_kernelIlLi16ELi32ELi8ELc84ELc78ELc85ELb0ELb0EfPKfPKS1_PKPfEviT_T9_T10_S7_lS9_S7_lS8_T11_S7_li.num_named_barrier, 0
	.set _ZL29rocblas_internal_gemmt_kernelIlLi16ELi32ELi8ELc84ELc78ELc85ELb0ELb0EfPKfPKS1_PKPfEviT_T9_T10_S7_lS9_S7_lS8_T11_S7_li.private_seg_size, 0
	.set _ZL29rocblas_internal_gemmt_kernelIlLi16ELi32ELi8ELc84ELc78ELc85ELb0ELb0EfPKfPKS1_PKPfEviT_T9_T10_S7_lS9_S7_lS8_T11_S7_li.uses_vcc, 1
	.set _ZL29rocblas_internal_gemmt_kernelIlLi16ELi32ELi8ELc84ELc78ELc85ELb0ELb0EfPKfPKS1_PKPfEviT_T9_T10_S7_lS9_S7_lS8_T11_S7_li.uses_flat_scratch, 0
	.set _ZL29rocblas_internal_gemmt_kernelIlLi16ELi32ELi8ELc84ELc78ELc85ELb0ELb0EfPKfPKS1_PKPfEviT_T9_T10_S7_lS9_S7_lS8_T11_S7_li.has_dyn_sized_stack, 0
	.set _ZL29rocblas_internal_gemmt_kernelIlLi16ELi32ELi8ELc84ELc78ELc85ELb0ELb0EfPKfPKS1_PKPfEviT_T9_T10_S7_lS9_S7_lS8_T11_S7_li.has_recursion, 0
	.set _ZL29rocblas_internal_gemmt_kernelIlLi16ELi32ELi8ELc84ELc78ELc85ELb0ELb0EfPKfPKS1_PKPfEviT_T9_T10_S7_lS9_S7_lS8_T11_S7_li.has_indirect_call, 0
	.section	.AMDGPU.csdata,"",@progbits
; Kernel info:
; codeLenInByte = 1448
; TotalNumSgprs: 46
; NumVgprs: 46
; ScratchSize: 0
; MemoryBound: 0
; FloatMode: 240
; IeeeMode: 1
; LDSByteSize: 2048 bytes/workgroup (compile time only)
; SGPRBlocks: 0
; VGPRBlocks: 5
; NumSGPRsForWavesPerEU: 46
; NumVGPRsForWavesPerEU: 46
; Occupancy: 16
; WaveLimiterHint : 1
; COMPUTE_PGM_RSRC2:SCRATCH_EN: 0
; COMPUTE_PGM_RSRC2:USER_SGPR: 6
; COMPUTE_PGM_RSRC2:TRAP_HANDLER: 0
; COMPUTE_PGM_RSRC2:TGID_X_EN: 1
; COMPUTE_PGM_RSRC2:TGID_Y_EN: 1
; COMPUTE_PGM_RSRC2:TGID_Z_EN: 1
; COMPUTE_PGM_RSRC2:TIDIG_COMP_CNT: 1
	.section	.text._ZL29rocblas_internal_gemmt_kernelIlLi16ELi32ELi8ELc84ELc84ELc85ELb0ELb0EfPKfPKS1_PKPfEviT_T9_T10_S7_lS9_S7_lS8_T11_S7_li,"axG",@progbits,_ZL29rocblas_internal_gemmt_kernelIlLi16ELi32ELi8ELc84ELc84ELc85ELb0ELb0EfPKfPKS1_PKPfEviT_T9_T10_S7_lS9_S7_lS8_T11_S7_li,comdat
	.globl	_ZL29rocblas_internal_gemmt_kernelIlLi16ELi32ELi8ELc84ELc84ELc85ELb0ELb0EfPKfPKS1_PKPfEviT_T9_T10_S7_lS9_S7_lS8_T11_S7_li ; -- Begin function _ZL29rocblas_internal_gemmt_kernelIlLi16ELi32ELi8ELc84ELc84ELc85ELb0ELb0EfPKfPKS1_PKPfEviT_T9_T10_S7_lS9_S7_lS8_T11_S7_li
	.p2align	8
	.type	_ZL29rocblas_internal_gemmt_kernelIlLi16ELi32ELi8ELc84ELc84ELc85ELb0ELb0EfPKfPKS1_PKPfEviT_T9_T10_S7_lS9_S7_lS8_T11_S7_li,@function
_ZL29rocblas_internal_gemmt_kernelIlLi16ELi32ELi8ELc84ELc84ELc85ELb0ELb0EfPKfPKS1_PKPfEviT_T9_T10_S7_lS9_S7_lS8_T11_S7_li: ; @_ZL29rocblas_internal_gemmt_kernelIlLi16ELi32ELi8ELc84ELc84ELc85ELb0ELb0EfPKfPKS1_PKPfEviT_T9_T10_S7_lS9_S7_lS8_T11_S7_li
; %bb.0:
	s_clause 0x1
	s_load_dwordx8 s[36:43], s[4:5], 0x48
	s_load_dwordx16 s[12:27], s[4:5], 0x8
	s_waitcnt lgkmcnt(0)
	s_load_dword s10, s[36:37], 0x0
	s_load_dword s11, s[14:15], 0x0
	s_waitcnt lgkmcnt(0)
	v_cmp_neq_f32_e64 s0, s10, 1.0
	s_and_b32 vcc_lo, exec_lo, s0
	s_cbranch_vccnz .LBB436_2
; %bb.1:
	v_cmp_neq_f32_e64 s0, s11, 0
	s_cmp_lg_u64 s[12:13], 0
	s_cselect_b32 s1, -1, 0
	s_and_b32 s0, s1, s0
.LBB436_2:
	s_andn2_b32 vcc_lo, exec_lo, s0
	s_cbranch_vccnz .LBB436_28
; %bb.3:
	s_mov_b32 s9, 0
	v_mov_b32_e32 v5, 0
	s_lshl_b64 s[0:1], s[8:9], 3
	v_mov_b32_e32 v4, 0
	s_add_u32 s2, s38, s0
	s_addc_u32 s3, s39, s1
	s_load_dword s8, s[4:5], 0x0
	s_load_dwordx2 s[2:3], s[2:3], 0x0
	v_cmp_lt_i64_e64 s4, s[12:13], 1
	v_cmp_eq_f32_e64 s5, s11, 0
	v_mov_b32_e32 v7, 0
	v_mov_b32_e32 v6, 0
	s_lshl_b32 s6, s6, 5
	s_lshl_b32 s7, s7, 5
	s_or_b32 s4, s5, s4
	s_and_b32 vcc_lo, exec_lo, s4
	s_cbranch_vccnz .LBB436_12
; %bb.4:
	s_add_u32 s4, s22, s0
	s_addc_u32 s5, s23, s1
	s_lshl_b64 s[14:15], s[26:27], 2
	s_load_dwordx2 s[4:5], s[4:5], 0x0
	v_lshl_add_u32 v2, v1, 4, v0
	v_and_b32_e32 v8, 7, v0
	v_lshlrev_b32_e32 v9, 2, v0
	v_lshl_add_u32 v10, v1, 5, 0x400
	v_mov_b32_e32 v3, 0
	v_and_b32_e32 v5, 31, v2
	v_lshrrev_b32_e32 v12, 3, v2
	v_lshrrev_b32_e32 v11, 5, v2
	v_lshlrev_b32_e32 v2, 2, v8
	v_mov_b32_e32 v6, 0
	v_or_b32_e32 v17, s6, v5
	v_add_nc_u32_e32 v13, s7, v12
	v_lshlrev_b32_e32 v5, 2, v5
	v_lshl_or_b32 v2, v12, 5, v2
	v_mov_b32_e32 v7, 0
	v_mul_lo_u32 v18, s19, v17
	v_mad_u64_u32 v[15:16], null, s18, v17, 0
	v_ashrrev_i32_e32 v14, 31, v13
	s_waitcnt lgkmcnt(0)
	s_add_u32 s9, s4, s14
	s_addc_u32 s14, s5, s15
	s_add_u32 s0, s16, s0
	s_addc_u32 s1, s17, s1
	s_lshl_b64 s[4:5], s[20:21], 2
	s_load_dwordx2 s[0:1], s[0:1], 0x0
	v_mov_b32_e32 v4, 0
	v_lshl_or_b32 v12, v11, 7, v5
	v_mov_b32_e32 v5, 0
	s_waitcnt lgkmcnt(0)
	s_add_u32 s4, s0, s4
	s_addc_u32 s5, s1, s5
	s_ashr_i32 s0, s6, 31
	s_mul_i32 s1, s18, s0
	v_cmp_gt_i32_e64 s0, s8, v17
	v_add3_u32 v16, v16, s1, v18
	v_lshlrev_b64 v[17:18], 2, v[13:14]
	v_cmp_gt_i32_e64 s1, s8, v13
	v_add_nc_u32_e32 v13, 0x400, v2
	v_lshlrev_b64 v[19:20], 2, v[15:16]
	v_add_co_u32 v14, vcc_lo, s9, v17
	v_add_co_ci_u32_e64 v15, null, s14, v18, vcc_lo
	v_add_co_u32 v16, vcc_lo, s4, v19
	v_add_co_ci_u32_e64 v17, null, s5, v20, vcc_lo
	s_mov_b64 s[4:5], 0
	s_branch .LBB436_6
.LBB436_5:                              ;   in Loop: Header=BB436_6 Depth=1
	s_or_b32 exec_lo, exec_lo, s9
	s_waitcnt vmcnt(0) lgkmcnt(0)
	ds_write_b32 v13, v19
	s_waitcnt lgkmcnt(0)
	s_barrier
	buffer_gl0_inv
	ds_read_b128 v[18:21], v10
	ds_read2_b32 v[34:35], v9 offset1:16
	ds_read_b128 v[22:25], v10 offset:512
	ds_read2_b32 v[36:37], v9 offset0:32 offset1:48
	ds_read2_b32 v[38:39], v9 offset0:64 offset1:80
	;; [unrolled: 1-line block ×3, first 2 shown]
	ds_read_b128 v[26:29], v10 offset:16
	ds_read2_b32 v[42:43], v9 offset0:128 offset1:144
	ds_read_b128 v[30:33], v10 offset:528
	ds_read2_b32 v[44:45], v9 offset0:160 offset1:176
	s_add_u32 s4, s4, 8
	s_addc_u32 s5, s5, 0
	v_cmp_gt_i64_e64 s9, s[12:13], s[4:5]
	s_and_b32 vcc_lo, exec_lo, s9
	s_waitcnt lgkmcnt(8)
	v_fmac_f32_e32 v5, v34, v18
	v_fmac_f32_e32 v4, v35, v18
	s_waitcnt lgkmcnt(7)
	v_fmac_f32_e32 v7, v34, v22
	v_fmac_f32_e32 v6, v35, v22
	ds_read2_b32 v[34:35], v9 offset0:192 offset1:208
	s_waitcnt lgkmcnt(7)
	v_fmac_f32_e32 v5, v36, v19
	v_fmac_f32_e32 v4, v37, v19
	;; [unrolled: 1-line block ×4, first 2 shown]
	ds_read2_b32 v[18:19], v9 offset0:224 offset1:240
	s_waitcnt lgkmcnt(7)
	v_fmac_f32_e32 v5, v38, v20
	v_fmac_f32_e32 v4, v39, v20
	;; [unrolled: 1-line block ×4, first 2 shown]
	s_waitcnt lgkmcnt(0)
	v_fmac_f32_e32 v5, v40, v21
	v_fmac_f32_e32 v4, v41, v21
	;; [unrolled: 1-line block ×4, first 2 shown]
	s_barrier
	v_fmac_f32_e32 v5, v42, v26
	v_fmac_f32_e32 v4, v43, v26
	;; [unrolled: 1-line block ×4, first 2 shown]
	buffer_gl0_inv
	v_fmac_f32_e32 v5, v44, v27
	v_fmac_f32_e32 v4, v45, v27
	;; [unrolled: 1-line block ×12, first 2 shown]
	s_cbranch_vccz .LBB436_12
.LBB436_6:                              ; =>This Inner Loop Header: Depth=1
	v_mov_b32_e32 v18, 0
	s_and_saveexec_b32 s9, s0
	s_cbranch_execz .LBB436_10
; %bb.7:                                ;   in Loop: Header=BB436_6 Depth=1
	v_add_nc_u32_e32 v2, s4, v11
	v_mov_b32_e32 v18, 0
	s_mov_b32 s14, exec_lo
	v_cmpx_gt_u64_e64 s[12:13], v[2:3]
	s_cbranch_execz .LBB436_9
; %bb.8:                                ;   in Loop: Header=BB436_6 Depth=1
	v_lshlrev_b64 v[18:19], 2, v[2:3]
	v_add_co_u32 v18, vcc_lo, v16, v18
	v_add_co_ci_u32_e64 v19, null, v17, v19, vcc_lo
	flat_load_dword v18, v[18:19]
.LBB436_9:                              ;   in Loop: Header=BB436_6 Depth=1
	s_or_b32 exec_lo, exec_lo, s14
.LBB436_10:                             ;   in Loop: Header=BB436_6 Depth=1
	s_or_b32 exec_lo, exec_lo, s9
	v_add_nc_u32_e32 v2, s4, v8
	v_mov_b32_e32 v19, 0
	s_waitcnt vmcnt(0) lgkmcnt(0)
	ds_write_b32 v12, v18
	v_cmp_gt_u64_e32 vcc_lo, s[12:13], v[2:3]
	s_and_b32 s14, vcc_lo, s1
	s_and_saveexec_b32 s9, s14
	s_cbranch_execz .LBB436_5
; %bb.11:                               ;   in Loop: Header=BB436_6 Depth=1
	v_mad_u64_u32 v[18:19], null, s24, v2, 0
	v_mad_u64_u32 v[19:20], null, s25, v2, v[19:20]
	v_lshlrev_b64 v[18:19], 2, v[18:19]
	v_add_co_u32 v18, vcc_lo, v14, v18
	v_add_co_ci_u32_e64 v19, null, v15, v19, vcc_lo
	flat_load_dword v19, v[18:19]
	s_branch .LBB436_5
.LBB436_12:
	v_add_nc_u32_e32 v9, s7, v1
	v_add_nc_u32_e32 v0, s6, v0
	s_lshl_b64 s[0:1], s[42:43], 2
	v_cmp_neq_f32_e64 s4, s10, 0
	s_waitcnt lgkmcnt(0)
	s_add_u32 s2, s2, s0
	v_ashrrev_i32_e32 v3, 31, v9
	v_mul_lo_u32 v8, s41, v9
	v_mad_u64_u32 v[1:2], null, s40, v9, 0
	s_addc_u32 s3, s3, s1
	v_mul_lo_u32 v3, s40, v3
	v_cmp_gt_i32_e64 s0, s8, v9
	v_cmp_le_i32_e32 vcc_lo, v0, v9
	s_and_b32 s5, s0, vcc_lo
	v_add3_u32 v2, v2, v3, v8
	v_cndmask_b32_e64 v8, 0, 1, s4
	v_lshlrev_b64 v[2:3], 2, v[1:2]
	v_ashrrev_i32_e32 v1, 31, v0
	v_add_co_u32 v10, s1, s2, v2
	v_add_co_ci_u32_e64 v11, null, s3, v3, s1
	s_and_saveexec_b32 s1, s5
	s_cbranch_execz .LBB436_16
; %bb.13:
	v_lshlrev_b64 v[2:3], 2, v[0:1]
	v_mul_f32_e32 v5, s11, v5
	v_add_co_u32 v2, vcc_lo, v10, v2
	v_add_co_ci_u32_e64 v3, null, v11, v3, vcc_lo
	s_andn2_b32 vcc_lo, exec_lo, s4
	s_cbranch_vccnz .LBB436_15
; %bb.14:
	flat_load_dword v12, v[2:3]
	s_waitcnt vmcnt(0) lgkmcnt(0)
	v_fmac_f32_e32 v5, s10, v12
.LBB436_15:
	flat_store_dword v[2:3], v5
.LBB436_16:
	s_or_b32 exec_lo, exec_lo, s1
	v_add_nc_u32_e32 v2, 16, v0
	v_cmp_le_i32_e32 vcc_lo, v2, v9
	v_ashrrev_i32_e32 v3, 31, v2
	s_and_b32 s0, s0, vcc_lo
	s_and_saveexec_b32 s1, s0
	s_cbranch_execz .LBB436_20
; %bb.17:
	v_lshlrev_b64 v[13:14], 2, v[2:3]
	v_mul_f32_e32 v12, s11, v4
	v_cmp_ne_u32_e32 vcc_lo, 1, v8
	v_add_co_u32 v4, s0, v10, v13
	v_add_co_ci_u32_e64 v5, null, v11, v14, s0
	s_cbranch_vccnz .LBB436_19
; %bb.18:
	flat_load_dword v10, v[4:5]
	s_waitcnt vmcnt(0) lgkmcnt(0)
	v_fmac_f32_e32 v12, s10, v10
.LBB436_19:
	flat_store_dword v[4:5], v12
.LBB436_20:
	s_or_b32 exec_lo, exec_lo, s1
	v_add_nc_u32_e32 v9, 16, v9
	v_ashrrev_i32_e32 v10, 31, v9
	v_mul_lo_u32 v11, s41, v9
	v_mad_u64_u32 v[4:5], null, s40, v9, 0
	v_cmp_gt_i32_e64 s0, s8, v9
	v_mul_lo_u32 v10, s40, v10
	v_cmp_le_i32_e32 vcc_lo, v0, v9
	v_add3_u32 v5, v5, v10, v11
	v_lshlrev_b64 v[4:5], 2, v[4:5]
	v_add_co_u32 v4, s1, s2, v4
	v_add_co_ci_u32_e64 v5, null, s3, v5, s1
	s_and_b32 s1, s0, vcc_lo
	s_and_saveexec_b32 s2, s1
	s_cbranch_execz .LBB436_24
; %bb.21:
	v_lshlrev_b64 v[0:1], 2, v[0:1]
	v_cmp_ne_u32_e32 vcc_lo, 1, v8
	v_mul_f32_e32 v7, s11, v7
	v_add_co_u32 v0, s1, v4, v0
	v_add_co_ci_u32_e64 v1, null, v5, v1, s1
	s_cbranch_vccnz .LBB436_23
; %bb.22:
	flat_load_dword v10, v[0:1]
	s_waitcnt vmcnt(0) lgkmcnt(0)
	v_fmac_f32_e32 v7, s10, v10
.LBB436_23:
	flat_store_dword v[0:1], v7
.LBB436_24:
	s_or_b32 exec_lo, exec_lo, s2
	v_cmp_le_i32_e32 vcc_lo, v2, v9
	s_and_b32 s0, s0, vcc_lo
	s_and_saveexec_b32 s1, s0
	s_cbranch_execz .LBB436_28
; %bb.25:
	v_lshlrev_b64 v[0:1], 2, v[2:3]
	v_cmp_ne_u32_e32 vcc_lo, 1, v8
	v_mul_f32_e32 v2, s11, v6
	v_add_co_u32 v0, s0, v4, v0
	v_add_co_ci_u32_e64 v1, null, v5, v1, s0
	s_cbranch_vccnz .LBB436_27
; %bb.26:
	flat_load_dword v3, v[0:1]
	s_waitcnt vmcnt(0) lgkmcnt(0)
	v_fmac_f32_e32 v2, s10, v3
.LBB436_27:
	flat_store_dword v[0:1], v2
.LBB436_28:
	s_endpgm
	.section	.rodata,"a",@progbits
	.p2align	6, 0x0
	.amdhsa_kernel _ZL29rocblas_internal_gemmt_kernelIlLi16ELi32ELi8ELc84ELc84ELc85ELb0ELb0EfPKfPKS1_PKPfEviT_T9_T10_S7_lS9_S7_lS8_T11_S7_li
		.amdhsa_group_segment_fixed_size 2048
		.amdhsa_private_segment_fixed_size 0
		.amdhsa_kernarg_size 108
		.amdhsa_user_sgpr_count 6
		.amdhsa_user_sgpr_private_segment_buffer 1
		.amdhsa_user_sgpr_dispatch_ptr 0
		.amdhsa_user_sgpr_queue_ptr 0
		.amdhsa_user_sgpr_kernarg_segment_ptr 1
		.amdhsa_user_sgpr_dispatch_id 0
		.amdhsa_user_sgpr_flat_scratch_init 0
		.amdhsa_user_sgpr_private_segment_size 0
		.amdhsa_wavefront_size32 1
		.amdhsa_uses_dynamic_stack 0
		.amdhsa_system_sgpr_private_segment_wavefront_offset 0
		.amdhsa_system_sgpr_workgroup_id_x 1
		.amdhsa_system_sgpr_workgroup_id_y 1
		.amdhsa_system_sgpr_workgroup_id_z 1
		.amdhsa_system_sgpr_workgroup_info 0
		.amdhsa_system_vgpr_workitem_id 1
		.amdhsa_next_free_vgpr 46
		.amdhsa_next_free_sgpr 44
		.amdhsa_reserve_vcc 1
		.amdhsa_reserve_flat_scratch 0
		.amdhsa_float_round_mode_32 0
		.amdhsa_float_round_mode_16_64 0
		.amdhsa_float_denorm_mode_32 3
		.amdhsa_float_denorm_mode_16_64 3
		.amdhsa_dx10_clamp 1
		.amdhsa_ieee_mode 1
		.amdhsa_fp16_overflow 0
		.amdhsa_workgroup_processor_mode 1
		.amdhsa_memory_ordered 1
		.amdhsa_forward_progress 1
		.amdhsa_shared_vgpr_count 0
		.amdhsa_exception_fp_ieee_invalid_op 0
		.amdhsa_exception_fp_denorm_src 0
		.amdhsa_exception_fp_ieee_div_zero 0
		.amdhsa_exception_fp_ieee_overflow 0
		.amdhsa_exception_fp_ieee_underflow 0
		.amdhsa_exception_fp_ieee_inexact 0
		.amdhsa_exception_int_div_zero 0
	.end_amdhsa_kernel
	.section	.text._ZL29rocblas_internal_gemmt_kernelIlLi16ELi32ELi8ELc84ELc84ELc85ELb0ELb0EfPKfPKS1_PKPfEviT_T9_T10_S7_lS9_S7_lS8_T11_S7_li,"axG",@progbits,_ZL29rocblas_internal_gemmt_kernelIlLi16ELi32ELi8ELc84ELc84ELc85ELb0ELb0EfPKfPKS1_PKPfEviT_T9_T10_S7_lS9_S7_lS8_T11_S7_li,comdat
.Lfunc_end436:
	.size	_ZL29rocblas_internal_gemmt_kernelIlLi16ELi32ELi8ELc84ELc84ELc85ELb0ELb0EfPKfPKS1_PKPfEviT_T9_T10_S7_lS9_S7_lS8_T11_S7_li, .Lfunc_end436-_ZL29rocblas_internal_gemmt_kernelIlLi16ELi32ELi8ELc84ELc84ELc85ELb0ELb0EfPKfPKS1_PKPfEviT_T9_T10_S7_lS9_S7_lS8_T11_S7_li
                                        ; -- End function
	.set _ZL29rocblas_internal_gemmt_kernelIlLi16ELi32ELi8ELc84ELc84ELc85ELb0ELb0EfPKfPKS1_PKPfEviT_T9_T10_S7_lS9_S7_lS8_T11_S7_li.num_vgpr, 46
	.set _ZL29rocblas_internal_gemmt_kernelIlLi16ELi32ELi8ELc84ELc84ELc85ELb0ELb0EfPKfPKS1_PKPfEviT_T9_T10_S7_lS9_S7_lS8_T11_S7_li.num_agpr, 0
	.set _ZL29rocblas_internal_gemmt_kernelIlLi16ELi32ELi8ELc84ELc84ELc85ELb0ELb0EfPKfPKS1_PKPfEviT_T9_T10_S7_lS9_S7_lS8_T11_S7_li.numbered_sgpr, 44
	.set _ZL29rocblas_internal_gemmt_kernelIlLi16ELi32ELi8ELc84ELc84ELc85ELb0ELb0EfPKfPKS1_PKPfEviT_T9_T10_S7_lS9_S7_lS8_T11_S7_li.num_named_barrier, 0
	.set _ZL29rocblas_internal_gemmt_kernelIlLi16ELi32ELi8ELc84ELc84ELc85ELb0ELb0EfPKfPKS1_PKPfEviT_T9_T10_S7_lS9_S7_lS8_T11_S7_li.private_seg_size, 0
	.set _ZL29rocblas_internal_gemmt_kernelIlLi16ELi32ELi8ELc84ELc84ELc85ELb0ELb0EfPKfPKS1_PKPfEviT_T9_T10_S7_lS9_S7_lS8_T11_S7_li.uses_vcc, 1
	.set _ZL29rocblas_internal_gemmt_kernelIlLi16ELi32ELi8ELc84ELc84ELc85ELb0ELb0EfPKfPKS1_PKPfEviT_T9_T10_S7_lS9_S7_lS8_T11_S7_li.uses_flat_scratch, 0
	.set _ZL29rocblas_internal_gemmt_kernelIlLi16ELi32ELi8ELc84ELc84ELc85ELb0ELb0EfPKfPKS1_PKPfEviT_T9_T10_S7_lS9_S7_lS8_T11_S7_li.has_dyn_sized_stack, 0
	.set _ZL29rocblas_internal_gemmt_kernelIlLi16ELi32ELi8ELc84ELc84ELc85ELb0ELb0EfPKfPKS1_PKPfEviT_T9_T10_S7_lS9_S7_lS8_T11_S7_li.has_recursion, 0
	.set _ZL29rocblas_internal_gemmt_kernelIlLi16ELi32ELi8ELc84ELc84ELc85ELb0ELb0EfPKfPKS1_PKPfEviT_T9_T10_S7_lS9_S7_lS8_T11_S7_li.has_indirect_call, 0
	.section	.AMDGPU.csdata,"",@progbits
; Kernel info:
; codeLenInByte = 1432
; TotalNumSgprs: 46
; NumVgprs: 46
; ScratchSize: 0
; MemoryBound: 0
; FloatMode: 240
; IeeeMode: 1
; LDSByteSize: 2048 bytes/workgroup (compile time only)
; SGPRBlocks: 0
; VGPRBlocks: 5
; NumSGPRsForWavesPerEU: 46
; NumVGPRsForWavesPerEU: 46
; Occupancy: 16
; WaveLimiterHint : 1
; COMPUTE_PGM_RSRC2:SCRATCH_EN: 0
; COMPUTE_PGM_RSRC2:USER_SGPR: 6
; COMPUTE_PGM_RSRC2:TRAP_HANDLER: 0
; COMPUTE_PGM_RSRC2:TGID_X_EN: 1
; COMPUTE_PGM_RSRC2:TGID_Y_EN: 1
; COMPUTE_PGM_RSRC2:TGID_Z_EN: 1
; COMPUTE_PGM_RSRC2:TIDIG_COMP_CNT: 1
	.section	.text._ZL29rocblas_internal_gemmt_kernelIlLi16ELi32ELi8ELc84ELc67ELc85ELb0ELb0EfPKfPKS1_PKPfEviT_T9_T10_S7_lS9_S7_lS8_T11_S7_li,"axG",@progbits,_ZL29rocblas_internal_gemmt_kernelIlLi16ELi32ELi8ELc84ELc67ELc85ELb0ELb0EfPKfPKS1_PKPfEviT_T9_T10_S7_lS9_S7_lS8_T11_S7_li,comdat
	.globl	_ZL29rocblas_internal_gemmt_kernelIlLi16ELi32ELi8ELc84ELc67ELc85ELb0ELb0EfPKfPKS1_PKPfEviT_T9_T10_S7_lS9_S7_lS8_T11_S7_li ; -- Begin function _ZL29rocblas_internal_gemmt_kernelIlLi16ELi32ELi8ELc84ELc67ELc85ELb0ELb0EfPKfPKS1_PKPfEviT_T9_T10_S7_lS9_S7_lS8_T11_S7_li
	.p2align	8
	.type	_ZL29rocblas_internal_gemmt_kernelIlLi16ELi32ELi8ELc84ELc67ELc85ELb0ELb0EfPKfPKS1_PKPfEviT_T9_T10_S7_lS9_S7_lS8_T11_S7_li,@function
_ZL29rocblas_internal_gemmt_kernelIlLi16ELi32ELi8ELc84ELc67ELc85ELb0ELb0EfPKfPKS1_PKPfEviT_T9_T10_S7_lS9_S7_lS8_T11_S7_li: ; @_ZL29rocblas_internal_gemmt_kernelIlLi16ELi32ELi8ELc84ELc67ELc85ELb0ELb0EfPKfPKS1_PKPfEviT_T9_T10_S7_lS9_S7_lS8_T11_S7_li
; %bb.0:
	s_clause 0x1
	s_load_dwordx8 s[36:43], s[4:5], 0x48
	s_load_dwordx16 s[12:27], s[4:5], 0x8
	s_waitcnt lgkmcnt(0)
	s_load_dword s10, s[36:37], 0x0
	s_load_dword s11, s[14:15], 0x0
	s_waitcnt lgkmcnt(0)
	v_cmp_neq_f32_e64 s0, s10, 1.0
	s_and_b32 vcc_lo, exec_lo, s0
	s_cbranch_vccnz .LBB437_2
; %bb.1:
	v_cmp_neq_f32_e64 s0, s11, 0
	s_cmp_lg_u64 s[12:13], 0
	s_cselect_b32 s1, -1, 0
	s_and_b32 s0, s1, s0
.LBB437_2:
	s_andn2_b32 vcc_lo, exec_lo, s0
	s_cbranch_vccnz .LBB437_28
; %bb.3:
	s_mov_b32 s9, 0
	v_mov_b32_e32 v5, 0
	s_lshl_b64 s[0:1], s[8:9], 3
	v_mov_b32_e32 v4, 0
	s_add_u32 s2, s38, s0
	s_addc_u32 s3, s39, s1
	s_load_dword s8, s[4:5], 0x0
	s_load_dwordx2 s[2:3], s[2:3], 0x0
	v_cmp_lt_i64_e64 s4, s[12:13], 1
	v_cmp_eq_f32_e64 s5, s11, 0
	v_mov_b32_e32 v7, 0
	v_mov_b32_e32 v6, 0
	s_lshl_b32 s6, s6, 5
	s_lshl_b32 s7, s7, 5
	s_or_b32 s4, s5, s4
	s_and_b32 vcc_lo, exec_lo, s4
	s_cbranch_vccnz .LBB437_12
; %bb.4:
	s_add_u32 s4, s22, s0
	s_addc_u32 s5, s23, s1
	s_lshl_b64 s[14:15], s[26:27], 2
	s_load_dwordx2 s[4:5], s[4:5], 0x0
	v_lshl_add_u32 v2, v1, 4, v0
	v_and_b32_e32 v8, 7, v0
	v_lshlrev_b32_e32 v9, 2, v0
	v_lshl_add_u32 v10, v1, 5, 0x400
	v_mov_b32_e32 v3, 0
	v_and_b32_e32 v5, 31, v2
	v_lshrrev_b32_e32 v12, 3, v2
	v_lshrrev_b32_e32 v11, 5, v2
	v_lshlrev_b32_e32 v2, 2, v8
	v_mov_b32_e32 v6, 0
	v_or_b32_e32 v17, s6, v5
	v_add_nc_u32_e32 v13, s7, v12
	v_lshlrev_b32_e32 v5, 2, v5
	v_lshl_or_b32 v2, v12, 5, v2
	v_mov_b32_e32 v7, 0
	v_mul_lo_u32 v18, s19, v17
	v_mad_u64_u32 v[15:16], null, s18, v17, 0
	v_ashrrev_i32_e32 v14, 31, v13
	s_waitcnt lgkmcnt(0)
	s_add_u32 s9, s4, s14
	s_addc_u32 s14, s5, s15
	s_add_u32 s0, s16, s0
	s_addc_u32 s1, s17, s1
	s_lshl_b64 s[4:5], s[20:21], 2
	s_load_dwordx2 s[0:1], s[0:1], 0x0
	v_mov_b32_e32 v4, 0
	v_lshl_or_b32 v12, v11, 7, v5
	v_mov_b32_e32 v5, 0
	s_waitcnt lgkmcnt(0)
	s_add_u32 s4, s0, s4
	s_addc_u32 s5, s1, s5
	s_ashr_i32 s0, s6, 31
	s_mul_i32 s1, s18, s0
	v_cmp_gt_i32_e64 s0, s8, v17
	v_add3_u32 v16, v16, s1, v18
	v_lshlrev_b64 v[17:18], 2, v[13:14]
	v_cmp_gt_i32_e64 s1, s8, v13
	v_add_nc_u32_e32 v13, 0x400, v2
	v_lshlrev_b64 v[19:20], 2, v[15:16]
	v_add_co_u32 v14, vcc_lo, s9, v17
	v_add_co_ci_u32_e64 v15, null, s14, v18, vcc_lo
	v_add_co_u32 v16, vcc_lo, s4, v19
	v_add_co_ci_u32_e64 v17, null, s5, v20, vcc_lo
	s_mov_b64 s[4:5], 0
	s_branch .LBB437_6
.LBB437_5:                              ;   in Loop: Header=BB437_6 Depth=1
	s_or_b32 exec_lo, exec_lo, s9
	s_waitcnt vmcnt(0) lgkmcnt(0)
	ds_write_b32 v13, v19
	s_waitcnt lgkmcnt(0)
	s_barrier
	buffer_gl0_inv
	ds_read_b128 v[18:21], v10
	ds_read2_b32 v[34:35], v9 offset1:16
	ds_read_b128 v[22:25], v10 offset:512
	ds_read2_b32 v[36:37], v9 offset0:32 offset1:48
	ds_read2_b32 v[38:39], v9 offset0:64 offset1:80
	;; [unrolled: 1-line block ×3, first 2 shown]
	ds_read_b128 v[26:29], v10 offset:16
	ds_read2_b32 v[42:43], v9 offset0:128 offset1:144
	ds_read_b128 v[30:33], v10 offset:528
	ds_read2_b32 v[44:45], v9 offset0:160 offset1:176
	s_add_u32 s4, s4, 8
	s_addc_u32 s5, s5, 0
	v_cmp_gt_i64_e64 s9, s[12:13], s[4:5]
	s_and_b32 vcc_lo, exec_lo, s9
	s_waitcnt lgkmcnt(8)
	v_fmac_f32_e32 v5, v34, v18
	v_fmac_f32_e32 v4, v35, v18
	s_waitcnt lgkmcnt(7)
	v_fmac_f32_e32 v7, v34, v22
	v_fmac_f32_e32 v6, v35, v22
	ds_read2_b32 v[34:35], v9 offset0:192 offset1:208
	s_waitcnt lgkmcnt(7)
	v_fmac_f32_e32 v5, v36, v19
	v_fmac_f32_e32 v4, v37, v19
	;; [unrolled: 1-line block ×4, first 2 shown]
	ds_read2_b32 v[18:19], v9 offset0:224 offset1:240
	s_waitcnt lgkmcnt(7)
	v_fmac_f32_e32 v5, v38, v20
	v_fmac_f32_e32 v4, v39, v20
	;; [unrolled: 1-line block ×4, first 2 shown]
	s_waitcnt lgkmcnt(0)
	v_fmac_f32_e32 v5, v40, v21
	v_fmac_f32_e32 v4, v41, v21
	;; [unrolled: 1-line block ×4, first 2 shown]
	s_barrier
	v_fmac_f32_e32 v5, v42, v26
	v_fmac_f32_e32 v4, v43, v26
	;; [unrolled: 1-line block ×4, first 2 shown]
	buffer_gl0_inv
	v_fmac_f32_e32 v5, v44, v27
	v_fmac_f32_e32 v4, v45, v27
	;; [unrolled: 1-line block ×12, first 2 shown]
	s_cbranch_vccz .LBB437_12
.LBB437_6:                              ; =>This Inner Loop Header: Depth=1
	v_mov_b32_e32 v18, 0
	s_and_saveexec_b32 s9, s0
	s_cbranch_execz .LBB437_10
; %bb.7:                                ;   in Loop: Header=BB437_6 Depth=1
	v_add_nc_u32_e32 v2, s4, v11
	v_mov_b32_e32 v18, 0
	s_mov_b32 s14, exec_lo
	v_cmpx_gt_u64_e64 s[12:13], v[2:3]
	s_cbranch_execz .LBB437_9
; %bb.8:                                ;   in Loop: Header=BB437_6 Depth=1
	v_lshlrev_b64 v[18:19], 2, v[2:3]
	v_add_co_u32 v18, vcc_lo, v16, v18
	v_add_co_ci_u32_e64 v19, null, v17, v19, vcc_lo
	flat_load_dword v18, v[18:19]
.LBB437_9:                              ;   in Loop: Header=BB437_6 Depth=1
	s_or_b32 exec_lo, exec_lo, s14
.LBB437_10:                             ;   in Loop: Header=BB437_6 Depth=1
	s_or_b32 exec_lo, exec_lo, s9
	v_add_nc_u32_e32 v2, s4, v8
	v_mov_b32_e32 v19, 0
	s_waitcnt vmcnt(0) lgkmcnt(0)
	ds_write_b32 v12, v18
	v_cmp_gt_u64_e32 vcc_lo, s[12:13], v[2:3]
	s_and_b32 s14, vcc_lo, s1
	s_and_saveexec_b32 s9, s14
	s_cbranch_execz .LBB437_5
; %bb.11:                               ;   in Loop: Header=BB437_6 Depth=1
	v_mad_u64_u32 v[18:19], null, s24, v2, 0
	v_mad_u64_u32 v[19:20], null, s25, v2, v[19:20]
	v_lshlrev_b64 v[18:19], 2, v[18:19]
	v_add_co_u32 v18, vcc_lo, v14, v18
	v_add_co_ci_u32_e64 v19, null, v15, v19, vcc_lo
	flat_load_dword v19, v[18:19]
	s_branch .LBB437_5
.LBB437_12:
	v_add_nc_u32_e32 v9, s7, v1
	v_add_nc_u32_e32 v0, s6, v0
	s_lshl_b64 s[0:1], s[42:43], 2
	v_cmp_neq_f32_e64 s4, s10, 0
	s_waitcnt lgkmcnt(0)
	s_add_u32 s2, s2, s0
	v_ashrrev_i32_e32 v3, 31, v9
	v_mul_lo_u32 v8, s41, v9
	v_mad_u64_u32 v[1:2], null, s40, v9, 0
	s_addc_u32 s3, s3, s1
	v_mul_lo_u32 v3, s40, v3
	v_cmp_gt_i32_e64 s0, s8, v9
	v_cmp_le_i32_e32 vcc_lo, v0, v9
	s_and_b32 s5, s0, vcc_lo
	v_add3_u32 v2, v2, v3, v8
	v_cndmask_b32_e64 v8, 0, 1, s4
	v_lshlrev_b64 v[2:3], 2, v[1:2]
	v_ashrrev_i32_e32 v1, 31, v0
	v_add_co_u32 v10, s1, s2, v2
	v_add_co_ci_u32_e64 v11, null, s3, v3, s1
	s_and_saveexec_b32 s1, s5
	s_cbranch_execz .LBB437_16
; %bb.13:
	v_lshlrev_b64 v[2:3], 2, v[0:1]
	v_mul_f32_e32 v5, s11, v5
	v_add_co_u32 v2, vcc_lo, v10, v2
	v_add_co_ci_u32_e64 v3, null, v11, v3, vcc_lo
	s_andn2_b32 vcc_lo, exec_lo, s4
	s_cbranch_vccnz .LBB437_15
; %bb.14:
	flat_load_dword v12, v[2:3]
	s_waitcnt vmcnt(0) lgkmcnt(0)
	v_fmac_f32_e32 v5, s10, v12
.LBB437_15:
	flat_store_dword v[2:3], v5
.LBB437_16:
	s_or_b32 exec_lo, exec_lo, s1
	v_add_nc_u32_e32 v2, 16, v0
	v_cmp_le_i32_e32 vcc_lo, v2, v9
	v_ashrrev_i32_e32 v3, 31, v2
	s_and_b32 s0, s0, vcc_lo
	s_and_saveexec_b32 s1, s0
	s_cbranch_execz .LBB437_20
; %bb.17:
	v_lshlrev_b64 v[13:14], 2, v[2:3]
	v_mul_f32_e32 v12, s11, v4
	v_cmp_ne_u32_e32 vcc_lo, 1, v8
	v_add_co_u32 v4, s0, v10, v13
	v_add_co_ci_u32_e64 v5, null, v11, v14, s0
	s_cbranch_vccnz .LBB437_19
; %bb.18:
	flat_load_dword v10, v[4:5]
	s_waitcnt vmcnt(0) lgkmcnt(0)
	v_fmac_f32_e32 v12, s10, v10
.LBB437_19:
	flat_store_dword v[4:5], v12
.LBB437_20:
	s_or_b32 exec_lo, exec_lo, s1
	v_add_nc_u32_e32 v9, 16, v9
	v_ashrrev_i32_e32 v10, 31, v9
	v_mul_lo_u32 v11, s41, v9
	v_mad_u64_u32 v[4:5], null, s40, v9, 0
	v_cmp_gt_i32_e64 s0, s8, v9
	v_mul_lo_u32 v10, s40, v10
	v_cmp_le_i32_e32 vcc_lo, v0, v9
	v_add3_u32 v5, v5, v10, v11
	v_lshlrev_b64 v[4:5], 2, v[4:5]
	v_add_co_u32 v4, s1, s2, v4
	v_add_co_ci_u32_e64 v5, null, s3, v5, s1
	s_and_b32 s1, s0, vcc_lo
	s_and_saveexec_b32 s2, s1
	s_cbranch_execz .LBB437_24
; %bb.21:
	v_lshlrev_b64 v[0:1], 2, v[0:1]
	v_cmp_ne_u32_e32 vcc_lo, 1, v8
	v_mul_f32_e32 v7, s11, v7
	v_add_co_u32 v0, s1, v4, v0
	v_add_co_ci_u32_e64 v1, null, v5, v1, s1
	s_cbranch_vccnz .LBB437_23
; %bb.22:
	flat_load_dword v10, v[0:1]
	s_waitcnt vmcnt(0) lgkmcnt(0)
	v_fmac_f32_e32 v7, s10, v10
.LBB437_23:
	flat_store_dword v[0:1], v7
.LBB437_24:
	s_or_b32 exec_lo, exec_lo, s2
	v_cmp_le_i32_e32 vcc_lo, v2, v9
	s_and_b32 s0, s0, vcc_lo
	s_and_saveexec_b32 s1, s0
	s_cbranch_execz .LBB437_28
; %bb.25:
	v_lshlrev_b64 v[0:1], 2, v[2:3]
	v_cmp_ne_u32_e32 vcc_lo, 1, v8
	v_mul_f32_e32 v2, s11, v6
	v_add_co_u32 v0, s0, v4, v0
	v_add_co_ci_u32_e64 v1, null, v5, v1, s0
	s_cbranch_vccnz .LBB437_27
; %bb.26:
	flat_load_dword v3, v[0:1]
	s_waitcnt vmcnt(0) lgkmcnt(0)
	v_fmac_f32_e32 v2, s10, v3
.LBB437_27:
	flat_store_dword v[0:1], v2
.LBB437_28:
	s_endpgm
	.section	.rodata,"a",@progbits
	.p2align	6, 0x0
	.amdhsa_kernel _ZL29rocblas_internal_gemmt_kernelIlLi16ELi32ELi8ELc84ELc67ELc85ELb0ELb0EfPKfPKS1_PKPfEviT_T9_T10_S7_lS9_S7_lS8_T11_S7_li
		.amdhsa_group_segment_fixed_size 2048
		.amdhsa_private_segment_fixed_size 0
		.amdhsa_kernarg_size 108
		.amdhsa_user_sgpr_count 6
		.amdhsa_user_sgpr_private_segment_buffer 1
		.amdhsa_user_sgpr_dispatch_ptr 0
		.amdhsa_user_sgpr_queue_ptr 0
		.amdhsa_user_sgpr_kernarg_segment_ptr 1
		.amdhsa_user_sgpr_dispatch_id 0
		.amdhsa_user_sgpr_flat_scratch_init 0
		.amdhsa_user_sgpr_private_segment_size 0
		.amdhsa_wavefront_size32 1
		.amdhsa_uses_dynamic_stack 0
		.amdhsa_system_sgpr_private_segment_wavefront_offset 0
		.amdhsa_system_sgpr_workgroup_id_x 1
		.amdhsa_system_sgpr_workgroup_id_y 1
		.amdhsa_system_sgpr_workgroup_id_z 1
		.amdhsa_system_sgpr_workgroup_info 0
		.amdhsa_system_vgpr_workitem_id 1
		.amdhsa_next_free_vgpr 46
		.amdhsa_next_free_sgpr 44
		.amdhsa_reserve_vcc 1
		.amdhsa_reserve_flat_scratch 0
		.amdhsa_float_round_mode_32 0
		.amdhsa_float_round_mode_16_64 0
		.amdhsa_float_denorm_mode_32 3
		.amdhsa_float_denorm_mode_16_64 3
		.amdhsa_dx10_clamp 1
		.amdhsa_ieee_mode 1
		.amdhsa_fp16_overflow 0
		.amdhsa_workgroup_processor_mode 1
		.amdhsa_memory_ordered 1
		.amdhsa_forward_progress 1
		.amdhsa_shared_vgpr_count 0
		.amdhsa_exception_fp_ieee_invalid_op 0
		.amdhsa_exception_fp_denorm_src 0
		.amdhsa_exception_fp_ieee_div_zero 0
		.amdhsa_exception_fp_ieee_overflow 0
		.amdhsa_exception_fp_ieee_underflow 0
		.amdhsa_exception_fp_ieee_inexact 0
		.amdhsa_exception_int_div_zero 0
	.end_amdhsa_kernel
	.section	.text._ZL29rocblas_internal_gemmt_kernelIlLi16ELi32ELi8ELc84ELc67ELc85ELb0ELb0EfPKfPKS1_PKPfEviT_T9_T10_S7_lS9_S7_lS8_T11_S7_li,"axG",@progbits,_ZL29rocblas_internal_gemmt_kernelIlLi16ELi32ELi8ELc84ELc67ELc85ELb0ELb0EfPKfPKS1_PKPfEviT_T9_T10_S7_lS9_S7_lS8_T11_S7_li,comdat
.Lfunc_end437:
	.size	_ZL29rocblas_internal_gemmt_kernelIlLi16ELi32ELi8ELc84ELc67ELc85ELb0ELb0EfPKfPKS1_PKPfEviT_T9_T10_S7_lS9_S7_lS8_T11_S7_li, .Lfunc_end437-_ZL29rocblas_internal_gemmt_kernelIlLi16ELi32ELi8ELc84ELc67ELc85ELb0ELb0EfPKfPKS1_PKPfEviT_T9_T10_S7_lS9_S7_lS8_T11_S7_li
                                        ; -- End function
	.set _ZL29rocblas_internal_gemmt_kernelIlLi16ELi32ELi8ELc84ELc67ELc85ELb0ELb0EfPKfPKS1_PKPfEviT_T9_T10_S7_lS9_S7_lS8_T11_S7_li.num_vgpr, 46
	.set _ZL29rocblas_internal_gemmt_kernelIlLi16ELi32ELi8ELc84ELc67ELc85ELb0ELb0EfPKfPKS1_PKPfEviT_T9_T10_S7_lS9_S7_lS8_T11_S7_li.num_agpr, 0
	.set _ZL29rocblas_internal_gemmt_kernelIlLi16ELi32ELi8ELc84ELc67ELc85ELb0ELb0EfPKfPKS1_PKPfEviT_T9_T10_S7_lS9_S7_lS8_T11_S7_li.numbered_sgpr, 44
	.set _ZL29rocblas_internal_gemmt_kernelIlLi16ELi32ELi8ELc84ELc67ELc85ELb0ELb0EfPKfPKS1_PKPfEviT_T9_T10_S7_lS9_S7_lS8_T11_S7_li.num_named_barrier, 0
	.set _ZL29rocblas_internal_gemmt_kernelIlLi16ELi32ELi8ELc84ELc67ELc85ELb0ELb0EfPKfPKS1_PKPfEviT_T9_T10_S7_lS9_S7_lS8_T11_S7_li.private_seg_size, 0
	.set _ZL29rocblas_internal_gemmt_kernelIlLi16ELi32ELi8ELc84ELc67ELc85ELb0ELb0EfPKfPKS1_PKPfEviT_T9_T10_S7_lS9_S7_lS8_T11_S7_li.uses_vcc, 1
	.set _ZL29rocblas_internal_gemmt_kernelIlLi16ELi32ELi8ELc84ELc67ELc85ELb0ELb0EfPKfPKS1_PKPfEviT_T9_T10_S7_lS9_S7_lS8_T11_S7_li.uses_flat_scratch, 0
	.set _ZL29rocblas_internal_gemmt_kernelIlLi16ELi32ELi8ELc84ELc67ELc85ELb0ELb0EfPKfPKS1_PKPfEviT_T9_T10_S7_lS9_S7_lS8_T11_S7_li.has_dyn_sized_stack, 0
	.set _ZL29rocblas_internal_gemmt_kernelIlLi16ELi32ELi8ELc84ELc67ELc85ELb0ELb0EfPKfPKS1_PKPfEviT_T9_T10_S7_lS9_S7_lS8_T11_S7_li.has_recursion, 0
	.set _ZL29rocblas_internal_gemmt_kernelIlLi16ELi32ELi8ELc84ELc67ELc85ELb0ELb0EfPKfPKS1_PKPfEviT_T9_T10_S7_lS9_S7_lS8_T11_S7_li.has_indirect_call, 0
	.section	.AMDGPU.csdata,"",@progbits
; Kernel info:
; codeLenInByte = 1432
; TotalNumSgprs: 46
; NumVgprs: 46
; ScratchSize: 0
; MemoryBound: 0
; FloatMode: 240
; IeeeMode: 1
; LDSByteSize: 2048 bytes/workgroup (compile time only)
; SGPRBlocks: 0
; VGPRBlocks: 5
; NumSGPRsForWavesPerEU: 46
; NumVGPRsForWavesPerEU: 46
; Occupancy: 16
; WaveLimiterHint : 1
; COMPUTE_PGM_RSRC2:SCRATCH_EN: 0
; COMPUTE_PGM_RSRC2:USER_SGPR: 6
; COMPUTE_PGM_RSRC2:TRAP_HANDLER: 0
; COMPUTE_PGM_RSRC2:TGID_X_EN: 1
; COMPUTE_PGM_RSRC2:TGID_Y_EN: 1
; COMPUTE_PGM_RSRC2:TGID_Z_EN: 1
; COMPUTE_PGM_RSRC2:TIDIG_COMP_CNT: 1
	.section	.text._ZL29rocblas_internal_gemmt_kernelIlLi16ELi32ELi8ELc67ELc78ELc85ELb0ELb0EfPKfPKS1_PKPfEviT_T9_T10_S7_lS9_S7_lS8_T11_S7_li,"axG",@progbits,_ZL29rocblas_internal_gemmt_kernelIlLi16ELi32ELi8ELc67ELc78ELc85ELb0ELb0EfPKfPKS1_PKPfEviT_T9_T10_S7_lS9_S7_lS8_T11_S7_li,comdat
	.globl	_ZL29rocblas_internal_gemmt_kernelIlLi16ELi32ELi8ELc67ELc78ELc85ELb0ELb0EfPKfPKS1_PKPfEviT_T9_T10_S7_lS9_S7_lS8_T11_S7_li ; -- Begin function _ZL29rocblas_internal_gemmt_kernelIlLi16ELi32ELi8ELc67ELc78ELc85ELb0ELb0EfPKfPKS1_PKPfEviT_T9_T10_S7_lS9_S7_lS8_T11_S7_li
	.p2align	8
	.type	_ZL29rocblas_internal_gemmt_kernelIlLi16ELi32ELi8ELc67ELc78ELc85ELb0ELb0EfPKfPKS1_PKPfEviT_T9_T10_S7_lS9_S7_lS8_T11_S7_li,@function
_ZL29rocblas_internal_gemmt_kernelIlLi16ELi32ELi8ELc67ELc78ELc85ELb0ELb0EfPKfPKS1_PKPfEviT_T9_T10_S7_lS9_S7_lS8_T11_S7_li: ; @_ZL29rocblas_internal_gemmt_kernelIlLi16ELi32ELi8ELc67ELc78ELc85ELb0ELb0EfPKfPKS1_PKPfEviT_T9_T10_S7_lS9_S7_lS8_T11_S7_li
; %bb.0:
	s_clause 0x1
	s_load_dwordx8 s[36:43], s[4:5], 0x48
	s_load_dwordx16 s[12:27], s[4:5], 0x8
	s_waitcnt lgkmcnt(0)
	s_load_dword s10, s[36:37], 0x0
	s_load_dword s11, s[14:15], 0x0
	s_waitcnt lgkmcnt(0)
	v_cmp_neq_f32_e64 s0, s10, 1.0
	s_and_b32 vcc_lo, exec_lo, s0
	s_cbranch_vccnz .LBB438_2
; %bb.1:
	v_cmp_neq_f32_e64 s0, s11, 0
	s_cmp_lg_u64 s[12:13], 0
	s_cselect_b32 s1, -1, 0
	s_and_b32 s0, s1, s0
.LBB438_2:
	s_andn2_b32 vcc_lo, exec_lo, s0
	s_cbranch_vccnz .LBB438_28
; %bb.3:
	s_mov_b32 s9, 0
	v_mov_b32_e32 v8, 0
	s_lshl_b64 s[0:1], s[8:9], 3
	v_mov_b32_e32 v4, 0
	s_add_u32 s2, s38, s0
	s_addc_u32 s3, s39, s1
	s_load_dword s8, s[4:5], 0x0
	s_load_dwordx2 s[2:3], s[2:3], 0x0
	v_cmp_lt_i64_e64 s4, s[12:13], 1
	v_cmp_eq_f32_e64 s5, s11, 0
	v_mov_b32_e32 v7, 0
	v_mov_b32_e32 v6, 0
	s_lshl_b32 s6, s6, 5
	s_lshl_b32 s7, s7, 5
	s_or_b32 s4, s5, s4
	s_and_b32 vcc_lo, exec_lo, s4
	s_cbranch_vccnz .LBB438_12
; %bb.4:
	s_add_u32 s4, s22, s0
	s_addc_u32 s5, s23, s1
	s_lshl_b64 s[14:15], s[26:27], 2
	s_load_dwordx2 s[4:5], s[4:5], 0x0
	v_lshl_add_u32 v2, v1, 4, v0
	v_and_b32_e32 v5, 7, v0
	v_lshlrev_b32_e32 v9, 2, v0
	v_lshl_add_u32 v10, v1, 5, 0x400
	v_mov_b32_e32 v3, 0
	v_lshrrev_b32_e32 v8, 3, v2
	v_and_b32_e32 v14, 31, v2
	v_mov_b32_e32 v6, 0
	v_mov_b32_e32 v7, 0
	;; [unrolled: 1-line block ×3, first 2 shown]
	v_add_nc_u32_e32 v18, s7, v8
	v_or_b32_e32 v16, s6, v14
	v_lshlrev_b32_e32 v20, 2, v14
	v_ashrrev_i32_e32 v11, 31, v18
	v_mul_lo_u32 v17, s25, v18
	v_mad_u64_u32 v[12:13], null, s24, v18, 0
	s_waitcnt lgkmcnt(0)
	s_add_u32 s9, s4, s14
	s_addc_u32 s14, s5, s15
	s_add_u32 s0, s16, s0
	s_addc_u32 s1, s17, s1
	v_mul_lo_u32 v19, s24, v11
	s_load_dwordx2 s[0:1], s[0:1], 0x0
	v_mul_lo_u32 v21, s19, v16
	v_mad_u64_u32 v[14:15], null, s18, v16, 0
	s_lshl_b64 s[4:5], s[20:21], 2
	v_lshrrev_b32_e32 v11, 5, v2
	v_lshlrev_b32_e32 v2, 2, v5
	v_add3_u32 v13, v13, v19, v17
	v_lshl_or_b32 v2, v8, 5, v2
	v_mov_b32_e32 v8, 0
	s_waitcnt lgkmcnt(0)
	s_add_u32 s4, s0, s4
	s_addc_u32 s5, s1, s5
	s_ashr_i32 s0, s6, 31
	s_mul_i32 s1, s18, s0
	v_cmp_gt_i32_e64 s0, s8, v16
	v_add3_u32 v15, v15, s1, v21
	v_lshlrev_b64 v[16:17], 2, v[12:13]
	v_cmp_gt_i32_e64 s1, s8, v18
	v_lshl_or_b32 v12, v11, 7, v20
	v_add_nc_u32_e32 v13, 0x400, v2
	v_lshlrev_b64 v[18:19], 2, v[14:15]
	v_add_co_u32 v14, vcc_lo, s9, v16
	v_add_co_ci_u32_e64 v15, null, s14, v17, vcc_lo
	v_add_co_u32 v16, vcc_lo, s4, v18
	v_add_co_ci_u32_e64 v17, null, s5, v19, vcc_lo
	s_mov_b64 s[4:5], 0
	s_branch .LBB438_6
.LBB438_5:                              ;   in Loop: Header=BB438_6 Depth=1
	s_or_b32 exec_lo, exec_lo, s9
	s_waitcnt vmcnt(0) lgkmcnt(0)
	ds_write_b32 v13, v19
	s_waitcnt lgkmcnt(0)
	s_barrier
	buffer_gl0_inv
	ds_read_b128 v[18:21], v10
	ds_read2_b32 v[34:35], v9 offset1:16
	ds_read_b128 v[22:25], v10 offset:512
	ds_read2_b32 v[36:37], v9 offset0:32 offset1:48
	ds_read2_b32 v[38:39], v9 offset0:64 offset1:80
	;; [unrolled: 1-line block ×3, first 2 shown]
	ds_read_b128 v[26:29], v10 offset:16
	ds_read2_b32 v[42:43], v9 offset0:128 offset1:144
	ds_read_b128 v[30:33], v10 offset:528
	ds_read2_b32 v[44:45], v9 offset0:160 offset1:176
	s_add_u32 s4, s4, 8
	s_addc_u32 s5, s5, 0
	v_cmp_gt_i64_e64 s9, s[12:13], s[4:5]
	s_and_b32 vcc_lo, exec_lo, s9
	s_waitcnt lgkmcnt(8)
	v_fmac_f32_e32 v8, v34, v18
	v_fmac_f32_e32 v4, v35, v18
	s_waitcnt lgkmcnt(7)
	v_fmac_f32_e32 v7, v34, v22
	v_fmac_f32_e32 v6, v35, v22
	ds_read2_b32 v[34:35], v9 offset0:192 offset1:208
	s_waitcnt lgkmcnt(7)
	v_fmac_f32_e32 v8, v36, v19
	v_fmac_f32_e32 v4, v37, v19
	;; [unrolled: 1-line block ×4, first 2 shown]
	ds_read2_b32 v[18:19], v9 offset0:224 offset1:240
	s_waitcnt lgkmcnt(7)
	v_fmac_f32_e32 v8, v38, v20
	v_fmac_f32_e32 v4, v39, v20
	;; [unrolled: 1-line block ×4, first 2 shown]
	s_waitcnt lgkmcnt(0)
	v_fmac_f32_e32 v8, v40, v21
	v_fmac_f32_e32 v4, v41, v21
	;; [unrolled: 1-line block ×4, first 2 shown]
	s_barrier
	v_fmac_f32_e32 v8, v42, v26
	v_fmac_f32_e32 v4, v43, v26
	;; [unrolled: 1-line block ×4, first 2 shown]
	buffer_gl0_inv
	v_fmac_f32_e32 v8, v44, v27
	v_fmac_f32_e32 v4, v45, v27
	;; [unrolled: 1-line block ×12, first 2 shown]
	s_cbranch_vccz .LBB438_12
.LBB438_6:                              ; =>This Inner Loop Header: Depth=1
	v_mov_b32_e32 v18, 0
	s_and_saveexec_b32 s9, s0
	s_cbranch_execz .LBB438_10
; %bb.7:                                ;   in Loop: Header=BB438_6 Depth=1
	v_add_nc_u32_e32 v2, s4, v11
	v_mov_b32_e32 v18, 0
	s_mov_b32 s14, exec_lo
	v_cmpx_gt_u64_e64 s[12:13], v[2:3]
	s_cbranch_execz .LBB438_9
; %bb.8:                                ;   in Loop: Header=BB438_6 Depth=1
	v_lshlrev_b64 v[18:19], 2, v[2:3]
	v_add_co_u32 v18, vcc_lo, v16, v18
	v_add_co_ci_u32_e64 v19, null, v17, v19, vcc_lo
	flat_load_dword v18, v[18:19]
.LBB438_9:                              ;   in Loop: Header=BB438_6 Depth=1
	s_or_b32 exec_lo, exec_lo, s14
.LBB438_10:                             ;   in Loop: Header=BB438_6 Depth=1
	s_or_b32 exec_lo, exec_lo, s9
	v_add_nc_u32_e32 v2, s4, v5
	v_mov_b32_e32 v19, 0
	s_waitcnt vmcnt(0) lgkmcnt(0)
	ds_write_b32 v12, v18
	v_cmp_gt_u64_e32 vcc_lo, s[12:13], v[2:3]
	s_and_b32 s14, vcc_lo, s1
	s_and_saveexec_b32 s9, s14
	s_cbranch_execz .LBB438_5
; %bb.11:                               ;   in Loop: Header=BB438_6 Depth=1
	v_lshlrev_b64 v[18:19], 2, v[2:3]
	v_add_co_u32 v18, vcc_lo, v14, v18
	v_add_co_ci_u32_e64 v19, null, v15, v19, vcc_lo
	flat_load_dword v19, v[18:19]
	s_branch .LBB438_5
.LBB438_12:
	v_add_nc_u32_e32 v10, s7, v1
	v_add_nc_u32_e32 v0, s6, v0
	s_lshl_b64 s[0:1], s[42:43], 2
	v_cmp_neq_f32_e64 s4, s10, 0
	s_waitcnt lgkmcnt(0)
	s_add_u32 s2, s2, s0
	v_ashrrev_i32_e32 v3, 31, v10
	v_mul_lo_u32 v5, s41, v10
	v_mad_u64_u32 v[1:2], null, s40, v10, 0
	s_addc_u32 s3, s3, s1
	v_mul_lo_u32 v3, s40, v3
	v_cmp_gt_i32_e64 s0, s8, v10
	v_cmp_le_i32_e32 vcc_lo, v0, v10
	v_cndmask_b32_e64 v9, 0, 1, s4
	s_and_b32 s5, s0, vcc_lo
	v_add3_u32 v2, v2, v3, v5
	v_lshlrev_b64 v[2:3], 2, v[1:2]
	v_ashrrev_i32_e32 v1, 31, v0
	v_add_co_u32 v5, s1, s2, v2
	v_add_co_ci_u32_e64 v11, null, s3, v3, s1
	s_and_saveexec_b32 s1, s5
	s_cbranch_execz .LBB438_16
; %bb.13:
	v_lshlrev_b64 v[2:3], 2, v[0:1]
	v_mul_f32_e32 v8, s11, v8
	v_add_co_u32 v2, vcc_lo, v5, v2
	v_add_co_ci_u32_e64 v3, null, v11, v3, vcc_lo
	s_andn2_b32 vcc_lo, exec_lo, s4
	s_cbranch_vccnz .LBB438_15
; %bb.14:
	flat_load_dword v12, v[2:3]
	s_waitcnt vmcnt(0) lgkmcnt(0)
	v_fmac_f32_e32 v8, s10, v12
.LBB438_15:
	flat_store_dword v[2:3], v8
.LBB438_16:
	s_or_b32 exec_lo, exec_lo, s1
	v_add_nc_u32_e32 v2, 16, v0
	v_cmp_le_i32_e32 vcc_lo, v2, v10
	v_ashrrev_i32_e32 v3, 31, v2
	s_and_b32 s0, s0, vcc_lo
	s_and_saveexec_b32 s1, s0
	s_cbranch_execz .LBB438_20
; %bb.17:
	v_lshlrev_b64 v[12:13], 2, v[2:3]
	v_mul_f32_e32 v8, s11, v4
	v_cmp_ne_u32_e32 vcc_lo, 1, v9
	v_add_co_u32 v4, s0, v5, v12
	v_add_co_ci_u32_e64 v5, null, v11, v13, s0
	s_cbranch_vccnz .LBB438_19
; %bb.18:
	flat_load_dword v11, v[4:5]
	s_waitcnt vmcnt(0) lgkmcnt(0)
	v_fmac_f32_e32 v8, s10, v11
.LBB438_19:
	flat_store_dword v[4:5], v8
.LBB438_20:
	s_or_b32 exec_lo, exec_lo, s1
	v_add_nc_u32_e32 v8, 16, v10
	v_ashrrev_i32_e32 v10, 31, v8
	v_mul_lo_u32 v11, s41, v8
	v_mad_u64_u32 v[4:5], null, s40, v8, 0
	v_cmp_gt_i32_e64 s0, s8, v8
	v_mul_lo_u32 v10, s40, v10
	v_cmp_le_i32_e32 vcc_lo, v0, v8
	v_add3_u32 v5, v5, v10, v11
	v_lshlrev_b64 v[4:5], 2, v[4:5]
	v_add_co_u32 v4, s1, s2, v4
	v_add_co_ci_u32_e64 v5, null, s3, v5, s1
	s_and_b32 s1, s0, vcc_lo
	s_and_saveexec_b32 s2, s1
	s_cbranch_execz .LBB438_24
; %bb.21:
	v_lshlrev_b64 v[0:1], 2, v[0:1]
	v_cmp_ne_u32_e32 vcc_lo, 1, v9
	v_mul_f32_e32 v7, s11, v7
	v_add_co_u32 v0, s1, v4, v0
	v_add_co_ci_u32_e64 v1, null, v5, v1, s1
	s_cbranch_vccnz .LBB438_23
; %bb.22:
	flat_load_dword v10, v[0:1]
	s_waitcnt vmcnt(0) lgkmcnt(0)
	v_fmac_f32_e32 v7, s10, v10
.LBB438_23:
	flat_store_dword v[0:1], v7
.LBB438_24:
	s_or_b32 exec_lo, exec_lo, s2
	v_cmp_le_i32_e32 vcc_lo, v2, v8
	s_and_b32 s0, s0, vcc_lo
	s_and_saveexec_b32 s1, s0
	s_cbranch_execz .LBB438_28
; %bb.25:
	v_lshlrev_b64 v[0:1], 2, v[2:3]
	v_cmp_ne_u32_e32 vcc_lo, 1, v9
	v_mul_f32_e32 v2, s11, v6
	v_add_co_u32 v0, s0, v4, v0
	v_add_co_ci_u32_e64 v1, null, v5, v1, s0
	s_cbranch_vccnz .LBB438_27
; %bb.26:
	flat_load_dword v3, v[0:1]
	s_waitcnt vmcnt(0) lgkmcnt(0)
	v_fmac_f32_e32 v2, s10, v3
.LBB438_27:
	flat_store_dword v[0:1], v2
.LBB438_28:
	s_endpgm
	.section	.rodata,"a",@progbits
	.p2align	6, 0x0
	.amdhsa_kernel _ZL29rocblas_internal_gemmt_kernelIlLi16ELi32ELi8ELc67ELc78ELc85ELb0ELb0EfPKfPKS1_PKPfEviT_T9_T10_S7_lS9_S7_lS8_T11_S7_li
		.amdhsa_group_segment_fixed_size 2048
		.amdhsa_private_segment_fixed_size 0
		.amdhsa_kernarg_size 108
		.amdhsa_user_sgpr_count 6
		.amdhsa_user_sgpr_private_segment_buffer 1
		.amdhsa_user_sgpr_dispatch_ptr 0
		.amdhsa_user_sgpr_queue_ptr 0
		.amdhsa_user_sgpr_kernarg_segment_ptr 1
		.amdhsa_user_sgpr_dispatch_id 0
		.amdhsa_user_sgpr_flat_scratch_init 0
		.amdhsa_user_sgpr_private_segment_size 0
		.amdhsa_wavefront_size32 1
		.amdhsa_uses_dynamic_stack 0
		.amdhsa_system_sgpr_private_segment_wavefront_offset 0
		.amdhsa_system_sgpr_workgroup_id_x 1
		.amdhsa_system_sgpr_workgroup_id_y 1
		.amdhsa_system_sgpr_workgroup_id_z 1
		.amdhsa_system_sgpr_workgroup_info 0
		.amdhsa_system_vgpr_workitem_id 1
		.amdhsa_next_free_vgpr 46
		.amdhsa_next_free_sgpr 44
		.amdhsa_reserve_vcc 1
		.amdhsa_reserve_flat_scratch 0
		.amdhsa_float_round_mode_32 0
		.amdhsa_float_round_mode_16_64 0
		.amdhsa_float_denorm_mode_32 3
		.amdhsa_float_denorm_mode_16_64 3
		.amdhsa_dx10_clamp 1
		.amdhsa_ieee_mode 1
		.amdhsa_fp16_overflow 0
		.amdhsa_workgroup_processor_mode 1
		.amdhsa_memory_ordered 1
		.amdhsa_forward_progress 1
		.amdhsa_shared_vgpr_count 0
		.amdhsa_exception_fp_ieee_invalid_op 0
		.amdhsa_exception_fp_denorm_src 0
		.amdhsa_exception_fp_ieee_div_zero 0
		.amdhsa_exception_fp_ieee_overflow 0
		.amdhsa_exception_fp_ieee_underflow 0
		.amdhsa_exception_fp_ieee_inexact 0
		.amdhsa_exception_int_div_zero 0
	.end_amdhsa_kernel
	.section	.text._ZL29rocblas_internal_gemmt_kernelIlLi16ELi32ELi8ELc67ELc78ELc85ELb0ELb0EfPKfPKS1_PKPfEviT_T9_T10_S7_lS9_S7_lS8_T11_S7_li,"axG",@progbits,_ZL29rocblas_internal_gemmt_kernelIlLi16ELi32ELi8ELc67ELc78ELc85ELb0ELb0EfPKfPKS1_PKPfEviT_T9_T10_S7_lS9_S7_lS8_T11_S7_li,comdat
.Lfunc_end438:
	.size	_ZL29rocblas_internal_gemmt_kernelIlLi16ELi32ELi8ELc67ELc78ELc85ELb0ELb0EfPKfPKS1_PKPfEviT_T9_T10_S7_lS9_S7_lS8_T11_S7_li, .Lfunc_end438-_ZL29rocblas_internal_gemmt_kernelIlLi16ELi32ELi8ELc67ELc78ELc85ELb0ELb0EfPKfPKS1_PKPfEviT_T9_T10_S7_lS9_S7_lS8_T11_S7_li
                                        ; -- End function
	.set _ZL29rocblas_internal_gemmt_kernelIlLi16ELi32ELi8ELc67ELc78ELc85ELb0ELb0EfPKfPKS1_PKPfEviT_T9_T10_S7_lS9_S7_lS8_T11_S7_li.num_vgpr, 46
	.set _ZL29rocblas_internal_gemmt_kernelIlLi16ELi32ELi8ELc67ELc78ELc85ELb0ELb0EfPKfPKS1_PKPfEviT_T9_T10_S7_lS9_S7_lS8_T11_S7_li.num_agpr, 0
	.set _ZL29rocblas_internal_gemmt_kernelIlLi16ELi32ELi8ELc67ELc78ELc85ELb0ELb0EfPKfPKS1_PKPfEviT_T9_T10_S7_lS9_S7_lS8_T11_S7_li.numbered_sgpr, 44
	.set _ZL29rocblas_internal_gemmt_kernelIlLi16ELi32ELi8ELc67ELc78ELc85ELb0ELb0EfPKfPKS1_PKPfEviT_T9_T10_S7_lS9_S7_lS8_T11_S7_li.num_named_barrier, 0
	.set _ZL29rocblas_internal_gemmt_kernelIlLi16ELi32ELi8ELc67ELc78ELc85ELb0ELb0EfPKfPKS1_PKPfEviT_T9_T10_S7_lS9_S7_lS8_T11_S7_li.private_seg_size, 0
	.set _ZL29rocblas_internal_gemmt_kernelIlLi16ELi32ELi8ELc67ELc78ELc85ELb0ELb0EfPKfPKS1_PKPfEviT_T9_T10_S7_lS9_S7_lS8_T11_S7_li.uses_vcc, 1
	.set _ZL29rocblas_internal_gemmt_kernelIlLi16ELi32ELi8ELc67ELc78ELc85ELb0ELb0EfPKfPKS1_PKPfEviT_T9_T10_S7_lS9_S7_lS8_T11_S7_li.uses_flat_scratch, 0
	.set _ZL29rocblas_internal_gemmt_kernelIlLi16ELi32ELi8ELc67ELc78ELc85ELb0ELb0EfPKfPKS1_PKPfEviT_T9_T10_S7_lS9_S7_lS8_T11_S7_li.has_dyn_sized_stack, 0
	.set _ZL29rocblas_internal_gemmt_kernelIlLi16ELi32ELi8ELc67ELc78ELc85ELb0ELb0EfPKfPKS1_PKPfEviT_T9_T10_S7_lS9_S7_lS8_T11_S7_li.has_recursion, 0
	.set _ZL29rocblas_internal_gemmt_kernelIlLi16ELi32ELi8ELc67ELc78ELc85ELb0ELb0EfPKfPKS1_PKPfEviT_T9_T10_S7_lS9_S7_lS8_T11_S7_li.has_indirect_call, 0
	.section	.AMDGPU.csdata,"",@progbits
; Kernel info:
; codeLenInByte = 1448
; TotalNumSgprs: 46
; NumVgprs: 46
; ScratchSize: 0
; MemoryBound: 0
; FloatMode: 240
; IeeeMode: 1
; LDSByteSize: 2048 bytes/workgroup (compile time only)
; SGPRBlocks: 0
; VGPRBlocks: 5
; NumSGPRsForWavesPerEU: 46
; NumVGPRsForWavesPerEU: 46
; Occupancy: 16
; WaveLimiterHint : 1
; COMPUTE_PGM_RSRC2:SCRATCH_EN: 0
; COMPUTE_PGM_RSRC2:USER_SGPR: 6
; COMPUTE_PGM_RSRC2:TRAP_HANDLER: 0
; COMPUTE_PGM_RSRC2:TGID_X_EN: 1
; COMPUTE_PGM_RSRC2:TGID_Y_EN: 1
; COMPUTE_PGM_RSRC2:TGID_Z_EN: 1
; COMPUTE_PGM_RSRC2:TIDIG_COMP_CNT: 1
	.section	.text._ZL29rocblas_internal_gemmt_kernelIlLi16ELi32ELi8ELc67ELc84ELc85ELb0ELb0EfPKfPKS1_PKPfEviT_T9_T10_S7_lS9_S7_lS8_T11_S7_li,"axG",@progbits,_ZL29rocblas_internal_gemmt_kernelIlLi16ELi32ELi8ELc67ELc84ELc85ELb0ELb0EfPKfPKS1_PKPfEviT_T9_T10_S7_lS9_S7_lS8_T11_S7_li,comdat
	.globl	_ZL29rocblas_internal_gemmt_kernelIlLi16ELi32ELi8ELc67ELc84ELc85ELb0ELb0EfPKfPKS1_PKPfEviT_T9_T10_S7_lS9_S7_lS8_T11_S7_li ; -- Begin function _ZL29rocblas_internal_gemmt_kernelIlLi16ELi32ELi8ELc67ELc84ELc85ELb0ELb0EfPKfPKS1_PKPfEviT_T9_T10_S7_lS9_S7_lS8_T11_S7_li
	.p2align	8
	.type	_ZL29rocblas_internal_gemmt_kernelIlLi16ELi32ELi8ELc67ELc84ELc85ELb0ELb0EfPKfPKS1_PKPfEviT_T9_T10_S7_lS9_S7_lS8_T11_S7_li,@function
_ZL29rocblas_internal_gemmt_kernelIlLi16ELi32ELi8ELc67ELc84ELc85ELb0ELb0EfPKfPKS1_PKPfEviT_T9_T10_S7_lS9_S7_lS8_T11_S7_li: ; @_ZL29rocblas_internal_gemmt_kernelIlLi16ELi32ELi8ELc67ELc84ELc85ELb0ELb0EfPKfPKS1_PKPfEviT_T9_T10_S7_lS9_S7_lS8_T11_S7_li
; %bb.0:
	s_clause 0x1
	s_load_dwordx8 s[36:43], s[4:5], 0x48
	s_load_dwordx16 s[12:27], s[4:5], 0x8
	s_waitcnt lgkmcnt(0)
	s_load_dword s10, s[36:37], 0x0
	s_load_dword s11, s[14:15], 0x0
	s_waitcnt lgkmcnt(0)
	v_cmp_neq_f32_e64 s0, s10, 1.0
	s_and_b32 vcc_lo, exec_lo, s0
	s_cbranch_vccnz .LBB439_2
; %bb.1:
	v_cmp_neq_f32_e64 s0, s11, 0
	s_cmp_lg_u64 s[12:13], 0
	s_cselect_b32 s1, -1, 0
	s_and_b32 s0, s1, s0
.LBB439_2:
	s_andn2_b32 vcc_lo, exec_lo, s0
	s_cbranch_vccnz .LBB439_28
; %bb.3:
	s_mov_b32 s9, 0
	v_mov_b32_e32 v5, 0
	s_lshl_b64 s[0:1], s[8:9], 3
	v_mov_b32_e32 v4, 0
	s_add_u32 s2, s38, s0
	s_addc_u32 s3, s39, s1
	s_load_dword s8, s[4:5], 0x0
	s_load_dwordx2 s[2:3], s[2:3], 0x0
	v_cmp_lt_i64_e64 s4, s[12:13], 1
	v_cmp_eq_f32_e64 s5, s11, 0
	v_mov_b32_e32 v7, 0
	v_mov_b32_e32 v6, 0
	s_lshl_b32 s6, s6, 5
	s_lshl_b32 s7, s7, 5
	s_or_b32 s4, s5, s4
	s_and_b32 vcc_lo, exec_lo, s4
	s_cbranch_vccnz .LBB439_12
; %bb.4:
	s_add_u32 s4, s22, s0
	s_addc_u32 s5, s23, s1
	s_lshl_b64 s[14:15], s[26:27], 2
	s_load_dwordx2 s[4:5], s[4:5], 0x0
	v_lshl_add_u32 v2, v1, 4, v0
	v_and_b32_e32 v8, 7, v0
	v_lshlrev_b32_e32 v9, 2, v0
	v_lshl_add_u32 v10, v1, 5, 0x400
	v_mov_b32_e32 v3, 0
	v_and_b32_e32 v5, 31, v2
	v_lshrrev_b32_e32 v12, 3, v2
	v_lshrrev_b32_e32 v11, 5, v2
	v_lshlrev_b32_e32 v2, 2, v8
	v_mov_b32_e32 v6, 0
	v_or_b32_e32 v17, s6, v5
	v_add_nc_u32_e32 v13, s7, v12
	v_lshlrev_b32_e32 v5, 2, v5
	v_lshl_or_b32 v2, v12, 5, v2
	v_mov_b32_e32 v7, 0
	v_mul_lo_u32 v18, s19, v17
	v_mad_u64_u32 v[15:16], null, s18, v17, 0
	v_ashrrev_i32_e32 v14, 31, v13
	s_waitcnt lgkmcnt(0)
	s_add_u32 s9, s4, s14
	s_addc_u32 s14, s5, s15
	s_add_u32 s0, s16, s0
	s_addc_u32 s1, s17, s1
	s_lshl_b64 s[4:5], s[20:21], 2
	s_load_dwordx2 s[0:1], s[0:1], 0x0
	v_mov_b32_e32 v4, 0
	v_lshl_or_b32 v12, v11, 7, v5
	v_mov_b32_e32 v5, 0
	s_waitcnt lgkmcnt(0)
	s_add_u32 s4, s0, s4
	s_addc_u32 s5, s1, s5
	s_ashr_i32 s0, s6, 31
	s_mul_i32 s1, s18, s0
	v_cmp_gt_i32_e64 s0, s8, v17
	v_add3_u32 v16, v16, s1, v18
	v_lshlrev_b64 v[17:18], 2, v[13:14]
	v_cmp_gt_i32_e64 s1, s8, v13
	v_add_nc_u32_e32 v13, 0x400, v2
	v_lshlrev_b64 v[19:20], 2, v[15:16]
	v_add_co_u32 v14, vcc_lo, s9, v17
	v_add_co_ci_u32_e64 v15, null, s14, v18, vcc_lo
	v_add_co_u32 v16, vcc_lo, s4, v19
	v_add_co_ci_u32_e64 v17, null, s5, v20, vcc_lo
	s_mov_b64 s[4:5], 0
	s_branch .LBB439_6
.LBB439_5:                              ;   in Loop: Header=BB439_6 Depth=1
	s_or_b32 exec_lo, exec_lo, s9
	s_waitcnt vmcnt(0) lgkmcnt(0)
	ds_write_b32 v13, v19
	s_waitcnt lgkmcnt(0)
	s_barrier
	buffer_gl0_inv
	ds_read_b128 v[18:21], v10
	ds_read2_b32 v[34:35], v9 offset1:16
	ds_read_b128 v[22:25], v10 offset:512
	ds_read2_b32 v[36:37], v9 offset0:32 offset1:48
	ds_read2_b32 v[38:39], v9 offset0:64 offset1:80
	;; [unrolled: 1-line block ×3, first 2 shown]
	ds_read_b128 v[26:29], v10 offset:16
	ds_read2_b32 v[42:43], v9 offset0:128 offset1:144
	ds_read_b128 v[30:33], v10 offset:528
	ds_read2_b32 v[44:45], v9 offset0:160 offset1:176
	s_add_u32 s4, s4, 8
	s_addc_u32 s5, s5, 0
	v_cmp_gt_i64_e64 s9, s[12:13], s[4:5]
	s_and_b32 vcc_lo, exec_lo, s9
	s_waitcnt lgkmcnt(8)
	v_fmac_f32_e32 v5, v34, v18
	v_fmac_f32_e32 v4, v35, v18
	s_waitcnt lgkmcnt(7)
	v_fmac_f32_e32 v7, v34, v22
	v_fmac_f32_e32 v6, v35, v22
	ds_read2_b32 v[34:35], v9 offset0:192 offset1:208
	s_waitcnt lgkmcnt(7)
	v_fmac_f32_e32 v5, v36, v19
	v_fmac_f32_e32 v4, v37, v19
	;; [unrolled: 1-line block ×4, first 2 shown]
	ds_read2_b32 v[18:19], v9 offset0:224 offset1:240
	s_waitcnt lgkmcnt(7)
	v_fmac_f32_e32 v5, v38, v20
	v_fmac_f32_e32 v4, v39, v20
	;; [unrolled: 1-line block ×4, first 2 shown]
	s_waitcnt lgkmcnt(0)
	v_fmac_f32_e32 v5, v40, v21
	v_fmac_f32_e32 v4, v41, v21
	;; [unrolled: 1-line block ×4, first 2 shown]
	s_barrier
	v_fmac_f32_e32 v5, v42, v26
	v_fmac_f32_e32 v4, v43, v26
	;; [unrolled: 1-line block ×4, first 2 shown]
	buffer_gl0_inv
	v_fmac_f32_e32 v5, v44, v27
	v_fmac_f32_e32 v4, v45, v27
	;; [unrolled: 1-line block ×12, first 2 shown]
	s_cbranch_vccz .LBB439_12
.LBB439_6:                              ; =>This Inner Loop Header: Depth=1
	v_mov_b32_e32 v18, 0
	s_and_saveexec_b32 s9, s0
	s_cbranch_execz .LBB439_10
; %bb.7:                                ;   in Loop: Header=BB439_6 Depth=1
	v_add_nc_u32_e32 v2, s4, v11
	v_mov_b32_e32 v18, 0
	s_mov_b32 s14, exec_lo
	v_cmpx_gt_u64_e64 s[12:13], v[2:3]
	s_cbranch_execz .LBB439_9
; %bb.8:                                ;   in Loop: Header=BB439_6 Depth=1
	v_lshlrev_b64 v[18:19], 2, v[2:3]
	v_add_co_u32 v18, vcc_lo, v16, v18
	v_add_co_ci_u32_e64 v19, null, v17, v19, vcc_lo
	flat_load_dword v18, v[18:19]
.LBB439_9:                              ;   in Loop: Header=BB439_6 Depth=1
	s_or_b32 exec_lo, exec_lo, s14
.LBB439_10:                             ;   in Loop: Header=BB439_6 Depth=1
	s_or_b32 exec_lo, exec_lo, s9
	v_add_nc_u32_e32 v2, s4, v8
	v_mov_b32_e32 v19, 0
	s_waitcnt vmcnt(0) lgkmcnt(0)
	ds_write_b32 v12, v18
	v_cmp_gt_u64_e32 vcc_lo, s[12:13], v[2:3]
	s_and_b32 s14, vcc_lo, s1
	s_and_saveexec_b32 s9, s14
	s_cbranch_execz .LBB439_5
; %bb.11:                               ;   in Loop: Header=BB439_6 Depth=1
	v_mad_u64_u32 v[18:19], null, s24, v2, 0
	v_mad_u64_u32 v[19:20], null, s25, v2, v[19:20]
	v_lshlrev_b64 v[18:19], 2, v[18:19]
	v_add_co_u32 v18, vcc_lo, v14, v18
	v_add_co_ci_u32_e64 v19, null, v15, v19, vcc_lo
	flat_load_dword v19, v[18:19]
	s_branch .LBB439_5
.LBB439_12:
	v_add_nc_u32_e32 v9, s7, v1
	v_add_nc_u32_e32 v0, s6, v0
	s_lshl_b64 s[0:1], s[42:43], 2
	v_cmp_neq_f32_e64 s4, s10, 0
	s_waitcnt lgkmcnt(0)
	s_add_u32 s2, s2, s0
	v_ashrrev_i32_e32 v3, 31, v9
	v_mul_lo_u32 v8, s41, v9
	v_mad_u64_u32 v[1:2], null, s40, v9, 0
	s_addc_u32 s3, s3, s1
	v_mul_lo_u32 v3, s40, v3
	v_cmp_gt_i32_e64 s0, s8, v9
	v_cmp_le_i32_e32 vcc_lo, v0, v9
	s_and_b32 s5, s0, vcc_lo
	v_add3_u32 v2, v2, v3, v8
	v_cndmask_b32_e64 v8, 0, 1, s4
	v_lshlrev_b64 v[2:3], 2, v[1:2]
	v_ashrrev_i32_e32 v1, 31, v0
	v_add_co_u32 v10, s1, s2, v2
	v_add_co_ci_u32_e64 v11, null, s3, v3, s1
	s_and_saveexec_b32 s1, s5
	s_cbranch_execz .LBB439_16
; %bb.13:
	v_lshlrev_b64 v[2:3], 2, v[0:1]
	v_mul_f32_e32 v5, s11, v5
	v_add_co_u32 v2, vcc_lo, v10, v2
	v_add_co_ci_u32_e64 v3, null, v11, v3, vcc_lo
	s_andn2_b32 vcc_lo, exec_lo, s4
	s_cbranch_vccnz .LBB439_15
; %bb.14:
	flat_load_dword v12, v[2:3]
	s_waitcnt vmcnt(0) lgkmcnt(0)
	v_fmac_f32_e32 v5, s10, v12
.LBB439_15:
	flat_store_dword v[2:3], v5
.LBB439_16:
	s_or_b32 exec_lo, exec_lo, s1
	v_add_nc_u32_e32 v2, 16, v0
	v_cmp_le_i32_e32 vcc_lo, v2, v9
	v_ashrrev_i32_e32 v3, 31, v2
	s_and_b32 s0, s0, vcc_lo
	s_and_saveexec_b32 s1, s0
	s_cbranch_execz .LBB439_20
; %bb.17:
	v_lshlrev_b64 v[13:14], 2, v[2:3]
	v_mul_f32_e32 v12, s11, v4
	v_cmp_ne_u32_e32 vcc_lo, 1, v8
	v_add_co_u32 v4, s0, v10, v13
	v_add_co_ci_u32_e64 v5, null, v11, v14, s0
	s_cbranch_vccnz .LBB439_19
; %bb.18:
	flat_load_dword v10, v[4:5]
	s_waitcnt vmcnt(0) lgkmcnt(0)
	v_fmac_f32_e32 v12, s10, v10
.LBB439_19:
	flat_store_dword v[4:5], v12
.LBB439_20:
	s_or_b32 exec_lo, exec_lo, s1
	v_add_nc_u32_e32 v9, 16, v9
	v_ashrrev_i32_e32 v10, 31, v9
	v_mul_lo_u32 v11, s41, v9
	v_mad_u64_u32 v[4:5], null, s40, v9, 0
	v_cmp_gt_i32_e64 s0, s8, v9
	v_mul_lo_u32 v10, s40, v10
	v_cmp_le_i32_e32 vcc_lo, v0, v9
	v_add3_u32 v5, v5, v10, v11
	v_lshlrev_b64 v[4:5], 2, v[4:5]
	v_add_co_u32 v4, s1, s2, v4
	v_add_co_ci_u32_e64 v5, null, s3, v5, s1
	s_and_b32 s1, s0, vcc_lo
	s_and_saveexec_b32 s2, s1
	s_cbranch_execz .LBB439_24
; %bb.21:
	v_lshlrev_b64 v[0:1], 2, v[0:1]
	v_cmp_ne_u32_e32 vcc_lo, 1, v8
	v_mul_f32_e32 v7, s11, v7
	v_add_co_u32 v0, s1, v4, v0
	v_add_co_ci_u32_e64 v1, null, v5, v1, s1
	s_cbranch_vccnz .LBB439_23
; %bb.22:
	flat_load_dword v10, v[0:1]
	s_waitcnt vmcnt(0) lgkmcnt(0)
	v_fmac_f32_e32 v7, s10, v10
.LBB439_23:
	flat_store_dword v[0:1], v7
.LBB439_24:
	s_or_b32 exec_lo, exec_lo, s2
	v_cmp_le_i32_e32 vcc_lo, v2, v9
	s_and_b32 s0, s0, vcc_lo
	s_and_saveexec_b32 s1, s0
	s_cbranch_execz .LBB439_28
; %bb.25:
	v_lshlrev_b64 v[0:1], 2, v[2:3]
	v_cmp_ne_u32_e32 vcc_lo, 1, v8
	v_mul_f32_e32 v2, s11, v6
	v_add_co_u32 v0, s0, v4, v0
	v_add_co_ci_u32_e64 v1, null, v5, v1, s0
	s_cbranch_vccnz .LBB439_27
; %bb.26:
	flat_load_dword v3, v[0:1]
	s_waitcnt vmcnt(0) lgkmcnt(0)
	v_fmac_f32_e32 v2, s10, v3
.LBB439_27:
	flat_store_dword v[0:1], v2
.LBB439_28:
	s_endpgm
	.section	.rodata,"a",@progbits
	.p2align	6, 0x0
	.amdhsa_kernel _ZL29rocblas_internal_gemmt_kernelIlLi16ELi32ELi8ELc67ELc84ELc85ELb0ELb0EfPKfPKS1_PKPfEviT_T9_T10_S7_lS9_S7_lS8_T11_S7_li
		.amdhsa_group_segment_fixed_size 2048
		.amdhsa_private_segment_fixed_size 0
		.amdhsa_kernarg_size 108
		.amdhsa_user_sgpr_count 6
		.amdhsa_user_sgpr_private_segment_buffer 1
		.amdhsa_user_sgpr_dispatch_ptr 0
		.amdhsa_user_sgpr_queue_ptr 0
		.amdhsa_user_sgpr_kernarg_segment_ptr 1
		.amdhsa_user_sgpr_dispatch_id 0
		.amdhsa_user_sgpr_flat_scratch_init 0
		.amdhsa_user_sgpr_private_segment_size 0
		.amdhsa_wavefront_size32 1
		.amdhsa_uses_dynamic_stack 0
		.amdhsa_system_sgpr_private_segment_wavefront_offset 0
		.amdhsa_system_sgpr_workgroup_id_x 1
		.amdhsa_system_sgpr_workgroup_id_y 1
		.amdhsa_system_sgpr_workgroup_id_z 1
		.amdhsa_system_sgpr_workgroup_info 0
		.amdhsa_system_vgpr_workitem_id 1
		.amdhsa_next_free_vgpr 46
		.amdhsa_next_free_sgpr 44
		.amdhsa_reserve_vcc 1
		.amdhsa_reserve_flat_scratch 0
		.amdhsa_float_round_mode_32 0
		.amdhsa_float_round_mode_16_64 0
		.amdhsa_float_denorm_mode_32 3
		.amdhsa_float_denorm_mode_16_64 3
		.amdhsa_dx10_clamp 1
		.amdhsa_ieee_mode 1
		.amdhsa_fp16_overflow 0
		.amdhsa_workgroup_processor_mode 1
		.amdhsa_memory_ordered 1
		.amdhsa_forward_progress 1
		.amdhsa_shared_vgpr_count 0
		.amdhsa_exception_fp_ieee_invalid_op 0
		.amdhsa_exception_fp_denorm_src 0
		.amdhsa_exception_fp_ieee_div_zero 0
		.amdhsa_exception_fp_ieee_overflow 0
		.amdhsa_exception_fp_ieee_underflow 0
		.amdhsa_exception_fp_ieee_inexact 0
		.amdhsa_exception_int_div_zero 0
	.end_amdhsa_kernel
	.section	.text._ZL29rocblas_internal_gemmt_kernelIlLi16ELi32ELi8ELc67ELc84ELc85ELb0ELb0EfPKfPKS1_PKPfEviT_T9_T10_S7_lS9_S7_lS8_T11_S7_li,"axG",@progbits,_ZL29rocblas_internal_gemmt_kernelIlLi16ELi32ELi8ELc67ELc84ELc85ELb0ELb0EfPKfPKS1_PKPfEviT_T9_T10_S7_lS9_S7_lS8_T11_S7_li,comdat
.Lfunc_end439:
	.size	_ZL29rocblas_internal_gemmt_kernelIlLi16ELi32ELi8ELc67ELc84ELc85ELb0ELb0EfPKfPKS1_PKPfEviT_T9_T10_S7_lS9_S7_lS8_T11_S7_li, .Lfunc_end439-_ZL29rocblas_internal_gemmt_kernelIlLi16ELi32ELi8ELc67ELc84ELc85ELb0ELb0EfPKfPKS1_PKPfEviT_T9_T10_S7_lS9_S7_lS8_T11_S7_li
                                        ; -- End function
	.set _ZL29rocblas_internal_gemmt_kernelIlLi16ELi32ELi8ELc67ELc84ELc85ELb0ELb0EfPKfPKS1_PKPfEviT_T9_T10_S7_lS9_S7_lS8_T11_S7_li.num_vgpr, 46
	.set _ZL29rocblas_internal_gemmt_kernelIlLi16ELi32ELi8ELc67ELc84ELc85ELb0ELb0EfPKfPKS1_PKPfEviT_T9_T10_S7_lS9_S7_lS8_T11_S7_li.num_agpr, 0
	.set _ZL29rocblas_internal_gemmt_kernelIlLi16ELi32ELi8ELc67ELc84ELc85ELb0ELb0EfPKfPKS1_PKPfEviT_T9_T10_S7_lS9_S7_lS8_T11_S7_li.numbered_sgpr, 44
	.set _ZL29rocblas_internal_gemmt_kernelIlLi16ELi32ELi8ELc67ELc84ELc85ELb0ELb0EfPKfPKS1_PKPfEviT_T9_T10_S7_lS9_S7_lS8_T11_S7_li.num_named_barrier, 0
	.set _ZL29rocblas_internal_gemmt_kernelIlLi16ELi32ELi8ELc67ELc84ELc85ELb0ELb0EfPKfPKS1_PKPfEviT_T9_T10_S7_lS9_S7_lS8_T11_S7_li.private_seg_size, 0
	.set _ZL29rocblas_internal_gemmt_kernelIlLi16ELi32ELi8ELc67ELc84ELc85ELb0ELb0EfPKfPKS1_PKPfEviT_T9_T10_S7_lS9_S7_lS8_T11_S7_li.uses_vcc, 1
	.set _ZL29rocblas_internal_gemmt_kernelIlLi16ELi32ELi8ELc67ELc84ELc85ELb0ELb0EfPKfPKS1_PKPfEviT_T9_T10_S7_lS9_S7_lS8_T11_S7_li.uses_flat_scratch, 0
	.set _ZL29rocblas_internal_gemmt_kernelIlLi16ELi32ELi8ELc67ELc84ELc85ELb0ELb0EfPKfPKS1_PKPfEviT_T9_T10_S7_lS9_S7_lS8_T11_S7_li.has_dyn_sized_stack, 0
	.set _ZL29rocblas_internal_gemmt_kernelIlLi16ELi32ELi8ELc67ELc84ELc85ELb0ELb0EfPKfPKS1_PKPfEviT_T9_T10_S7_lS9_S7_lS8_T11_S7_li.has_recursion, 0
	.set _ZL29rocblas_internal_gemmt_kernelIlLi16ELi32ELi8ELc67ELc84ELc85ELb0ELb0EfPKfPKS1_PKPfEviT_T9_T10_S7_lS9_S7_lS8_T11_S7_li.has_indirect_call, 0
	.section	.AMDGPU.csdata,"",@progbits
; Kernel info:
; codeLenInByte = 1432
; TotalNumSgprs: 46
; NumVgprs: 46
; ScratchSize: 0
; MemoryBound: 0
; FloatMode: 240
; IeeeMode: 1
; LDSByteSize: 2048 bytes/workgroup (compile time only)
; SGPRBlocks: 0
; VGPRBlocks: 5
; NumSGPRsForWavesPerEU: 46
; NumVGPRsForWavesPerEU: 46
; Occupancy: 16
; WaveLimiterHint : 1
; COMPUTE_PGM_RSRC2:SCRATCH_EN: 0
; COMPUTE_PGM_RSRC2:USER_SGPR: 6
; COMPUTE_PGM_RSRC2:TRAP_HANDLER: 0
; COMPUTE_PGM_RSRC2:TGID_X_EN: 1
; COMPUTE_PGM_RSRC2:TGID_Y_EN: 1
; COMPUTE_PGM_RSRC2:TGID_Z_EN: 1
; COMPUTE_PGM_RSRC2:TIDIG_COMP_CNT: 1
	.section	.text._ZL29rocblas_internal_gemmt_kernelIlLi16ELi32ELi8ELc67ELc67ELc85ELb0ELb0EfPKfPKS1_PKPfEviT_T9_T10_S7_lS9_S7_lS8_T11_S7_li,"axG",@progbits,_ZL29rocblas_internal_gemmt_kernelIlLi16ELi32ELi8ELc67ELc67ELc85ELb0ELb0EfPKfPKS1_PKPfEviT_T9_T10_S7_lS9_S7_lS8_T11_S7_li,comdat
	.globl	_ZL29rocblas_internal_gemmt_kernelIlLi16ELi32ELi8ELc67ELc67ELc85ELb0ELb0EfPKfPKS1_PKPfEviT_T9_T10_S7_lS9_S7_lS8_T11_S7_li ; -- Begin function _ZL29rocblas_internal_gemmt_kernelIlLi16ELi32ELi8ELc67ELc67ELc85ELb0ELb0EfPKfPKS1_PKPfEviT_T9_T10_S7_lS9_S7_lS8_T11_S7_li
	.p2align	8
	.type	_ZL29rocblas_internal_gemmt_kernelIlLi16ELi32ELi8ELc67ELc67ELc85ELb0ELb0EfPKfPKS1_PKPfEviT_T9_T10_S7_lS9_S7_lS8_T11_S7_li,@function
_ZL29rocblas_internal_gemmt_kernelIlLi16ELi32ELi8ELc67ELc67ELc85ELb0ELb0EfPKfPKS1_PKPfEviT_T9_T10_S7_lS9_S7_lS8_T11_S7_li: ; @_ZL29rocblas_internal_gemmt_kernelIlLi16ELi32ELi8ELc67ELc67ELc85ELb0ELb0EfPKfPKS1_PKPfEviT_T9_T10_S7_lS9_S7_lS8_T11_S7_li
; %bb.0:
	s_clause 0x1
	s_load_dwordx8 s[36:43], s[4:5], 0x48
	s_load_dwordx16 s[12:27], s[4:5], 0x8
	s_waitcnt lgkmcnt(0)
	s_load_dword s10, s[36:37], 0x0
	s_load_dword s11, s[14:15], 0x0
	s_waitcnt lgkmcnt(0)
	v_cmp_neq_f32_e64 s0, s10, 1.0
	s_and_b32 vcc_lo, exec_lo, s0
	s_cbranch_vccnz .LBB440_2
; %bb.1:
	v_cmp_neq_f32_e64 s0, s11, 0
	s_cmp_lg_u64 s[12:13], 0
	s_cselect_b32 s1, -1, 0
	s_and_b32 s0, s1, s0
.LBB440_2:
	s_andn2_b32 vcc_lo, exec_lo, s0
	s_cbranch_vccnz .LBB440_28
; %bb.3:
	s_mov_b32 s9, 0
	v_mov_b32_e32 v5, 0
	s_lshl_b64 s[0:1], s[8:9], 3
	v_mov_b32_e32 v4, 0
	s_add_u32 s2, s38, s0
	s_addc_u32 s3, s39, s1
	s_load_dword s8, s[4:5], 0x0
	s_load_dwordx2 s[2:3], s[2:3], 0x0
	v_cmp_lt_i64_e64 s4, s[12:13], 1
	v_cmp_eq_f32_e64 s5, s11, 0
	v_mov_b32_e32 v7, 0
	v_mov_b32_e32 v6, 0
	s_lshl_b32 s6, s6, 5
	s_lshl_b32 s7, s7, 5
	s_or_b32 s4, s5, s4
	s_and_b32 vcc_lo, exec_lo, s4
	s_cbranch_vccnz .LBB440_12
; %bb.4:
	s_add_u32 s4, s22, s0
	s_addc_u32 s5, s23, s1
	s_lshl_b64 s[14:15], s[26:27], 2
	s_load_dwordx2 s[4:5], s[4:5], 0x0
	v_lshl_add_u32 v2, v1, 4, v0
	v_and_b32_e32 v8, 7, v0
	v_lshlrev_b32_e32 v9, 2, v0
	v_lshl_add_u32 v10, v1, 5, 0x400
	v_mov_b32_e32 v3, 0
	v_and_b32_e32 v5, 31, v2
	v_lshrrev_b32_e32 v12, 3, v2
	v_lshrrev_b32_e32 v11, 5, v2
	v_lshlrev_b32_e32 v2, 2, v8
	v_mov_b32_e32 v6, 0
	v_or_b32_e32 v17, s6, v5
	v_add_nc_u32_e32 v13, s7, v12
	v_lshlrev_b32_e32 v5, 2, v5
	v_lshl_or_b32 v2, v12, 5, v2
	v_mov_b32_e32 v7, 0
	v_mul_lo_u32 v18, s19, v17
	v_mad_u64_u32 v[15:16], null, s18, v17, 0
	v_ashrrev_i32_e32 v14, 31, v13
	s_waitcnt lgkmcnt(0)
	s_add_u32 s9, s4, s14
	s_addc_u32 s14, s5, s15
	s_add_u32 s0, s16, s0
	s_addc_u32 s1, s17, s1
	s_lshl_b64 s[4:5], s[20:21], 2
	s_load_dwordx2 s[0:1], s[0:1], 0x0
	v_mov_b32_e32 v4, 0
	v_lshl_or_b32 v12, v11, 7, v5
	v_mov_b32_e32 v5, 0
	s_waitcnt lgkmcnt(0)
	s_add_u32 s4, s0, s4
	s_addc_u32 s5, s1, s5
	s_ashr_i32 s0, s6, 31
	s_mul_i32 s1, s18, s0
	v_cmp_gt_i32_e64 s0, s8, v17
	v_add3_u32 v16, v16, s1, v18
	v_lshlrev_b64 v[17:18], 2, v[13:14]
	v_cmp_gt_i32_e64 s1, s8, v13
	v_add_nc_u32_e32 v13, 0x400, v2
	v_lshlrev_b64 v[19:20], 2, v[15:16]
	v_add_co_u32 v14, vcc_lo, s9, v17
	v_add_co_ci_u32_e64 v15, null, s14, v18, vcc_lo
	v_add_co_u32 v16, vcc_lo, s4, v19
	v_add_co_ci_u32_e64 v17, null, s5, v20, vcc_lo
	s_mov_b64 s[4:5], 0
	s_branch .LBB440_6
.LBB440_5:                              ;   in Loop: Header=BB440_6 Depth=1
	s_or_b32 exec_lo, exec_lo, s9
	s_waitcnt vmcnt(0) lgkmcnt(0)
	ds_write_b32 v13, v19
	s_waitcnt lgkmcnt(0)
	s_barrier
	buffer_gl0_inv
	ds_read_b128 v[18:21], v10
	ds_read2_b32 v[34:35], v9 offset1:16
	ds_read_b128 v[22:25], v10 offset:512
	ds_read2_b32 v[36:37], v9 offset0:32 offset1:48
	ds_read2_b32 v[38:39], v9 offset0:64 offset1:80
	;; [unrolled: 1-line block ×3, first 2 shown]
	ds_read_b128 v[26:29], v10 offset:16
	ds_read2_b32 v[42:43], v9 offset0:128 offset1:144
	ds_read_b128 v[30:33], v10 offset:528
	ds_read2_b32 v[44:45], v9 offset0:160 offset1:176
	s_add_u32 s4, s4, 8
	s_addc_u32 s5, s5, 0
	v_cmp_gt_i64_e64 s9, s[12:13], s[4:5]
	s_and_b32 vcc_lo, exec_lo, s9
	s_waitcnt lgkmcnt(8)
	v_fmac_f32_e32 v5, v34, v18
	v_fmac_f32_e32 v4, v35, v18
	s_waitcnt lgkmcnt(7)
	v_fmac_f32_e32 v7, v34, v22
	v_fmac_f32_e32 v6, v35, v22
	ds_read2_b32 v[34:35], v9 offset0:192 offset1:208
	s_waitcnt lgkmcnt(7)
	v_fmac_f32_e32 v5, v36, v19
	v_fmac_f32_e32 v4, v37, v19
	;; [unrolled: 1-line block ×4, first 2 shown]
	ds_read2_b32 v[18:19], v9 offset0:224 offset1:240
	s_waitcnt lgkmcnt(7)
	v_fmac_f32_e32 v5, v38, v20
	v_fmac_f32_e32 v4, v39, v20
	;; [unrolled: 1-line block ×4, first 2 shown]
	s_waitcnt lgkmcnt(0)
	v_fmac_f32_e32 v5, v40, v21
	v_fmac_f32_e32 v4, v41, v21
	;; [unrolled: 1-line block ×4, first 2 shown]
	s_barrier
	v_fmac_f32_e32 v5, v42, v26
	v_fmac_f32_e32 v4, v43, v26
	;; [unrolled: 1-line block ×4, first 2 shown]
	buffer_gl0_inv
	v_fmac_f32_e32 v5, v44, v27
	v_fmac_f32_e32 v4, v45, v27
	;; [unrolled: 1-line block ×12, first 2 shown]
	s_cbranch_vccz .LBB440_12
.LBB440_6:                              ; =>This Inner Loop Header: Depth=1
	v_mov_b32_e32 v18, 0
	s_and_saveexec_b32 s9, s0
	s_cbranch_execz .LBB440_10
; %bb.7:                                ;   in Loop: Header=BB440_6 Depth=1
	v_add_nc_u32_e32 v2, s4, v11
	v_mov_b32_e32 v18, 0
	s_mov_b32 s14, exec_lo
	v_cmpx_gt_u64_e64 s[12:13], v[2:3]
	s_cbranch_execz .LBB440_9
; %bb.8:                                ;   in Loop: Header=BB440_6 Depth=1
	v_lshlrev_b64 v[18:19], 2, v[2:3]
	v_add_co_u32 v18, vcc_lo, v16, v18
	v_add_co_ci_u32_e64 v19, null, v17, v19, vcc_lo
	flat_load_dword v18, v[18:19]
.LBB440_9:                              ;   in Loop: Header=BB440_6 Depth=1
	s_or_b32 exec_lo, exec_lo, s14
.LBB440_10:                             ;   in Loop: Header=BB440_6 Depth=1
	s_or_b32 exec_lo, exec_lo, s9
	v_add_nc_u32_e32 v2, s4, v8
	v_mov_b32_e32 v19, 0
	s_waitcnt vmcnt(0) lgkmcnt(0)
	ds_write_b32 v12, v18
	v_cmp_gt_u64_e32 vcc_lo, s[12:13], v[2:3]
	s_and_b32 s14, vcc_lo, s1
	s_and_saveexec_b32 s9, s14
	s_cbranch_execz .LBB440_5
; %bb.11:                               ;   in Loop: Header=BB440_6 Depth=1
	v_mad_u64_u32 v[18:19], null, s24, v2, 0
	v_mad_u64_u32 v[19:20], null, s25, v2, v[19:20]
	v_lshlrev_b64 v[18:19], 2, v[18:19]
	v_add_co_u32 v18, vcc_lo, v14, v18
	v_add_co_ci_u32_e64 v19, null, v15, v19, vcc_lo
	flat_load_dword v19, v[18:19]
	s_branch .LBB440_5
.LBB440_12:
	v_add_nc_u32_e32 v9, s7, v1
	v_add_nc_u32_e32 v0, s6, v0
	s_lshl_b64 s[0:1], s[42:43], 2
	v_cmp_neq_f32_e64 s4, s10, 0
	s_waitcnt lgkmcnt(0)
	s_add_u32 s2, s2, s0
	v_ashrrev_i32_e32 v3, 31, v9
	v_mul_lo_u32 v8, s41, v9
	v_mad_u64_u32 v[1:2], null, s40, v9, 0
	s_addc_u32 s3, s3, s1
	v_mul_lo_u32 v3, s40, v3
	v_cmp_gt_i32_e64 s0, s8, v9
	v_cmp_le_i32_e32 vcc_lo, v0, v9
	s_and_b32 s5, s0, vcc_lo
	v_add3_u32 v2, v2, v3, v8
	v_cndmask_b32_e64 v8, 0, 1, s4
	v_lshlrev_b64 v[2:3], 2, v[1:2]
	v_ashrrev_i32_e32 v1, 31, v0
	v_add_co_u32 v10, s1, s2, v2
	v_add_co_ci_u32_e64 v11, null, s3, v3, s1
	s_and_saveexec_b32 s1, s5
	s_cbranch_execz .LBB440_16
; %bb.13:
	v_lshlrev_b64 v[2:3], 2, v[0:1]
	v_mul_f32_e32 v5, s11, v5
	v_add_co_u32 v2, vcc_lo, v10, v2
	v_add_co_ci_u32_e64 v3, null, v11, v3, vcc_lo
	s_andn2_b32 vcc_lo, exec_lo, s4
	s_cbranch_vccnz .LBB440_15
; %bb.14:
	flat_load_dword v12, v[2:3]
	s_waitcnt vmcnt(0) lgkmcnt(0)
	v_fmac_f32_e32 v5, s10, v12
.LBB440_15:
	flat_store_dword v[2:3], v5
.LBB440_16:
	s_or_b32 exec_lo, exec_lo, s1
	v_add_nc_u32_e32 v2, 16, v0
	v_cmp_le_i32_e32 vcc_lo, v2, v9
	v_ashrrev_i32_e32 v3, 31, v2
	s_and_b32 s0, s0, vcc_lo
	s_and_saveexec_b32 s1, s0
	s_cbranch_execz .LBB440_20
; %bb.17:
	v_lshlrev_b64 v[13:14], 2, v[2:3]
	v_mul_f32_e32 v12, s11, v4
	v_cmp_ne_u32_e32 vcc_lo, 1, v8
	v_add_co_u32 v4, s0, v10, v13
	v_add_co_ci_u32_e64 v5, null, v11, v14, s0
	s_cbranch_vccnz .LBB440_19
; %bb.18:
	flat_load_dword v10, v[4:5]
	s_waitcnt vmcnt(0) lgkmcnt(0)
	v_fmac_f32_e32 v12, s10, v10
.LBB440_19:
	flat_store_dword v[4:5], v12
.LBB440_20:
	s_or_b32 exec_lo, exec_lo, s1
	v_add_nc_u32_e32 v9, 16, v9
	v_ashrrev_i32_e32 v10, 31, v9
	v_mul_lo_u32 v11, s41, v9
	v_mad_u64_u32 v[4:5], null, s40, v9, 0
	v_cmp_gt_i32_e64 s0, s8, v9
	v_mul_lo_u32 v10, s40, v10
	v_cmp_le_i32_e32 vcc_lo, v0, v9
	v_add3_u32 v5, v5, v10, v11
	v_lshlrev_b64 v[4:5], 2, v[4:5]
	v_add_co_u32 v4, s1, s2, v4
	v_add_co_ci_u32_e64 v5, null, s3, v5, s1
	s_and_b32 s1, s0, vcc_lo
	s_and_saveexec_b32 s2, s1
	s_cbranch_execz .LBB440_24
; %bb.21:
	v_lshlrev_b64 v[0:1], 2, v[0:1]
	v_cmp_ne_u32_e32 vcc_lo, 1, v8
	v_mul_f32_e32 v7, s11, v7
	v_add_co_u32 v0, s1, v4, v0
	v_add_co_ci_u32_e64 v1, null, v5, v1, s1
	s_cbranch_vccnz .LBB440_23
; %bb.22:
	flat_load_dword v10, v[0:1]
	s_waitcnt vmcnt(0) lgkmcnt(0)
	v_fmac_f32_e32 v7, s10, v10
.LBB440_23:
	flat_store_dword v[0:1], v7
.LBB440_24:
	s_or_b32 exec_lo, exec_lo, s2
	v_cmp_le_i32_e32 vcc_lo, v2, v9
	s_and_b32 s0, s0, vcc_lo
	s_and_saveexec_b32 s1, s0
	s_cbranch_execz .LBB440_28
; %bb.25:
	v_lshlrev_b64 v[0:1], 2, v[2:3]
	v_cmp_ne_u32_e32 vcc_lo, 1, v8
	v_mul_f32_e32 v2, s11, v6
	v_add_co_u32 v0, s0, v4, v0
	v_add_co_ci_u32_e64 v1, null, v5, v1, s0
	s_cbranch_vccnz .LBB440_27
; %bb.26:
	flat_load_dword v3, v[0:1]
	s_waitcnt vmcnt(0) lgkmcnt(0)
	v_fmac_f32_e32 v2, s10, v3
.LBB440_27:
	flat_store_dword v[0:1], v2
.LBB440_28:
	s_endpgm
	.section	.rodata,"a",@progbits
	.p2align	6, 0x0
	.amdhsa_kernel _ZL29rocblas_internal_gemmt_kernelIlLi16ELi32ELi8ELc67ELc67ELc85ELb0ELb0EfPKfPKS1_PKPfEviT_T9_T10_S7_lS9_S7_lS8_T11_S7_li
		.amdhsa_group_segment_fixed_size 2048
		.amdhsa_private_segment_fixed_size 0
		.amdhsa_kernarg_size 108
		.amdhsa_user_sgpr_count 6
		.amdhsa_user_sgpr_private_segment_buffer 1
		.amdhsa_user_sgpr_dispatch_ptr 0
		.amdhsa_user_sgpr_queue_ptr 0
		.amdhsa_user_sgpr_kernarg_segment_ptr 1
		.amdhsa_user_sgpr_dispatch_id 0
		.amdhsa_user_sgpr_flat_scratch_init 0
		.amdhsa_user_sgpr_private_segment_size 0
		.amdhsa_wavefront_size32 1
		.amdhsa_uses_dynamic_stack 0
		.amdhsa_system_sgpr_private_segment_wavefront_offset 0
		.amdhsa_system_sgpr_workgroup_id_x 1
		.amdhsa_system_sgpr_workgroup_id_y 1
		.amdhsa_system_sgpr_workgroup_id_z 1
		.amdhsa_system_sgpr_workgroup_info 0
		.amdhsa_system_vgpr_workitem_id 1
		.amdhsa_next_free_vgpr 46
		.amdhsa_next_free_sgpr 44
		.amdhsa_reserve_vcc 1
		.amdhsa_reserve_flat_scratch 0
		.amdhsa_float_round_mode_32 0
		.amdhsa_float_round_mode_16_64 0
		.amdhsa_float_denorm_mode_32 3
		.amdhsa_float_denorm_mode_16_64 3
		.amdhsa_dx10_clamp 1
		.amdhsa_ieee_mode 1
		.amdhsa_fp16_overflow 0
		.amdhsa_workgroup_processor_mode 1
		.amdhsa_memory_ordered 1
		.amdhsa_forward_progress 1
		.amdhsa_shared_vgpr_count 0
		.amdhsa_exception_fp_ieee_invalid_op 0
		.amdhsa_exception_fp_denorm_src 0
		.amdhsa_exception_fp_ieee_div_zero 0
		.amdhsa_exception_fp_ieee_overflow 0
		.amdhsa_exception_fp_ieee_underflow 0
		.amdhsa_exception_fp_ieee_inexact 0
		.amdhsa_exception_int_div_zero 0
	.end_amdhsa_kernel
	.section	.text._ZL29rocblas_internal_gemmt_kernelIlLi16ELi32ELi8ELc67ELc67ELc85ELb0ELb0EfPKfPKS1_PKPfEviT_T9_T10_S7_lS9_S7_lS8_T11_S7_li,"axG",@progbits,_ZL29rocblas_internal_gemmt_kernelIlLi16ELi32ELi8ELc67ELc67ELc85ELb0ELb0EfPKfPKS1_PKPfEviT_T9_T10_S7_lS9_S7_lS8_T11_S7_li,comdat
.Lfunc_end440:
	.size	_ZL29rocblas_internal_gemmt_kernelIlLi16ELi32ELi8ELc67ELc67ELc85ELb0ELb0EfPKfPKS1_PKPfEviT_T9_T10_S7_lS9_S7_lS8_T11_S7_li, .Lfunc_end440-_ZL29rocblas_internal_gemmt_kernelIlLi16ELi32ELi8ELc67ELc67ELc85ELb0ELb0EfPKfPKS1_PKPfEviT_T9_T10_S7_lS9_S7_lS8_T11_S7_li
                                        ; -- End function
	.set _ZL29rocblas_internal_gemmt_kernelIlLi16ELi32ELi8ELc67ELc67ELc85ELb0ELb0EfPKfPKS1_PKPfEviT_T9_T10_S7_lS9_S7_lS8_T11_S7_li.num_vgpr, 46
	.set _ZL29rocblas_internal_gemmt_kernelIlLi16ELi32ELi8ELc67ELc67ELc85ELb0ELb0EfPKfPKS1_PKPfEviT_T9_T10_S7_lS9_S7_lS8_T11_S7_li.num_agpr, 0
	.set _ZL29rocblas_internal_gemmt_kernelIlLi16ELi32ELi8ELc67ELc67ELc85ELb0ELb0EfPKfPKS1_PKPfEviT_T9_T10_S7_lS9_S7_lS8_T11_S7_li.numbered_sgpr, 44
	.set _ZL29rocblas_internal_gemmt_kernelIlLi16ELi32ELi8ELc67ELc67ELc85ELb0ELb0EfPKfPKS1_PKPfEviT_T9_T10_S7_lS9_S7_lS8_T11_S7_li.num_named_barrier, 0
	.set _ZL29rocblas_internal_gemmt_kernelIlLi16ELi32ELi8ELc67ELc67ELc85ELb0ELb0EfPKfPKS1_PKPfEviT_T9_T10_S7_lS9_S7_lS8_T11_S7_li.private_seg_size, 0
	.set _ZL29rocblas_internal_gemmt_kernelIlLi16ELi32ELi8ELc67ELc67ELc85ELb0ELb0EfPKfPKS1_PKPfEviT_T9_T10_S7_lS9_S7_lS8_T11_S7_li.uses_vcc, 1
	.set _ZL29rocblas_internal_gemmt_kernelIlLi16ELi32ELi8ELc67ELc67ELc85ELb0ELb0EfPKfPKS1_PKPfEviT_T9_T10_S7_lS9_S7_lS8_T11_S7_li.uses_flat_scratch, 0
	.set _ZL29rocblas_internal_gemmt_kernelIlLi16ELi32ELi8ELc67ELc67ELc85ELb0ELb0EfPKfPKS1_PKPfEviT_T9_T10_S7_lS9_S7_lS8_T11_S7_li.has_dyn_sized_stack, 0
	.set _ZL29rocblas_internal_gemmt_kernelIlLi16ELi32ELi8ELc67ELc67ELc85ELb0ELb0EfPKfPKS1_PKPfEviT_T9_T10_S7_lS9_S7_lS8_T11_S7_li.has_recursion, 0
	.set _ZL29rocblas_internal_gemmt_kernelIlLi16ELi32ELi8ELc67ELc67ELc85ELb0ELb0EfPKfPKS1_PKPfEviT_T9_T10_S7_lS9_S7_lS8_T11_S7_li.has_indirect_call, 0
	.section	.AMDGPU.csdata,"",@progbits
; Kernel info:
; codeLenInByte = 1432
; TotalNumSgprs: 46
; NumVgprs: 46
; ScratchSize: 0
; MemoryBound: 0
; FloatMode: 240
; IeeeMode: 1
; LDSByteSize: 2048 bytes/workgroup (compile time only)
; SGPRBlocks: 0
; VGPRBlocks: 5
; NumSGPRsForWavesPerEU: 46
; NumVGPRsForWavesPerEU: 46
; Occupancy: 16
; WaveLimiterHint : 1
; COMPUTE_PGM_RSRC2:SCRATCH_EN: 0
; COMPUTE_PGM_RSRC2:USER_SGPR: 6
; COMPUTE_PGM_RSRC2:TRAP_HANDLER: 0
; COMPUTE_PGM_RSRC2:TGID_X_EN: 1
; COMPUTE_PGM_RSRC2:TGID_Y_EN: 1
; COMPUTE_PGM_RSRC2:TGID_Z_EN: 1
; COMPUTE_PGM_RSRC2:TIDIG_COMP_CNT: 1
	.section	.text._ZL29rocblas_internal_gemmt_kernelIlLi16ELi32ELi8ELc78ELc78ELc76ELb0ELb0EfPKfPKS1_PKPfEviT_T9_T10_S7_lS9_S7_lS8_T11_S7_li,"axG",@progbits,_ZL29rocblas_internal_gemmt_kernelIlLi16ELi32ELi8ELc78ELc78ELc76ELb0ELb0EfPKfPKS1_PKPfEviT_T9_T10_S7_lS9_S7_lS8_T11_S7_li,comdat
	.globl	_ZL29rocblas_internal_gemmt_kernelIlLi16ELi32ELi8ELc78ELc78ELc76ELb0ELb0EfPKfPKS1_PKPfEviT_T9_T10_S7_lS9_S7_lS8_T11_S7_li ; -- Begin function _ZL29rocblas_internal_gemmt_kernelIlLi16ELi32ELi8ELc78ELc78ELc76ELb0ELb0EfPKfPKS1_PKPfEviT_T9_T10_S7_lS9_S7_lS8_T11_S7_li
	.p2align	8
	.type	_ZL29rocblas_internal_gemmt_kernelIlLi16ELi32ELi8ELc78ELc78ELc76ELb0ELb0EfPKfPKS1_PKPfEviT_T9_T10_S7_lS9_S7_lS8_T11_S7_li,@function
_ZL29rocblas_internal_gemmt_kernelIlLi16ELi32ELi8ELc78ELc78ELc76ELb0ELb0EfPKfPKS1_PKPfEviT_T9_T10_S7_lS9_S7_lS8_T11_S7_li: ; @_ZL29rocblas_internal_gemmt_kernelIlLi16ELi32ELi8ELc78ELc78ELc76ELb0ELb0EfPKfPKS1_PKPfEviT_T9_T10_S7_lS9_S7_lS8_T11_S7_li
; %bb.0:
	s_clause 0x1
	s_load_dwordx8 s[36:43], s[4:5], 0x48
	s_load_dwordx16 s[12:27], s[4:5], 0x8
	s_waitcnt lgkmcnt(0)
	s_load_dword s10, s[36:37], 0x0
	s_load_dword s11, s[14:15], 0x0
	s_waitcnt lgkmcnt(0)
	v_cmp_neq_f32_e64 s0, s10, 1.0
	s_and_b32 vcc_lo, exec_lo, s0
	s_cbranch_vccnz .LBB441_2
; %bb.1:
	v_cmp_neq_f32_e64 s0, s11, 0
	s_cmp_lg_u64 s[12:13], 0
	s_cselect_b32 s1, -1, 0
	s_and_b32 s0, s1, s0
.LBB441_2:
	s_andn2_b32 vcc_lo, exec_lo, s0
	s_cbranch_vccnz .LBB441_28
; %bb.3:
	s_mov_b32 s9, 0
	v_mov_b32_e32 v8, 0
	s_lshl_b64 s[0:1], s[8:9], 3
	v_mov_b32_e32 v4, 0
	s_add_u32 s2, s38, s0
	s_addc_u32 s3, s39, s1
	s_load_dword s8, s[4:5], 0x0
	s_load_dwordx2 s[2:3], s[2:3], 0x0
	v_cmp_lt_i64_e64 s4, s[12:13], 1
	v_cmp_eq_f32_e64 s5, s11, 0
	v_mov_b32_e32 v7, 0
	v_mov_b32_e32 v6, 0
	s_lshl_b32 s6, s6, 5
	s_lshl_b32 s7, s7, 5
	s_or_b32 s4, s5, s4
	s_and_b32 vcc_lo, exec_lo, s4
	s_cbranch_vccnz .LBB441_12
; %bb.4:
	s_add_u32 s4, s22, s0
	s_addc_u32 s5, s23, s1
	v_lshl_add_u32 v2, v1, 4, v0
	s_load_dwordx2 s[4:5], s[4:5], 0x0
	s_lshl_b64 s[14:15], s[26:27], 2
	v_and_b32_e32 v5, 7, v0
	v_lshlrev_b32_e32 v9, 2, v0
	v_lshrrev_b32_e32 v8, 3, v2
	v_and_b32_e32 v12, 31, v2
	v_lshrrev_b32_e32 v11, 5, v2
	v_lshlrev_b32_e32 v18, 2, v5
	v_lshl_add_u32 v10, v1, 5, 0x400
	v_add_nc_u32_e32 v19, s7, v8
	v_or_b32_e32 v15, s6, v12
	v_lshlrev_b32_e32 v2, 2, v12
	v_lshl_or_b32 v8, v8, 5, v18
	v_mov_b32_e32 v3, 0
	v_ashrrev_i32_e32 v4, 31, v19
	v_mul_lo_u32 v16, s25, v19
	v_mad_u64_u32 v[13:14], null, s24, v19, 0
	v_mov_b32_e32 v6, 0
	v_mul_lo_u32 v17, s24, v4
	s_waitcnt lgkmcnt(0)
	s_add_u32 s9, s4, s14
	s_addc_u32 s22, s5, s15
	s_add_u32 s0, s16, s0
	s_addc_u32 s1, s17, s1
	s_lshl_b64 s[14:15], s[20:21], 2
	s_load_dwordx2 s[4:5], s[0:1], 0x0
	v_cmp_gt_i32_e64 s1, s8, v19
	v_add3_u32 v14, v14, v17, v16
	v_ashrrev_i32_e32 v16, 31, v15
	v_cmp_gt_i32_e64 s0, s8, v15
	v_mov_b32_e32 v7, 0
	v_mov_b32_e32 v4, 0
	v_lshlrev_b64 v[17:18], 2, v[13:14]
	v_lshlrev_b64 v[19:20], 2, v[15:16]
	v_lshl_or_b32 v12, v11, 7, v2
	v_add_nc_u32_e32 v13, 0x400, v8
	v_mov_b32_e32 v8, 0
	v_add_co_u32 v14, vcc_lo, s9, v17
	v_add_co_ci_u32_e64 v15, null, s22, v18, vcc_lo
	s_waitcnt lgkmcnt(0)
	s_add_u32 s4, s4, s14
	s_addc_u32 s5, s5, s15
	v_add_co_u32 v16, vcc_lo, s4, v19
	v_add_co_ci_u32_e64 v17, null, s5, v20, vcc_lo
	s_mov_b64 s[4:5], 0
	s_branch .LBB441_6
.LBB441_5:                              ;   in Loop: Header=BB441_6 Depth=1
	s_or_b32 exec_lo, exec_lo, s9
	s_waitcnt vmcnt(0) lgkmcnt(0)
	ds_write_b32 v13, v19
	s_waitcnt lgkmcnt(0)
	s_barrier
	buffer_gl0_inv
	ds_read_b128 v[18:21], v10
	ds_read2_b32 v[34:35], v9 offset1:16
	ds_read_b128 v[22:25], v10 offset:512
	ds_read2_b32 v[36:37], v9 offset0:32 offset1:48
	ds_read2_b32 v[38:39], v9 offset0:64 offset1:80
	;; [unrolled: 1-line block ×3, first 2 shown]
	ds_read_b128 v[26:29], v10 offset:16
	ds_read2_b32 v[42:43], v9 offset0:128 offset1:144
	ds_read_b128 v[30:33], v10 offset:528
	ds_read2_b32 v[44:45], v9 offset0:160 offset1:176
	s_add_u32 s4, s4, 8
	s_addc_u32 s5, s5, 0
	v_cmp_gt_i64_e64 s9, s[12:13], s[4:5]
	s_and_b32 vcc_lo, exec_lo, s9
	s_waitcnt lgkmcnt(8)
	v_fmac_f32_e32 v8, v34, v18
	v_fmac_f32_e32 v4, v35, v18
	s_waitcnt lgkmcnt(7)
	v_fmac_f32_e32 v7, v34, v22
	v_fmac_f32_e32 v6, v35, v22
	ds_read2_b32 v[34:35], v9 offset0:192 offset1:208
	s_waitcnt lgkmcnt(7)
	v_fmac_f32_e32 v8, v36, v19
	v_fmac_f32_e32 v4, v37, v19
	;; [unrolled: 1-line block ×4, first 2 shown]
	ds_read2_b32 v[18:19], v9 offset0:224 offset1:240
	s_waitcnt lgkmcnt(7)
	v_fmac_f32_e32 v8, v38, v20
	v_fmac_f32_e32 v4, v39, v20
	v_fmac_f32_e32 v7, v38, v24
	v_fmac_f32_e32 v6, v39, v24
	s_waitcnt lgkmcnt(0)
	v_fmac_f32_e32 v8, v40, v21
	v_fmac_f32_e32 v4, v41, v21
	;; [unrolled: 1-line block ×4, first 2 shown]
	s_barrier
	v_fmac_f32_e32 v8, v42, v26
	v_fmac_f32_e32 v4, v43, v26
	;; [unrolled: 1-line block ×4, first 2 shown]
	buffer_gl0_inv
	v_fmac_f32_e32 v8, v44, v27
	v_fmac_f32_e32 v4, v45, v27
	v_fmac_f32_e32 v7, v44, v31
	v_fmac_f32_e32 v6, v45, v31
	v_fmac_f32_e32 v8, v34, v28
	v_fmac_f32_e32 v4, v35, v28
	v_fmac_f32_e32 v7, v34, v32
	v_fmac_f32_e32 v6, v35, v32
	v_fmac_f32_e32 v8, v18, v29
	v_fmac_f32_e32 v4, v19, v29
	v_fmac_f32_e32 v7, v18, v33
	v_fmac_f32_e32 v6, v19, v33
	s_cbranch_vccz .LBB441_12
.LBB441_6:                              ; =>This Inner Loop Header: Depth=1
	v_mov_b32_e32 v18, 0
	s_and_saveexec_b32 s9, s0
	s_cbranch_execz .LBB441_10
; %bb.7:                                ;   in Loop: Header=BB441_6 Depth=1
	v_add_nc_u32_e32 v2, s4, v11
	v_mov_b32_e32 v18, 0
	s_mov_b32 s14, exec_lo
	v_cmpx_gt_u64_e64 s[12:13], v[2:3]
	s_cbranch_execz .LBB441_9
; %bb.8:                                ;   in Loop: Header=BB441_6 Depth=1
	v_mad_u64_u32 v[18:19], null, s18, v2, 0
	v_mad_u64_u32 v[19:20], null, s19, v2, v[19:20]
	v_lshlrev_b64 v[18:19], 2, v[18:19]
	v_add_co_u32 v18, vcc_lo, v16, v18
	v_add_co_ci_u32_e64 v19, null, v17, v19, vcc_lo
	flat_load_dword v18, v[18:19]
.LBB441_9:                              ;   in Loop: Header=BB441_6 Depth=1
	s_or_b32 exec_lo, exec_lo, s14
.LBB441_10:                             ;   in Loop: Header=BB441_6 Depth=1
	s_or_b32 exec_lo, exec_lo, s9
	v_add_nc_u32_e32 v2, s4, v5
	v_mov_b32_e32 v19, 0
	s_waitcnt vmcnt(0) lgkmcnt(0)
	ds_write_b32 v12, v18
	v_cmp_gt_u64_e32 vcc_lo, s[12:13], v[2:3]
	s_and_b32 s14, vcc_lo, s1
	s_and_saveexec_b32 s9, s14
	s_cbranch_execz .LBB441_5
; %bb.11:                               ;   in Loop: Header=BB441_6 Depth=1
	v_lshlrev_b64 v[18:19], 2, v[2:3]
	v_add_co_u32 v18, vcc_lo, v14, v18
	v_add_co_ci_u32_e64 v19, null, v15, v19, vcc_lo
	flat_load_dword v19, v[18:19]
	s_branch .LBB441_5
.LBB441_12:
	v_add_nc_u32_e32 v10, s7, v1
	s_lshl_b64 s[0:1], s[42:43], 2
	v_add_nc_u32_e32 v0, s6, v0
	s_waitcnt lgkmcnt(0)
	s_add_u32 s4, s2, s0
	v_cmp_neq_f32_e64 s2, s10, 0
	v_ashrrev_i32_e32 v3, 31, v10
	v_mul_lo_u32 v5, s41, v10
	v_mad_u64_u32 v[1:2], null, s40, v10, 0
	s_addc_u32 s3, s3, s1
	v_mul_lo_u32 v3, s40, v3
	v_cmp_le_i32_e32 vcc_lo, v10, v0
	v_cmp_gt_i32_e64 s0, s8, v0
	v_cndmask_b32_e64 v9, 0, 1, s2
	s_and_b32 s5, vcc_lo, s0
	v_add3_u32 v2, v2, v3, v5
	v_lshlrev_b64 v[2:3], 2, v[1:2]
	v_ashrrev_i32_e32 v1, 31, v0
	v_add_co_u32 v5, s1, s4, v2
	v_add_co_ci_u32_e64 v11, null, s3, v3, s1
	s_and_saveexec_b32 s1, s5
	s_cbranch_execz .LBB441_16
; %bb.13:
	v_lshlrev_b64 v[2:3], 2, v[0:1]
	v_mul_f32_e32 v8, s11, v8
	v_add_co_u32 v2, vcc_lo, v5, v2
	v_add_co_ci_u32_e64 v3, null, v11, v3, vcc_lo
	s_andn2_b32 vcc_lo, exec_lo, s2
	s_cbranch_vccnz .LBB441_15
; %bb.14:
	flat_load_dword v12, v[2:3]
	s_waitcnt vmcnt(0) lgkmcnt(0)
	v_fmac_f32_e32 v8, s10, v12
.LBB441_15:
	flat_store_dword v[2:3], v8
.LBB441_16:
	s_or_b32 exec_lo, exec_lo, s1
	v_add_nc_u32_e32 v2, 16, v0
	v_cmp_le_i32_e32 vcc_lo, v10, v2
	v_cmp_gt_i32_e64 s1, s8, v2
	v_ashrrev_i32_e32 v3, 31, v2
	s_and_b32 s2, vcc_lo, s1
	s_and_saveexec_b32 s5, s2
	s_cbranch_execz .LBB441_20
; %bb.17:
	v_lshlrev_b64 v[12:13], 2, v[2:3]
	v_mul_f32_e32 v8, s11, v4
	v_cmp_ne_u32_e32 vcc_lo, 1, v9
	v_add_co_u32 v4, s2, v5, v12
	v_add_co_ci_u32_e64 v5, null, v11, v13, s2
	s_cbranch_vccnz .LBB441_19
; %bb.18:
	flat_load_dword v11, v[4:5]
	s_waitcnt vmcnt(0) lgkmcnt(0)
	v_fmac_f32_e32 v8, s10, v11
.LBB441_19:
	flat_store_dword v[4:5], v8
.LBB441_20:
	s_or_b32 exec_lo, exec_lo, s5
	v_add_nc_u32_e32 v8, 16, v10
	v_ashrrev_i32_e32 v10, 31, v8
	v_mul_lo_u32 v11, s41, v8
	v_mad_u64_u32 v[4:5], null, s40, v8, 0
	v_cmp_le_i32_e32 vcc_lo, v8, v0
	v_mul_lo_u32 v10, s40, v10
	s_and_b32 s0, vcc_lo, s0
	v_add3_u32 v5, v5, v10, v11
	v_lshlrev_b64 v[4:5], 2, v[4:5]
	v_add_co_u32 v4, s2, s4, v4
	v_add_co_ci_u32_e64 v5, null, s3, v5, s2
	s_and_saveexec_b32 s2, s0
	s_cbranch_execz .LBB441_24
; %bb.21:
	v_lshlrev_b64 v[0:1], 2, v[0:1]
	v_cmp_ne_u32_e32 vcc_lo, 1, v9
	v_mul_f32_e32 v7, s11, v7
	v_add_co_u32 v0, s0, v4, v0
	v_add_co_ci_u32_e64 v1, null, v5, v1, s0
	s_cbranch_vccnz .LBB441_23
; %bb.22:
	flat_load_dword v10, v[0:1]
	s_waitcnt vmcnt(0) lgkmcnt(0)
	v_fmac_f32_e32 v7, s10, v10
.LBB441_23:
	flat_store_dword v[0:1], v7
.LBB441_24:
	s_or_b32 exec_lo, exec_lo, s2
	v_cmp_le_i32_e32 vcc_lo, v8, v2
	s_and_b32 s0, vcc_lo, s1
	s_and_saveexec_b32 s1, s0
	s_cbranch_execz .LBB441_28
; %bb.25:
	v_lshlrev_b64 v[0:1], 2, v[2:3]
	v_cmp_ne_u32_e32 vcc_lo, 1, v9
	v_mul_f32_e32 v2, s11, v6
	v_add_co_u32 v0, s0, v4, v0
	v_add_co_ci_u32_e64 v1, null, v5, v1, s0
	s_cbranch_vccnz .LBB441_27
; %bb.26:
	flat_load_dword v3, v[0:1]
	s_waitcnt vmcnt(0) lgkmcnt(0)
	v_fmac_f32_e32 v2, s10, v3
.LBB441_27:
	flat_store_dword v[0:1], v2
.LBB441_28:
	s_endpgm
	.section	.rodata,"a",@progbits
	.p2align	6, 0x0
	.amdhsa_kernel _ZL29rocblas_internal_gemmt_kernelIlLi16ELi32ELi8ELc78ELc78ELc76ELb0ELb0EfPKfPKS1_PKPfEviT_T9_T10_S7_lS9_S7_lS8_T11_S7_li
		.amdhsa_group_segment_fixed_size 2048
		.amdhsa_private_segment_fixed_size 0
		.amdhsa_kernarg_size 108
		.amdhsa_user_sgpr_count 6
		.amdhsa_user_sgpr_private_segment_buffer 1
		.amdhsa_user_sgpr_dispatch_ptr 0
		.amdhsa_user_sgpr_queue_ptr 0
		.amdhsa_user_sgpr_kernarg_segment_ptr 1
		.amdhsa_user_sgpr_dispatch_id 0
		.amdhsa_user_sgpr_flat_scratch_init 0
		.amdhsa_user_sgpr_private_segment_size 0
		.amdhsa_wavefront_size32 1
		.amdhsa_uses_dynamic_stack 0
		.amdhsa_system_sgpr_private_segment_wavefront_offset 0
		.amdhsa_system_sgpr_workgroup_id_x 1
		.amdhsa_system_sgpr_workgroup_id_y 1
		.amdhsa_system_sgpr_workgroup_id_z 1
		.amdhsa_system_sgpr_workgroup_info 0
		.amdhsa_system_vgpr_workitem_id 1
		.amdhsa_next_free_vgpr 46
		.amdhsa_next_free_sgpr 44
		.amdhsa_reserve_vcc 1
		.amdhsa_reserve_flat_scratch 0
		.amdhsa_float_round_mode_32 0
		.amdhsa_float_round_mode_16_64 0
		.amdhsa_float_denorm_mode_32 3
		.amdhsa_float_denorm_mode_16_64 3
		.amdhsa_dx10_clamp 1
		.amdhsa_ieee_mode 1
		.amdhsa_fp16_overflow 0
		.amdhsa_workgroup_processor_mode 1
		.amdhsa_memory_ordered 1
		.amdhsa_forward_progress 1
		.amdhsa_shared_vgpr_count 0
		.amdhsa_exception_fp_ieee_invalid_op 0
		.amdhsa_exception_fp_denorm_src 0
		.amdhsa_exception_fp_ieee_div_zero 0
		.amdhsa_exception_fp_ieee_overflow 0
		.amdhsa_exception_fp_ieee_underflow 0
		.amdhsa_exception_fp_ieee_inexact 0
		.amdhsa_exception_int_div_zero 0
	.end_amdhsa_kernel
	.section	.text._ZL29rocblas_internal_gemmt_kernelIlLi16ELi32ELi8ELc78ELc78ELc76ELb0ELb0EfPKfPKS1_PKPfEviT_T9_T10_S7_lS9_S7_lS8_T11_S7_li,"axG",@progbits,_ZL29rocblas_internal_gemmt_kernelIlLi16ELi32ELi8ELc78ELc78ELc76ELb0ELb0EfPKfPKS1_PKPfEviT_T9_T10_S7_lS9_S7_lS8_T11_S7_li,comdat
.Lfunc_end441:
	.size	_ZL29rocblas_internal_gemmt_kernelIlLi16ELi32ELi8ELc78ELc78ELc76ELb0ELb0EfPKfPKS1_PKPfEviT_T9_T10_S7_lS9_S7_lS8_T11_S7_li, .Lfunc_end441-_ZL29rocblas_internal_gemmt_kernelIlLi16ELi32ELi8ELc78ELc78ELc76ELb0ELb0EfPKfPKS1_PKPfEviT_T9_T10_S7_lS9_S7_lS8_T11_S7_li
                                        ; -- End function
	.set _ZL29rocblas_internal_gemmt_kernelIlLi16ELi32ELi8ELc78ELc78ELc76ELb0ELb0EfPKfPKS1_PKPfEviT_T9_T10_S7_lS9_S7_lS8_T11_S7_li.num_vgpr, 46
	.set _ZL29rocblas_internal_gemmt_kernelIlLi16ELi32ELi8ELc78ELc78ELc76ELb0ELb0EfPKfPKS1_PKPfEviT_T9_T10_S7_lS9_S7_lS8_T11_S7_li.num_agpr, 0
	.set _ZL29rocblas_internal_gemmt_kernelIlLi16ELi32ELi8ELc78ELc78ELc76ELb0ELb0EfPKfPKS1_PKPfEviT_T9_T10_S7_lS9_S7_lS8_T11_S7_li.numbered_sgpr, 44
	.set _ZL29rocblas_internal_gemmt_kernelIlLi16ELi32ELi8ELc78ELc78ELc76ELb0ELb0EfPKfPKS1_PKPfEviT_T9_T10_S7_lS9_S7_lS8_T11_S7_li.num_named_barrier, 0
	.set _ZL29rocblas_internal_gemmt_kernelIlLi16ELi32ELi8ELc78ELc78ELc76ELb0ELb0EfPKfPKS1_PKPfEviT_T9_T10_S7_lS9_S7_lS8_T11_S7_li.private_seg_size, 0
	.set _ZL29rocblas_internal_gemmt_kernelIlLi16ELi32ELi8ELc78ELc78ELc76ELb0ELb0EfPKfPKS1_PKPfEviT_T9_T10_S7_lS9_S7_lS8_T11_S7_li.uses_vcc, 1
	.set _ZL29rocblas_internal_gemmt_kernelIlLi16ELi32ELi8ELc78ELc78ELc76ELb0ELb0EfPKfPKS1_PKPfEviT_T9_T10_S7_lS9_S7_lS8_T11_S7_li.uses_flat_scratch, 0
	.set _ZL29rocblas_internal_gemmt_kernelIlLi16ELi32ELi8ELc78ELc78ELc76ELb0ELb0EfPKfPKS1_PKPfEviT_T9_T10_S7_lS9_S7_lS8_T11_S7_li.has_dyn_sized_stack, 0
	.set _ZL29rocblas_internal_gemmt_kernelIlLi16ELi32ELi8ELc78ELc78ELc76ELb0ELb0EfPKfPKS1_PKPfEviT_T9_T10_S7_lS9_S7_lS8_T11_S7_li.has_recursion, 0
	.set _ZL29rocblas_internal_gemmt_kernelIlLi16ELi32ELi8ELc78ELc78ELc76ELb0ELb0EfPKfPKS1_PKPfEviT_T9_T10_S7_lS9_S7_lS8_T11_S7_li.has_indirect_call, 0
	.section	.AMDGPU.csdata,"",@progbits
; Kernel info:
; codeLenInByte = 1436
; TotalNumSgprs: 46
; NumVgprs: 46
; ScratchSize: 0
; MemoryBound: 0
; FloatMode: 240
; IeeeMode: 1
; LDSByteSize: 2048 bytes/workgroup (compile time only)
; SGPRBlocks: 0
; VGPRBlocks: 5
; NumSGPRsForWavesPerEU: 46
; NumVGPRsForWavesPerEU: 46
; Occupancy: 16
; WaveLimiterHint : 1
; COMPUTE_PGM_RSRC2:SCRATCH_EN: 0
; COMPUTE_PGM_RSRC2:USER_SGPR: 6
; COMPUTE_PGM_RSRC2:TRAP_HANDLER: 0
; COMPUTE_PGM_RSRC2:TGID_X_EN: 1
; COMPUTE_PGM_RSRC2:TGID_Y_EN: 1
; COMPUTE_PGM_RSRC2:TGID_Z_EN: 1
; COMPUTE_PGM_RSRC2:TIDIG_COMP_CNT: 1
	.section	.text._ZL29rocblas_internal_gemmt_kernelIlLi16ELi32ELi8ELc78ELc84ELc76ELb0ELb0EfPKfPKS1_PKPfEviT_T9_T10_S7_lS9_S7_lS8_T11_S7_li,"axG",@progbits,_ZL29rocblas_internal_gemmt_kernelIlLi16ELi32ELi8ELc78ELc84ELc76ELb0ELb0EfPKfPKS1_PKPfEviT_T9_T10_S7_lS9_S7_lS8_T11_S7_li,comdat
	.globl	_ZL29rocblas_internal_gemmt_kernelIlLi16ELi32ELi8ELc78ELc84ELc76ELb0ELb0EfPKfPKS1_PKPfEviT_T9_T10_S7_lS9_S7_lS8_T11_S7_li ; -- Begin function _ZL29rocblas_internal_gemmt_kernelIlLi16ELi32ELi8ELc78ELc84ELc76ELb0ELb0EfPKfPKS1_PKPfEviT_T9_T10_S7_lS9_S7_lS8_T11_S7_li
	.p2align	8
	.type	_ZL29rocblas_internal_gemmt_kernelIlLi16ELi32ELi8ELc78ELc84ELc76ELb0ELb0EfPKfPKS1_PKPfEviT_T9_T10_S7_lS9_S7_lS8_T11_S7_li,@function
_ZL29rocblas_internal_gemmt_kernelIlLi16ELi32ELi8ELc78ELc84ELc76ELb0ELb0EfPKfPKS1_PKPfEviT_T9_T10_S7_lS9_S7_lS8_T11_S7_li: ; @_ZL29rocblas_internal_gemmt_kernelIlLi16ELi32ELi8ELc78ELc84ELc76ELb0ELb0EfPKfPKS1_PKPfEviT_T9_T10_S7_lS9_S7_lS8_T11_S7_li
; %bb.0:
	s_clause 0x1
	s_load_dwordx8 s[36:43], s[4:5], 0x48
	s_load_dwordx16 s[12:27], s[4:5], 0x8
	s_waitcnt lgkmcnt(0)
	s_load_dword s10, s[36:37], 0x0
	s_load_dword s11, s[14:15], 0x0
	s_waitcnt lgkmcnt(0)
	v_cmp_neq_f32_e64 s0, s10, 1.0
	s_and_b32 vcc_lo, exec_lo, s0
	s_cbranch_vccnz .LBB442_2
; %bb.1:
	v_cmp_neq_f32_e64 s0, s11, 0
	s_cmp_lg_u64 s[12:13], 0
	s_cselect_b32 s1, -1, 0
	s_and_b32 s0, s1, s0
.LBB442_2:
	s_andn2_b32 vcc_lo, exec_lo, s0
	s_cbranch_vccnz .LBB442_28
; %bb.3:
	s_mov_b32 s9, 0
	v_mov_b32_e32 v8, 0
	s_lshl_b64 s[0:1], s[8:9], 3
	v_mov_b32_e32 v4, 0
	s_add_u32 s2, s38, s0
	s_addc_u32 s3, s39, s1
	s_load_dword s8, s[4:5], 0x0
	s_load_dwordx2 s[2:3], s[2:3], 0x0
	v_cmp_lt_i64_e64 s4, s[12:13], 1
	v_cmp_eq_f32_e64 s5, s11, 0
	v_mov_b32_e32 v7, 0
	v_mov_b32_e32 v6, 0
	s_lshl_b32 s6, s6, 5
	s_lshl_b32 s7, s7, 5
	s_or_b32 s4, s5, s4
	s_and_b32 vcc_lo, exec_lo, s4
	s_cbranch_vccnz .LBB442_12
; %bb.4:
	s_add_u32 s4, s22, s0
	s_addc_u32 s5, s23, s1
	s_lshl_b64 s[14:15], s[26:27], 2
	s_load_dwordx2 s[4:5], s[4:5], 0x0
	v_lshl_add_u32 v2, v1, 4, v0
	v_and_b32_e32 v5, 7, v0
	v_lshlrev_b32_e32 v9, 2, v0
	v_lshl_add_u32 v10, v1, 5, 0x400
	v_mov_b32_e32 v3, 0
	v_lshrrev_b32_e32 v8, 3, v2
	v_and_b32_e32 v12, 31, v2
	v_lshlrev_b32_e32 v16, 2, v5
	v_lshrrev_b32_e32 v11, 5, v2
	v_mov_b32_e32 v6, 0
	v_add_nc_u32_e32 v13, s7, v8
	v_or_b32_e32 v15, s6, v12
	v_lshl_or_b32 v8, v8, 5, v16
	v_lshlrev_b32_e32 v2, 2, v12
	v_mov_b32_e32 v7, 0
	v_ashrrev_i32_e32 v14, 31, v13
	v_ashrrev_i32_e32 v16, 31, v15
	v_mov_b32_e32 v4, 0
	v_lshl_or_b32 v12, v11, 7, v2
	s_waitcnt lgkmcnt(0)
	s_add_u32 s9, s4, s14
	s_addc_u32 s22, s5, s15
	s_add_u32 s0, s16, s0
	s_addc_u32 s1, s17, s1
	v_lshlrev_b64 v[17:18], 2, v[13:14]
	s_load_dwordx2 s[4:5], s[0:1], 0x0
	v_lshlrev_b64 v[19:20], 2, v[15:16]
	s_lshl_b64 s[14:15], s[20:21], 2
	v_cmp_gt_i32_e64 s0, s8, v15
	v_cmp_gt_i32_e64 s1, s8, v13
	v_add_co_u32 v14, vcc_lo, s9, v17
	v_add_co_ci_u32_e64 v15, null, s22, v18, vcc_lo
	v_add_nc_u32_e32 v13, 0x400, v8
	v_mov_b32_e32 v8, 0
	s_waitcnt lgkmcnt(0)
	s_add_u32 s4, s4, s14
	s_addc_u32 s5, s5, s15
	v_add_co_u32 v16, vcc_lo, s4, v19
	v_add_co_ci_u32_e64 v17, null, s5, v20, vcc_lo
	s_mov_b64 s[4:5], 0
	s_branch .LBB442_6
.LBB442_5:                              ;   in Loop: Header=BB442_6 Depth=1
	s_or_b32 exec_lo, exec_lo, s9
	s_waitcnt vmcnt(0) lgkmcnt(0)
	ds_write_b32 v13, v19
	s_waitcnt lgkmcnt(0)
	s_barrier
	buffer_gl0_inv
	ds_read_b128 v[18:21], v10
	ds_read2_b32 v[34:35], v9 offset1:16
	ds_read_b128 v[22:25], v10 offset:512
	ds_read2_b32 v[36:37], v9 offset0:32 offset1:48
	ds_read2_b32 v[38:39], v9 offset0:64 offset1:80
	ds_read2_b32 v[40:41], v9 offset0:96 offset1:112
	ds_read_b128 v[26:29], v10 offset:16
	ds_read2_b32 v[42:43], v9 offset0:128 offset1:144
	ds_read_b128 v[30:33], v10 offset:528
	ds_read2_b32 v[44:45], v9 offset0:160 offset1:176
	s_add_u32 s4, s4, 8
	s_addc_u32 s5, s5, 0
	v_cmp_gt_i64_e64 s9, s[12:13], s[4:5]
	s_and_b32 vcc_lo, exec_lo, s9
	s_waitcnt lgkmcnt(8)
	v_fmac_f32_e32 v8, v34, v18
	v_fmac_f32_e32 v4, v35, v18
	s_waitcnt lgkmcnt(7)
	v_fmac_f32_e32 v7, v34, v22
	v_fmac_f32_e32 v6, v35, v22
	ds_read2_b32 v[34:35], v9 offset0:192 offset1:208
	s_waitcnt lgkmcnt(7)
	v_fmac_f32_e32 v8, v36, v19
	v_fmac_f32_e32 v4, v37, v19
	;; [unrolled: 1-line block ×4, first 2 shown]
	ds_read2_b32 v[18:19], v9 offset0:224 offset1:240
	s_waitcnt lgkmcnt(7)
	v_fmac_f32_e32 v8, v38, v20
	v_fmac_f32_e32 v4, v39, v20
	;; [unrolled: 1-line block ×4, first 2 shown]
	s_waitcnt lgkmcnt(0)
	v_fmac_f32_e32 v8, v40, v21
	v_fmac_f32_e32 v4, v41, v21
	v_fmac_f32_e32 v7, v40, v25
	v_fmac_f32_e32 v6, v41, v25
	s_barrier
	v_fmac_f32_e32 v8, v42, v26
	v_fmac_f32_e32 v4, v43, v26
	;; [unrolled: 1-line block ×4, first 2 shown]
	buffer_gl0_inv
	v_fmac_f32_e32 v8, v44, v27
	v_fmac_f32_e32 v4, v45, v27
	;; [unrolled: 1-line block ×12, first 2 shown]
	s_cbranch_vccz .LBB442_12
.LBB442_6:                              ; =>This Inner Loop Header: Depth=1
	v_mov_b32_e32 v18, 0
	s_and_saveexec_b32 s9, s0
	s_cbranch_execz .LBB442_10
; %bb.7:                                ;   in Loop: Header=BB442_6 Depth=1
	v_add_nc_u32_e32 v2, s4, v11
	v_mov_b32_e32 v18, 0
	s_mov_b32 s14, exec_lo
	v_cmpx_gt_u64_e64 s[12:13], v[2:3]
	s_cbranch_execz .LBB442_9
; %bb.8:                                ;   in Loop: Header=BB442_6 Depth=1
	v_mad_u64_u32 v[18:19], null, s18, v2, 0
	v_mad_u64_u32 v[19:20], null, s19, v2, v[19:20]
	v_lshlrev_b64 v[18:19], 2, v[18:19]
	v_add_co_u32 v18, vcc_lo, v16, v18
	v_add_co_ci_u32_e64 v19, null, v17, v19, vcc_lo
	flat_load_dword v18, v[18:19]
.LBB442_9:                              ;   in Loop: Header=BB442_6 Depth=1
	s_or_b32 exec_lo, exec_lo, s14
.LBB442_10:                             ;   in Loop: Header=BB442_6 Depth=1
	s_or_b32 exec_lo, exec_lo, s9
	v_add_nc_u32_e32 v2, s4, v5
	v_mov_b32_e32 v19, 0
	s_waitcnt vmcnt(0) lgkmcnt(0)
	ds_write_b32 v12, v18
	v_cmp_gt_u64_e32 vcc_lo, s[12:13], v[2:3]
	s_and_b32 s14, vcc_lo, s1
	s_and_saveexec_b32 s9, s14
	s_cbranch_execz .LBB442_5
; %bb.11:                               ;   in Loop: Header=BB442_6 Depth=1
	v_mad_u64_u32 v[18:19], null, s24, v2, 0
	v_mad_u64_u32 v[19:20], null, s25, v2, v[19:20]
	v_lshlrev_b64 v[18:19], 2, v[18:19]
	v_add_co_u32 v18, vcc_lo, v14, v18
	v_add_co_ci_u32_e64 v19, null, v15, v19, vcc_lo
	flat_load_dword v19, v[18:19]
	s_branch .LBB442_5
.LBB442_12:
	v_add_nc_u32_e32 v10, s7, v1
	s_lshl_b64 s[0:1], s[42:43], 2
	v_add_nc_u32_e32 v0, s6, v0
	s_waitcnt lgkmcnt(0)
	s_add_u32 s4, s2, s0
	v_cmp_neq_f32_e64 s2, s10, 0
	v_ashrrev_i32_e32 v3, 31, v10
	v_mul_lo_u32 v5, s41, v10
	v_mad_u64_u32 v[1:2], null, s40, v10, 0
	s_addc_u32 s3, s3, s1
	v_mul_lo_u32 v3, s40, v3
	v_cmp_le_i32_e32 vcc_lo, v10, v0
	v_cmp_gt_i32_e64 s0, s8, v0
	v_cndmask_b32_e64 v9, 0, 1, s2
	s_and_b32 s5, vcc_lo, s0
	v_add3_u32 v2, v2, v3, v5
	v_lshlrev_b64 v[2:3], 2, v[1:2]
	v_ashrrev_i32_e32 v1, 31, v0
	v_add_co_u32 v5, s1, s4, v2
	v_add_co_ci_u32_e64 v11, null, s3, v3, s1
	s_and_saveexec_b32 s1, s5
	s_cbranch_execz .LBB442_16
; %bb.13:
	v_lshlrev_b64 v[2:3], 2, v[0:1]
	v_mul_f32_e32 v8, s11, v8
	v_add_co_u32 v2, vcc_lo, v5, v2
	v_add_co_ci_u32_e64 v3, null, v11, v3, vcc_lo
	s_andn2_b32 vcc_lo, exec_lo, s2
	s_cbranch_vccnz .LBB442_15
; %bb.14:
	flat_load_dword v12, v[2:3]
	s_waitcnt vmcnt(0) lgkmcnt(0)
	v_fmac_f32_e32 v8, s10, v12
.LBB442_15:
	flat_store_dword v[2:3], v8
.LBB442_16:
	s_or_b32 exec_lo, exec_lo, s1
	v_add_nc_u32_e32 v2, 16, v0
	v_cmp_le_i32_e32 vcc_lo, v10, v2
	v_cmp_gt_i32_e64 s1, s8, v2
	v_ashrrev_i32_e32 v3, 31, v2
	s_and_b32 s2, vcc_lo, s1
	s_and_saveexec_b32 s5, s2
	s_cbranch_execz .LBB442_20
; %bb.17:
	v_lshlrev_b64 v[12:13], 2, v[2:3]
	v_mul_f32_e32 v8, s11, v4
	v_cmp_ne_u32_e32 vcc_lo, 1, v9
	v_add_co_u32 v4, s2, v5, v12
	v_add_co_ci_u32_e64 v5, null, v11, v13, s2
	s_cbranch_vccnz .LBB442_19
; %bb.18:
	flat_load_dword v11, v[4:5]
	s_waitcnt vmcnt(0) lgkmcnt(0)
	v_fmac_f32_e32 v8, s10, v11
.LBB442_19:
	flat_store_dword v[4:5], v8
.LBB442_20:
	s_or_b32 exec_lo, exec_lo, s5
	v_add_nc_u32_e32 v8, 16, v10
	v_ashrrev_i32_e32 v10, 31, v8
	v_mul_lo_u32 v11, s41, v8
	v_mad_u64_u32 v[4:5], null, s40, v8, 0
	v_cmp_le_i32_e32 vcc_lo, v8, v0
	v_mul_lo_u32 v10, s40, v10
	s_and_b32 s0, vcc_lo, s0
	v_add3_u32 v5, v5, v10, v11
	v_lshlrev_b64 v[4:5], 2, v[4:5]
	v_add_co_u32 v4, s2, s4, v4
	v_add_co_ci_u32_e64 v5, null, s3, v5, s2
	s_and_saveexec_b32 s2, s0
	s_cbranch_execz .LBB442_24
; %bb.21:
	v_lshlrev_b64 v[0:1], 2, v[0:1]
	v_cmp_ne_u32_e32 vcc_lo, 1, v9
	v_mul_f32_e32 v7, s11, v7
	v_add_co_u32 v0, s0, v4, v0
	v_add_co_ci_u32_e64 v1, null, v5, v1, s0
	s_cbranch_vccnz .LBB442_23
; %bb.22:
	flat_load_dword v10, v[0:1]
	s_waitcnt vmcnt(0) lgkmcnt(0)
	v_fmac_f32_e32 v7, s10, v10
.LBB442_23:
	flat_store_dword v[0:1], v7
.LBB442_24:
	s_or_b32 exec_lo, exec_lo, s2
	v_cmp_le_i32_e32 vcc_lo, v8, v2
	s_and_b32 s0, vcc_lo, s1
	s_and_saveexec_b32 s1, s0
	s_cbranch_execz .LBB442_28
; %bb.25:
	v_lshlrev_b64 v[0:1], 2, v[2:3]
	v_cmp_ne_u32_e32 vcc_lo, 1, v9
	v_mul_f32_e32 v2, s11, v6
	v_add_co_u32 v0, s0, v4, v0
	v_add_co_ci_u32_e64 v1, null, v5, v1, s0
	s_cbranch_vccnz .LBB442_27
; %bb.26:
	flat_load_dword v3, v[0:1]
	s_waitcnt vmcnt(0) lgkmcnt(0)
	v_fmac_f32_e32 v2, s10, v3
.LBB442_27:
	flat_store_dword v[0:1], v2
.LBB442_28:
	s_endpgm
	.section	.rodata,"a",@progbits
	.p2align	6, 0x0
	.amdhsa_kernel _ZL29rocblas_internal_gemmt_kernelIlLi16ELi32ELi8ELc78ELc84ELc76ELb0ELb0EfPKfPKS1_PKPfEviT_T9_T10_S7_lS9_S7_lS8_T11_S7_li
		.amdhsa_group_segment_fixed_size 2048
		.amdhsa_private_segment_fixed_size 0
		.amdhsa_kernarg_size 108
		.amdhsa_user_sgpr_count 6
		.amdhsa_user_sgpr_private_segment_buffer 1
		.amdhsa_user_sgpr_dispatch_ptr 0
		.amdhsa_user_sgpr_queue_ptr 0
		.amdhsa_user_sgpr_kernarg_segment_ptr 1
		.amdhsa_user_sgpr_dispatch_id 0
		.amdhsa_user_sgpr_flat_scratch_init 0
		.amdhsa_user_sgpr_private_segment_size 0
		.amdhsa_wavefront_size32 1
		.amdhsa_uses_dynamic_stack 0
		.amdhsa_system_sgpr_private_segment_wavefront_offset 0
		.amdhsa_system_sgpr_workgroup_id_x 1
		.amdhsa_system_sgpr_workgroup_id_y 1
		.amdhsa_system_sgpr_workgroup_id_z 1
		.amdhsa_system_sgpr_workgroup_info 0
		.amdhsa_system_vgpr_workitem_id 1
		.amdhsa_next_free_vgpr 46
		.amdhsa_next_free_sgpr 44
		.amdhsa_reserve_vcc 1
		.amdhsa_reserve_flat_scratch 0
		.amdhsa_float_round_mode_32 0
		.amdhsa_float_round_mode_16_64 0
		.amdhsa_float_denorm_mode_32 3
		.amdhsa_float_denorm_mode_16_64 3
		.amdhsa_dx10_clamp 1
		.amdhsa_ieee_mode 1
		.amdhsa_fp16_overflow 0
		.amdhsa_workgroup_processor_mode 1
		.amdhsa_memory_ordered 1
		.amdhsa_forward_progress 1
		.amdhsa_shared_vgpr_count 0
		.amdhsa_exception_fp_ieee_invalid_op 0
		.amdhsa_exception_fp_denorm_src 0
		.amdhsa_exception_fp_ieee_div_zero 0
		.amdhsa_exception_fp_ieee_overflow 0
		.amdhsa_exception_fp_ieee_underflow 0
		.amdhsa_exception_fp_ieee_inexact 0
		.amdhsa_exception_int_div_zero 0
	.end_amdhsa_kernel
	.section	.text._ZL29rocblas_internal_gemmt_kernelIlLi16ELi32ELi8ELc78ELc84ELc76ELb0ELb0EfPKfPKS1_PKPfEviT_T9_T10_S7_lS9_S7_lS8_T11_S7_li,"axG",@progbits,_ZL29rocblas_internal_gemmt_kernelIlLi16ELi32ELi8ELc78ELc84ELc76ELb0ELb0EfPKfPKS1_PKPfEviT_T9_T10_S7_lS9_S7_lS8_T11_S7_li,comdat
.Lfunc_end442:
	.size	_ZL29rocblas_internal_gemmt_kernelIlLi16ELi32ELi8ELc78ELc84ELc76ELb0ELb0EfPKfPKS1_PKPfEviT_T9_T10_S7_lS9_S7_lS8_T11_S7_li, .Lfunc_end442-_ZL29rocblas_internal_gemmt_kernelIlLi16ELi32ELi8ELc78ELc84ELc76ELb0ELb0EfPKfPKS1_PKPfEviT_T9_T10_S7_lS9_S7_lS8_T11_S7_li
                                        ; -- End function
	.set _ZL29rocblas_internal_gemmt_kernelIlLi16ELi32ELi8ELc78ELc84ELc76ELb0ELb0EfPKfPKS1_PKPfEviT_T9_T10_S7_lS9_S7_lS8_T11_S7_li.num_vgpr, 46
	.set _ZL29rocblas_internal_gemmt_kernelIlLi16ELi32ELi8ELc78ELc84ELc76ELb0ELb0EfPKfPKS1_PKPfEviT_T9_T10_S7_lS9_S7_lS8_T11_S7_li.num_agpr, 0
	.set _ZL29rocblas_internal_gemmt_kernelIlLi16ELi32ELi8ELc78ELc84ELc76ELb0ELb0EfPKfPKS1_PKPfEviT_T9_T10_S7_lS9_S7_lS8_T11_S7_li.numbered_sgpr, 44
	.set _ZL29rocblas_internal_gemmt_kernelIlLi16ELi32ELi8ELc78ELc84ELc76ELb0ELb0EfPKfPKS1_PKPfEviT_T9_T10_S7_lS9_S7_lS8_T11_S7_li.num_named_barrier, 0
	.set _ZL29rocblas_internal_gemmt_kernelIlLi16ELi32ELi8ELc78ELc84ELc76ELb0ELb0EfPKfPKS1_PKPfEviT_T9_T10_S7_lS9_S7_lS8_T11_S7_li.private_seg_size, 0
	.set _ZL29rocblas_internal_gemmt_kernelIlLi16ELi32ELi8ELc78ELc84ELc76ELb0ELb0EfPKfPKS1_PKPfEviT_T9_T10_S7_lS9_S7_lS8_T11_S7_li.uses_vcc, 1
	.set _ZL29rocblas_internal_gemmt_kernelIlLi16ELi32ELi8ELc78ELc84ELc76ELb0ELb0EfPKfPKS1_PKPfEviT_T9_T10_S7_lS9_S7_lS8_T11_S7_li.uses_flat_scratch, 0
	.set _ZL29rocblas_internal_gemmt_kernelIlLi16ELi32ELi8ELc78ELc84ELc76ELb0ELb0EfPKfPKS1_PKPfEviT_T9_T10_S7_lS9_S7_lS8_T11_S7_li.has_dyn_sized_stack, 0
	.set _ZL29rocblas_internal_gemmt_kernelIlLi16ELi32ELi8ELc78ELc84ELc76ELb0ELb0EfPKfPKS1_PKPfEviT_T9_T10_S7_lS9_S7_lS8_T11_S7_li.has_recursion, 0
	.set _ZL29rocblas_internal_gemmt_kernelIlLi16ELi32ELi8ELc78ELc84ELc76ELb0ELb0EfPKfPKS1_PKPfEviT_T9_T10_S7_lS9_S7_lS8_T11_S7_li.has_indirect_call, 0
	.section	.AMDGPU.csdata,"",@progbits
; Kernel info:
; codeLenInByte = 1420
; TotalNumSgprs: 46
; NumVgprs: 46
; ScratchSize: 0
; MemoryBound: 0
; FloatMode: 240
; IeeeMode: 1
; LDSByteSize: 2048 bytes/workgroup (compile time only)
; SGPRBlocks: 0
; VGPRBlocks: 5
; NumSGPRsForWavesPerEU: 46
; NumVGPRsForWavesPerEU: 46
; Occupancy: 16
; WaveLimiterHint : 1
; COMPUTE_PGM_RSRC2:SCRATCH_EN: 0
; COMPUTE_PGM_RSRC2:USER_SGPR: 6
; COMPUTE_PGM_RSRC2:TRAP_HANDLER: 0
; COMPUTE_PGM_RSRC2:TGID_X_EN: 1
; COMPUTE_PGM_RSRC2:TGID_Y_EN: 1
; COMPUTE_PGM_RSRC2:TGID_Z_EN: 1
; COMPUTE_PGM_RSRC2:TIDIG_COMP_CNT: 1
	.section	.text._ZL29rocblas_internal_gemmt_kernelIlLi16ELi32ELi8ELc78ELc67ELc76ELb0ELb0EfPKfPKS1_PKPfEviT_T9_T10_S7_lS9_S7_lS8_T11_S7_li,"axG",@progbits,_ZL29rocblas_internal_gemmt_kernelIlLi16ELi32ELi8ELc78ELc67ELc76ELb0ELb0EfPKfPKS1_PKPfEviT_T9_T10_S7_lS9_S7_lS8_T11_S7_li,comdat
	.globl	_ZL29rocblas_internal_gemmt_kernelIlLi16ELi32ELi8ELc78ELc67ELc76ELb0ELb0EfPKfPKS1_PKPfEviT_T9_T10_S7_lS9_S7_lS8_T11_S7_li ; -- Begin function _ZL29rocblas_internal_gemmt_kernelIlLi16ELi32ELi8ELc78ELc67ELc76ELb0ELb0EfPKfPKS1_PKPfEviT_T9_T10_S7_lS9_S7_lS8_T11_S7_li
	.p2align	8
	.type	_ZL29rocblas_internal_gemmt_kernelIlLi16ELi32ELi8ELc78ELc67ELc76ELb0ELb0EfPKfPKS1_PKPfEviT_T9_T10_S7_lS9_S7_lS8_T11_S7_li,@function
_ZL29rocblas_internal_gemmt_kernelIlLi16ELi32ELi8ELc78ELc67ELc76ELb0ELb0EfPKfPKS1_PKPfEviT_T9_T10_S7_lS9_S7_lS8_T11_S7_li: ; @_ZL29rocblas_internal_gemmt_kernelIlLi16ELi32ELi8ELc78ELc67ELc76ELb0ELb0EfPKfPKS1_PKPfEviT_T9_T10_S7_lS9_S7_lS8_T11_S7_li
; %bb.0:
	s_clause 0x1
	s_load_dwordx8 s[36:43], s[4:5], 0x48
	s_load_dwordx16 s[12:27], s[4:5], 0x8
	s_waitcnt lgkmcnt(0)
	s_load_dword s10, s[36:37], 0x0
	s_load_dword s11, s[14:15], 0x0
	s_waitcnt lgkmcnt(0)
	v_cmp_neq_f32_e64 s0, s10, 1.0
	s_and_b32 vcc_lo, exec_lo, s0
	s_cbranch_vccnz .LBB443_2
; %bb.1:
	v_cmp_neq_f32_e64 s0, s11, 0
	s_cmp_lg_u64 s[12:13], 0
	s_cselect_b32 s1, -1, 0
	s_and_b32 s0, s1, s0
.LBB443_2:
	s_andn2_b32 vcc_lo, exec_lo, s0
	s_cbranch_vccnz .LBB443_28
; %bb.3:
	s_mov_b32 s9, 0
	v_mov_b32_e32 v8, 0
	s_lshl_b64 s[0:1], s[8:9], 3
	v_mov_b32_e32 v4, 0
	s_add_u32 s2, s38, s0
	s_addc_u32 s3, s39, s1
	s_load_dword s8, s[4:5], 0x0
	s_load_dwordx2 s[2:3], s[2:3], 0x0
	v_cmp_lt_i64_e64 s4, s[12:13], 1
	v_cmp_eq_f32_e64 s5, s11, 0
	v_mov_b32_e32 v7, 0
	v_mov_b32_e32 v6, 0
	s_lshl_b32 s6, s6, 5
	s_lshl_b32 s7, s7, 5
	s_or_b32 s4, s5, s4
	s_and_b32 vcc_lo, exec_lo, s4
	s_cbranch_vccnz .LBB443_12
; %bb.4:
	s_add_u32 s4, s22, s0
	s_addc_u32 s5, s23, s1
	s_lshl_b64 s[14:15], s[26:27], 2
	s_load_dwordx2 s[4:5], s[4:5], 0x0
	v_lshl_add_u32 v2, v1, 4, v0
	v_and_b32_e32 v5, 7, v0
	v_lshlrev_b32_e32 v9, 2, v0
	v_lshl_add_u32 v10, v1, 5, 0x400
	v_mov_b32_e32 v3, 0
	v_lshrrev_b32_e32 v8, 3, v2
	v_and_b32_e32 v12, 31, v2
	v_lshlrev_b32_e32 v16, 2, v5
	v_lshrrev_b32_e32 v11, 5, v2
	v_mov_b32_e32 v6, 0
	v_add_nc_u32_e32 v13, s7, v8
	v_or_b32_e32 v15, s6, v12
	v_lshl_or_b32 v8, v8, 5, v16
	v_lshlrev_b32_e32 v2, 2, v12
	v_mov_b32_e32 v7, 0
	v_ashrrev_i32_e32 v14, 31, v13
	v_ashrrev_i32_e32 v16, 31, v15
	v_mov_b32_e32 v4, 0
	v_lshl_or_b32 v12, v11, 7, v2
	s_waitcnt lgkmcnt(0)
	s_add_u32 s9, s4, s14
	s_addc_u32 s22, s5, s15
	s_add_u32 s0, s16, s0
	s_addc_u32 s1, s17, s1
	v_lshlrev_b64 v[17:18], 2, v[13:14]
	s_load_dwordx2 s[4:5], s[0:1], 0x0
	v_lshlrev_b64 v[19:20], 2, v[15:16]
	s_lshl_b64 s[14:15], s[20:21], 2
	v_cmp_gt_i32_e64 s0, s8, v15
	v_cmp_gt_i32_e64 s1, s8, v13
	v_add_co_u32 v14, vcc_lo, s9, v17
	v_add_co_ci_u32_e64 v15, null, s22, v18, vcc_lo
	v_add_nc_u32_e32 v13, 0x400, v8
	v_mov_b32_e32 v8, 0
	s_waitcnt lgkmcnt(0)
	s_add_u32 s4, s4, s14
	s_addc_u32 s5, s5, s15
	v_add_co_u32 v16, vcc_lo, s4, v19
	v_add_co_ci_u32_e64 v17, null, s5, v20, vcc_lo
	s_mov_b64 s[4:5], 0
	s_branch .LBB443_6
.LBB443_5:                              ;   in Loop: Header=BB443_6 Depth=1
	s_or_b32 exec_lo, exec_lo, s9
	s_waitcnt vmcnt(0) lgkmcnt(0)
	ds_write_b32 v13, v19
	s_waitcnt lgkmcnt(0)
	s_barrier
	buffer_gl0_inv
	ds_read_b128 v[18:21], v10
	ds_read2_b32 v[34:35], v9 offset1:16
	ds_read_b128 v[22:25], v10 offset:512
	ds_read2_b32 v[36:37], v9 offset0:32 offset1:48
	ds_read2_b32 v[38:39], v9 offset0:64 offset1:80
	;; [unrolled: 1-line block ×3, first 2 shown]
	ds_read_b128 v[26:29], v10 offset:16
	ds_read2_b32 v[42:43], v9 offset0:128 offset1:144
	ds_read_b128 v[30:33], v10 offset:528
	ds_read2_b32 v[44:45], v9 offset0:160 offset1:176
	s_add_u32 s4, s4, 8
	s_addc_u32 s5, s5, 0
	v_cmp_gt_i64_e64 s9, s[12:13], s[4:5]
	s_and_b32 vcc_lo, exec_lo, s9
	s_waitcnt lgkmcnt(8)
	v_fmac_f32_e32 v8, v34, v18
	v_fmac_f32_e32 v4, v35, v18
	s_waitcnt lgkmcnt(7)
	v_fmac_f32_e32 v7, v34, v22
	v_fmac_f32_e32 v6, v35, v22
	ds_read2_b32 v[34:35], v9 offset0:192 offset1:208
	s_waitcnt lgkmcnt(7)
	v_fmac_f32_e32 v8, v36, v19
	v_fmac_f32_e32 v4, v37, v19
	;; [unrolled: 1-line block ×4, first 2 shown]
	ds_read2_b32 v[18:19], v9 offset0:224 offset1:240
	s_waitcnt lgkmcnt(7)
	v_fmac_f32_e32 v8, v38, v20
	v_fmac_f32_e32 v4, v39, v20
	;; [unrolled: 1-line block ×4, first 2 shown]
	s_waitcnt lgkmcnt(0)
	v_fmac_f32_e32 v8, v40, v21
	v_fmac_f32_e32 v4, v41, v21
	;; [unrolled: 1-line block ×4, first 2 shown]
	s_barrier
	v_fmac_f32_e32 v8, v42, v26
	v_fmac_f32_e32 v4, v43, v26
	;; [unrolled: 1-line block ×4, first 2 shown]
	buffer_gl0_inv
	v_fmac_f32_e32 v8, v44, v27
	v_fmac_f32_e32 v4, v45, v27
	;; [unrolled: 1-line block ×12, first 2 shown]
	s_cbranch_vccz .LBB443_12
.LBB443_6:                              ; =>This Inner Loop Header: Depth=1
	v_mov_b32_e32 v18, 0
	s_and_saveexec_b32 s9, s0
	s_cbranch_execz .LBB443_10
; %bb.7:                                ;   in Loop: Header=BB443_6 Depth=1
	v_add_nc_u32_e32 v2, s4, v11
	v_mov_b32_e32 v18, 0
	s_mov_b32 s14, exec_lo
	v_cmpx_gt_u64_e64 s[12:13], v[2:3]
	s_cbranch_execz .LBB443_9
; %bb.8:                                ;   in Loop: Header=BB443_6 Depth=1
	v_mad_u64_u32 v[18:19], null, s18, v2, 0
	v_mad_u64_u32 v[19:20], null, s19, v2, v[19:20]
	v_lshlrev_b64 v[18:19], 2, v[18:19]
	v_add_co_u32 v18, vcc_lo, v16, v18
	v_add_co_ci_u32_e64 v19, null, v17, v19, vcc_lo
	flat_load_dword v18, v[18:19]
.LBB443_9:                              ;   in Loop: Header=BB443_6 Depth=1
	s_or_b32 exec_lo, exec_lo, s14
.LBB443_10:                             ;   in Loop: Header=BB443_6 Depth=1
	s_or_b32 exec_lo, exec_lo, s9
	v_add_nc_u32_e32 v2, s4, v5
	v_mov_b32_e32 v19, 0
	s_waitcnt vmcnt(0) lgkmcnt(0)
	ds_write_b32 v12, v18
	v_cmp_gt_u64_e32 vcc_lo, s[12:13], v[2:3]
	s_and_b32 s14, vcc_lo, s1
	s_and_saveexec_b32 s9, s14
	s_cbranch_execz .LBB443_5
; %bb.11:                               ;   in Loop: Header=BB443_6 Depth=1
	v_mad_u64_u32 v[18:19], null, s24, v2, 0
	v_mad_u64_u32 v[19:20], null, s25, v2, v[19:20]
	v_lshlrev_b64 v[18:19], 2, v[18:19]
	v_add_co_u32 v18, vcc_lo, v14, v18
	v_add_co_ci_u32_e64 v19, null, v15, v19, vcc_lo
	flat_load_dword v19, v[18:19]
	s_branch .LBB443_5
.LBB443_12:
	v_add_nc_u32_e32 v10, s7, v1
	s_lshl_b64 s[0:1], s[42:43], 2
	v_add_nc_u32_e32 v0, s6, v0
	s_waitcnt lgkmcnt(0)
	s_add_u32 s4, s2, s0
	v_cmp_neq_f32_e64 s2, s10, 0
	v_ashrrev_i32_e32 v3, 31, v10
	v_mul_lo_u32 v5, s41, v10
	v_mad_u64_u32 v[1:2], null, s40, v10, 0
	s_addc_u32 s3, s3, s1
	v_mul_lo_u32 v3, s40, v3
	v_cmp_le_i32_e32 vcc_lo, v10, v0
	v_cmp_gt_i32_e64 s0, s8, v0
	v_cndmask_b32_e64 v9, 0, 1, s2
	s_and_b32 s5, vcc_lo, s0
	v_add3_u32 v2, v2, v3, v5
	v_lshlrev_b64 v[2:3], 2, v[1:2]
	v_ashrrev_i32_e32 v1, 31, v0
	v_add_co_u32 v5, s1, s4, v2
	v_add_co_ci_u32_e64 v11, null, s3, v3, s1
	s_and_saveexec_b32 s1, s5
	s_cbranch_execz .LBB443_16
; %bb.13:
	v_lshlrev_b64 v[2:3], 2, v[0:1]
	v_mul_f32_e32 v8, s11, v8
	v_add_co_u32 v2, vcc_lo, v5, v2
	v_add_co_ci_u32_e64 v3, null, v11, v3, vcc_lo
	s_andn2_b32 vcc_lo, exec_lo, s2
	s_cbranch_vccnz .LBB443_15
; %bb.14:
	flat_load_dword v12, v[2:3]
	s_waitcnt vmcnt(0) lgkmcnt(0)
	v_fmac_f32_e32 v8, s10, v12
.LBB443_15:
	flat_store_dword v[2:3], v8
.LBB443_16:
	s_or_b32 exec_lo, exec_lo, s1
	v_add_nc_u32_e32 v2, 16, v0
	v_cmp_le_i32_e32 vcc_lo, v10, v2
	v_cmp_gt_i32_e64 s1, s8, v2
	v_ashrrev_i32_e32 v3, 31, v2
	s_and_b32 s2, vcc_lo, s1
	s_and_saveexec_b32 s5, s2
	s_cbranch_execz .LBB443_20
; %bb.17:
	v_lshlrev_b64 v[12:13], 2, v[2:3]
	v_mul_f32_e32 v8, s11, v4
	v_cmp_ne_u32_e32 vcc_lo, 1, v9
	v_add_co_u32 v4, s2, v5, v12
	v_add_co_ci_u32_e64 v5, null, v11, v13, s2
	s_cbranch_vccnz .LBB443_19
; %bb.18:
	flat_load_dword v11, v[4:5]
	s_waitcnt vmcnt(0) lgkmcnt(0)
	v_fmac_f32_e32 v8, s10, v11
.LBB443_19:
	flat_store_dword v[4:5], v8
.LBB443_20:
	s_or_b32 exec_lo, exec_lo, s5
	v_add_nc_u32_e32 v8, 16, v10
	v_ashrrev_i32_e32 v10, 31, v8
	v_mul_lo_u32 v11, s41, v8
	v_mad_u64_u32 v[4:5], null, s40, v8, 0
	v_cmp_le_i32_e32 vcc_lo, v8, v0
	v_mul_lo_u32 v10, s40, v10
	s_and_b32 s0, vcc_lo, s0
	v_add3_u32 v5, v5, v10, v11
	v_lshlrev_b64 v[4:5], 2, v[4:5]
	v_add_co_u32 v4, s2, s4, v4
	v_add_co_ci_u32_e64 v5, null, s3, v5, s2
	s_and_saveexec_b32 s2, s0
	s_cbranch_execz .LBB443_24
; %bb.21:
	v_lshlrev_b64 v[0:1], 2, v[0:1]
	v_cmp_ne_u32_e32 vcc_lo, 1, v9
	v_mul_f32_e32 v7, s11, v7
	v_add_co_u32 v0, s0, v4, v0
	v_add_co_ci_u32_e64 v1, null, v5, v1, s0
	s_cbranch_vccnz .LBB443_23
; %bb.22:
	flat_load_dword v10, v[0:1]
	s_waitcnt vmcnt(0) lgkmcnt(0)
	v_fmac_f32_e32 v7, s10, v10
.LBB443_23:
	flat_store_dword v[0:1], v7
.LBB443_24:
	s_or_b32 exec_lo, exec_lo, s2
	v_cmp_le_i32_e32 vcc_lo, v8, v2
	s_and_b32 s0, vcc_lo, s1
	s_and_saveexec_b32 s1, s0
	s_cbranch_execz .LBB443_28
; %bb.25:
	v_lshlrev_b64 v[0:1], 2, v[2:3]
	v_cmp_ne_u32_e32 vcc_lo, 1, v9
	v_mul_f32_e32 v2, s11, v6
	v_add_co_u32 v0, s0, v4, v0
	v_add_co_ci_u32_e64 v1, null, v5, v1, s0
	s_cbranch_vccnz .LBB443_27
; %bb.26:
	flat_load_dword v3, v[0:1]
	s_waitcnt vmcnt(0) lgkmcnt(0)
	v_fmac_f32_e32 v2, s10, v3
.LBB443_27:
	flat_store_dword v[0:1], v2
.LBB443_28:
	s_endpgm
	.section	.rodata,"a",@progbits
	.p2align	6, 0x0
	.amdhsa_kernel _ZL29rocblas_internal_gemmt_kernelIlLi16ELi32ELi8ELc78ELc67ELc76ELb0ELb0EfPKfPKS1_PKPfEviT_T9_T10_S7_lS9_S7_lS8_T11_S7_li
		.amdhsa_group_segment_fixed_size 2048
		.amdhsa_private_segment_fixed_size 0
		.amdhsa_kernarg_size 108
		.amdhsa_user_sgpr_count 6
		.amdhsa_user_sgpr_private_segment_buffer 1
		.amdhsa_user_sgpr_dispatch_ptr 0
		.amdhsa_user_sgpr_queue_ptr 0
		.amdhsa_user_sgpr_kernarg_segment_ptr 1
		.amdhsa_user_sgpr_dispatch_id 0
		.amdhsa_user_sgpr_flat_scratch_init 0
		.amdhsa_user_sgpr_private_segment_size 0
		.amdhsa_wavefront_size32 1
		.amdhsa_uses_dynamic_stack 0
		.amdhsa_system_sgpr_private_segment_wavefront_offset 0
		.amdhsa_system_sgpr_workgroup_id_x 1
		.amdhsa_system_sgpr_workgroup_id_y 1
		.amdhsa_system_sgpr_workgroup_id_z 1
		.amdhsa_system_sgpr_workgroup_info 0
		.amdhsa_system_vgpr_workitem_id 1
		.amdhsa_next_free_vgpr 46
		.amdhsa_next_free_sgpr 44
		.amdhsa_reserve_vcc 1
		.amdhsa_reserve_flat_scratch 0
		.amdhsa_float_round_mode_32 0
		.amdhsa_float_round_mode_16_64 0
		.amdhsa_float_denorm_mode_32 3
		.amdhsa_float_denorm_mode_16_64 3
		.amdhsa_dx10_clamp 1
		.amdhsa_ieee_mode 1
		.amdhsa_fp16_overflow 0
		.amdhsa_workgroup_processor_mode 1
		.amdhsa_memory_ordered 1
		.amdhsa_forward_progress 1
		.amdhsa_shared_vgpr_count 0
		.amdhsa_exception_fp_ieee_invalid_op 0
		.amdhsa_exception_fp_denorm_src 0
		.amdhsa_exception_fp_ieee_div_zero 0
		.amdhsa_exception_fp_ieee_overflow 0
		.amdhsa_exception_fp_ieee_underflow 0
		.amdhsa_exception_fp_ieee_inexact 0
		.amdhsa_exception_int_div_zero 0
	.end_amdhsa_kernel
	.section	.text._ZL29rocblas_internal_gemmt_kernelIlLi16ELi32ELi8ELc78ELc67ELc76ELb0ELb0EfPKfPKS1_PKPfEviT_T9_T10_S7_lS9_S7_lS8_T11_S7_li,"axG",@progbits,_ZL29rocblas_internal_gemmt_kernelIlLi16ELi32ELi8ELc78ELc67ELc76ELb0ELb0EfPKfPKS1_PKPfEviT_T9_T10_S7_lS9_S7_lS8_T11_S7_li,comdat
.Lfunc_end443:
	.size	_ZL29rocblas_internal_gemmt_kernelIlLi16ELi32ELi8ELc78ELc67ELc76ELb0ELb0EfPKfPKS1_PKPfEviT_T9_T10_S7_lS9_S7_lS8_T11_S7_li, .Lfunc_end443-_ZL29rocblas_internal_gemmt_kernelIlLi16ELi32ELi8ELc78ELc67ELc76ELb0ELb0EfPKfPKS1_PKPfEviT_T9_T10_S7_lS9_S7_lS8_T11_S7_li
                                        ; -- End function
	.set _ZL29rocblas_internal_gemmt_kernelIlLi16ELi32ELi8ELc78ELc67ELc76ELb0ELb0EfPKfPKS1_PKPfEviT_T9_T10_S7_lS9_S7_lS8_T11_S7_li.num_vgpr, 46
	.set _ZL29rocblas_internal_gemmt_kernelIlLi16ELi32ELi8ELc78ELc67ELc76ELb0ELb0EfPKfPKS1_PKPfEviT_T9_T10_S7_lS9_S7_lS8_T11_S7_li.num_agpr, 0
	.set _ZL29rocblas_internal_gemmt_kernelIlLi16ELi32ELi8ELc78ELc67ELc76ELb0ELb0EfPKfPKS1_PKPfEviT_T9_T10_S7_lS9_S7_lS8_T11_S7_li.numbered_sgpr, 44
	.set _ZL29rocblas_internal_gemmt_kernelIlLi16ELi32ELi8ELc78ELc67ELc76ELb0ELb0EfPKfPKS1_PKPfEviT_T9_T10_S7_lS9_S7_lS8_T11_S7_li.num_named_barrier, 0
	.set _ZL29rocblas_internal_gemmt_kernelIlLi16ELi32ELi8ELc78ELc67ELc76ELb0ELb0EfPKfPKS1_PKPfEviT_T9_T10_S7_lS9_S7_lS8_T11_S7_li.private_seg_size, 0
	.set _ZL29rocblas_internal_gemmt_kernelIlLi16ELi32ELi8ELc78ELc67ELc76ELb0ELb0EfPKfPKS1_PKPfEviT_T9_T10_S7_lS9_S7_lS8_T11_S7_li.uses_vcc, 1
	.set _ZL29rocblas_internal_gemmt_kernelIlLi16ELi32ELi8ELc78ELc67ELc76ELb0ELb0EfPKfPKS1_PKPfEviT_T9_T10_S7_lS9_S7_lS8_T11_S7_li.uses_flat_scratch, 0
	.set _ZL29rocblas_internal_gemmt_kernelIlLi16ELi32ELi8ELc78ELc67ELc76ELb0ELb0EfPKfPKS1_PKPfEviT_T9_T10_S7_lS9_S7_lS8_T11_S7_li.has_dyn_sized_stack, 0
	.set _ZL29rocblas_internal_gemmt_kernelIlLi16ELi32ELi8ELc78ELc67ELc76ELb0ELb0EfPKfPKS1_PKPfEviT_T9_T10_S7_lS9_S7_lS8_T11_S7_li.has_recursion, 0
	.set _ZL29rocblas_internal_gemmt_kernelIlLi16ELi32ELi8ELc78ELc67ELc76ELb0ELb0EfPKfPKS1_PKPfEviT_T9_T10_S7_lS9_S7_lS8_T11_S7_li.has_indirect_call, 0
	.section	.AMDGPU.csdata,"",@progbits
; Kernel info:
; codeLenInByte = 1420
; TotalNumSgprs: 46
; NumVgprs: 46
; ScratchSize: 0
; MemoryBound: 0
; FloatMode: 240
; IeeeMode: 1
; LDSByteSize: 2048 bytes/workgroup (compile time only)
; SGPRBlocks: 0
; VGPRBlocks: 5
; NumSGPRsForWavesPerEU: 46
; NumVGPRsForWavesPerEU: 46
; Occupancy: 16
; WaveLimiterHint : 1
; COMPUTE_PGM_RSRC2:SCRATCH_EN: 0
; COMPUTE_PGM_RSRC2:USER_SGPR: 6
; COMPUTE_PGM_RSRC2:TRAP_HANDLER: 0
; COMPUTE_PGM_RSRC2:TGID_X_EN: 1
; COMPUTE_PGM_RSRC2:TGID_Y_EN: 1
; COMPUTE_PGM_RSRC2:TGID_Z_EN: 1
; COMPUTE_PGM_RSRC2:TIDIG_COMP_CNT: 1
	.section	.text._ZL29rocblas_internal_gemmt_kernelIlLi16ELi32ELi8ELc84ELc78ELc76ELb0ELb0EfPKfPKS1_PKPfEviT_T9_T10_S7_lS9_S7_lS8_T11_S7_li,"axG",@progbits,_ZL29rocblas_internal_gemmt_kernelIlLi16ELi32ELi8ELc84ELc78ELc76ELb0ELb0EfPKfPKS1_PKPfEviT_T9_T10_S7_lS9_S7_lS8_T11_S7_li,comdat
	.globl	_ZL29rocblas_internal_gemmt_kernelIlLi16ELi32ELi8ELc84ELc78ELc76ELb0ELb0EfPKfPKS1_PKPfEviT_T9_T10_S7_lS9_S7_lS8_T11_S7_li ; -- Begin function _ZL29rocblas_internal_gemmt_kernelIlLi16ELi32ELi8ELc84ELc78ELc76ELb0ELb0EfPKfPKS1_PKPfEviT_T9_T10_S7_lS9_S7_lS8_T11_S7_li
	.p2align	8
	.type	_ZL29rocblas_internal_gemmt_kernelIlLi16ELi32ELi8ELc84ELc78ELc76ELb0ELb0EfPKfPKS1_PKPfEviT_T9_T10_S7_lS9_S7_lS8_T11_S7_li,@function
_ZL29rocblas_internal_gemmt_kernelIlLi16ELi32ELi8ELc84ELc78ELc76ELb0ELb0EfPKfPKS1_PKPfEviT_T9_T10_S7_lS9_S7_lS8_T11_S7_li: ; @_ZL29rocblas_internal_gemmt_kernelIlLi16ELi32ELi8ELc84ELc78ELc76ELb0ELb0EfPKfPKS1_PKPfEviT_T9_T10_S7_lS9_S7_lS8_T11_S7_li
; %bb.0:
	s_clause 0x1
	s_load_dwordx8 s[36:43], s[4:5], 0x48
	s_load_dwordx16 s[12:27], s[4:5], 0x8
	s_waitcnt lgkmcnt(0)
	s_load_dword s10, s[36:37], 0x0
	s_load_dword s11, s[14:15], 0x0
	s_waitcnt lgkmcnt(0)
	v_cmp_neq_f32_e64 s0, s10, 1.0
	s_and_b32 vcc_lo, exec_lo, s0
	s_cbranch_vccnz .LBB444_2
; %bb.1:
	v_cmp_neq_f32_e64 s0, s11, 0
	s_cmp_lg_u64 s[12:13], 0
	s_cselect_b32 s1, -1, 0
	s_and_b32 s0, s1, s0
.LBB444_2:
	s_andn2_b32 vcc_lo, exec_lo, s0
	s_cbranch_vccnz .LBB444_28
; %bb.3:
	s_mov_b32 s9, 0
	v_mov_b32_e32 v8, 0
	s_lshl_b64 s[0:1], s[8:9], 3
	v_mov_b32_e32 v4, 0
	s_add_u32 s2, s38, s0
	s_addc_u32 s3, s39, s1
	s_load_dword s8, s[4:5], 0x0
	s_load_dwordx2 s[2:3], s[2:3], 0x0
	v_cmp_lt_i64_e64 s4, s[12:13], 1
	v_cmp_eq_f32_e64 s5, s11, 0
	v_mov_b32_e32 v7, 0
	v_mov_b32_e32 v6, 0
	s_lshl_b32 s6, s6, 5
	s_lshl_b32 s7, s7, 5
	s_or_b32 s4, s5, s4
	s_and_b32 vcc_lo, exec_lo, s4
	s_cbranch_vccnz .LBB444_12
; %bb.4:
	s_add_u32 s4, s22, s0
	s_addc_u32 s5, s23, s1
	s_lshl_b64 s[14:15], s[26:27], 2
	s_load_dwordx2 s[4:5], s[4:5], 0x0
	v_lshl_add_u32 v2, v1, 4, v0
	v_and_b32_e32 v5, 7, v0
	v_lshlrev_b32_e32 v9, 2, v0
	v_lshl_add_u32 v10, v1, 5, 0x400
	v_mov_b32_e32 v3, 0
	v_lshrrev_b32_e32 v8, 3, v2
	v_and_b32_e32 v14, 31, v2
	v_mov_b32_e32 v6, 0
	v_mov_b32_e32 v7, 0
	;; [unrolled: 1-line block ×3, first 2 shown]
	v_add_nc_u32_e32 v18, s7, v8
	v_or_b32_e32 v16, s6, v14
	v_lshlrev_b32_e32 v20, 2, v14
	v_ashrrev_i32_e32 v11, 31, v18
	v_mul_lo_u32 v17, s25, v18
	v_mad_u64_u32 v[12:13], null, s24, v18, 0
	s_waitcnt lgkmcnt(0)
	s_add_u32 s9, s4, s14
	s_addc_u32 s14, s5, s15
	s_add_u32 s0, s16, s0
	s_addc_u32 s1, s17, s1
	v_mul_lo_u32 v19, s24, v11
	s_load_dwordx2 s[0:1], s[0:1], 0x0
	v_mul_lo_u32 v21, s19, v16
	v_mad_u64_u32 v[14:15], null, s18, v16, 0
	s_lshl_b64 s[4:5], s[20:21], 2
	v_lshrrev_b32_e32 v11, 5, v2
	v_lshlrev_b32_e32 v2, 2, v5
	v_add3_u32 v13, v13, v19, v17
	v_lshl_or_b32 v2, v8, 5, v2
	v_mov_b32_e32 v8, 0
	s_waitcnt lgkmcnt(0)
	s_add_u32 s4, s0, s4
	s_addc_u32 s5, s1, s5
	s_ashr_i32 s0, s6, 31
	s_mul_i32 s1, s18, s0
	v_cmp_gt_i32_e64 s0, s8, v16
	v_add3_u32 v15, v15, s1, v21
	v_lshlrev_b64 v[16:17], 2, v[12:13]
	v_cmp_gt_i32_e64 s1, s8, v18
	v_lshl_or_b32 v12, v11, 7, v20
	v_add_nc_u32_e32 v13, 0x400, v2
	v_lshlrev_b64 v[18:19], 2, v[14:15]
	v_add_co_u32 v14, vcc_lo, s9, v16
	v_add_co_ci_u32_e64 v15, null, s14, v17, vcc_lo
	v_add_co_u32 v16, vcc_lo, s4, v18
	v_add_co_ci_u32_e64 v17, null, s5, v19, vcc_lo
	s_mov_b64 s[4:5], 0
	s_branch .LBB444_6
.LBB444_5:                              ;   in Loop: Header=BB444_6 Depth=1
	s_or_b32 exec_lo, exec_lo, s9
	s_waitcnt vmcnt(0) lgkmcnt(0)
	ds_write_b32 v13, v19
	s_waitcnt lgkmcnt(0)
	s_barrier
	buffer_gl0_inv
	ds_read_b128 v[18:21], v10
	ds_read2_b32 v[34:35], v9 offset1:16
	ds_read_b128 v[22:25], v10 offset:512
	ds_read2_b32 v[36:37], v9 offset0:32 offset1:48
	ds_read2_b32 v[38:39], v9 offset0:64 offset1:80
	;; [unrolled: 1-line block ×3, first 2 shown]
	ds_read_b128 v[26:29], v10 offset:16
	ds_read2_b32 v[42:43], v9 offset0:128 offset1:144
	ds_read_b128 v[30:33], v10 offset:528
	ds_read2_b32 v[44:45], v9 offset0:160 offset1:176
	s_add_u32 s4, s4, 8
	s_addc_u32 s5, s5, 0
	v_cmp_gt_i64_e64 s9, s[12:13], s[4:5]
	s_and_b32 vcc_lo, exec_lo, s9
	s_waitcnt lgkmcnt(8)
	v_fmac_f32_e32 v8, v34, v18
	v_fmac_f32_e32 v4, v35, v18
	s_waitcnt lgkmcnt(7)
	v_fmac_f32_e32 v7, v34, v22
	v_fmac_f32_e32 v6, v35, v22
	ds_read2_b32 v[34:35], v9 offset0:192 offset1:208
	s_waitcnt lgkmcnt(7)
	v_fmac_f32_e32 v8, v36, v19
	v_fmac_f32_e32 v4, v37, v19
	;; [unrolled: 1-line block ×4, first 2 shown]
	ds_read2_b32 v[18:19], v9 offset0:224 offset1:240
	s_waitcnt lgkmcnt(7)
	v_fmac_f32_e32 v8, v38, v20
	v_fmac_f32_e32 v4, v39, v20
	;; [unrolled: 1-line block ×4, first 2 shown]
	s_waitcnt lgkmcnt(0)
	v_fmac_f32_e32 v8, v40, v21
	v_fmac_f32_e32 v4, v41, v21
	;; [unrolled: 1-line block ×4, first 2 shown]
	s_barrier
	v_fmac_f32_e32 v8, v42, v26
	v_fmac_f32_e32 v4, v43, v26
	;; [unrolled: 1-line block ×4, first 2 shown]
	buffer_gl0_inv
	v_fmac_f32_e32 v8, v44, v27
	v_fmac_f32_e32 v4, v45, v27
	;; [unrolled: 1-line block ×12, first 2 shown]
	s_cbranch_vccz .LBB444_12
.LBB444_6:                              ; =>This Inner Loop Header: Depth=1
	v_mov_b32_e32 v18, 0
	s_and_saveexec_b32 s9, s0
	s_cbranch_execz .LBB444_10
; %bb.7:                                ;   in Loop: Header=BB444_6 Depth=1
	v_add_nc_u32_e32 v2, s4, v11
	v_mov_b32_e32 v18, 0
	s_mov_b32 s14, exec_lo
	v_cmpx_gt_u64_e64 s[12:13], v[2:3]
	s_cbranch_execz .LBB444_9
; %bb.8:                                ;   in Loop: Header=BB444_6 Depth=1
	v_lshlrev_b64 v[18:19], 2, v[2:3]
	v_add_co_u32 v18, vcc_lo, v16, v18
	v_add_co_ci_u32_e64 v19, null, v17, v19, vcc_lo
	flat_load_dword v18, v[18:19]
.LBB444_9:                              ;   in Loop: Header=BB444_6 Depth=1
	s_or_b32 exec_lo, exec_lo, s14
.LBB444_10:                             ;   in Loop: Header=BB444_6 Depth=1
	s_or_b32 exec_lo, exec_lo, s9
	v_add_nc_u32_e32 v2, s4, v5
	v_mov_b32_e32 v19, 0
	s_waitcnt vmcnt(0) lgkmcnt(0)
	ds_write_b32 v12, v18
	v_cmp_gt_u64_e32 vcc_lo, s[12:13], v[2:3]
	s_and_b32 s14, vcc_lo, s1
	s_and_saveexec_b32 s9, s14
	s_cbranch_execz .LBB444_5
; %bb.11:                               ;   in Loop: Header=BB444_6 Depth=1
	v_lshlrev_b64 v[18:19], 2, v[2:3]
	v_add_co_u32 v18, vcc_lo, v14, v18
	v_add_co_ci_u32_e64 v19, null, v15, v19, vcc_lo
	flat_load_dword v19, v[18:19]
	s_branch .LBB444_5
.LBB444_12:
	v_add_nc_u32_e32 v10, s7, v1
	s_lshl_b64 s[0:1], s[42:43], 2
	v_add_nc_u32_e32 v0, s6, v0
	s_waitcnt lgkmcnt(0)
	s_add_u32 s4, s2, s0
	v_cmp_neq_f32_e64 s2, s10, 0
	v_ashrrev_i32_e32 v3, 31, v10
	v_mul_lo_u32 v5, s41, v10
	v_mad_u64_u32 v[1:2], null, s40, v10, 0
	s_addc_u32 s3, s3, s1
	v_mul_lo_u32 v3, s40, v3
	v_cmp_le_i32_e32 vcc_lo, v10, v0
	v_cmp_gt_i32_e64 s0, s8, v0
	v_cndmask_b32_e64 v9, 0, 1, s2
	s_and_b32 s5, vcc_lo, s0
	v_add3_u32 v2, v2, v3, v5
	v_lshlrev_b64 v[2:3], 2, v[1:2]
	v_ashrrev_i32_e32 v1, 31, v0
	v_add_co_u32 v5, s1, s4, v2
	v_add_co_ci_u32_e64 v11, null, s3, v3, s1
	s_and_saveexec_b32 s1, s5
	s_cbranch_execz .LBB444_16
; %bb.13:
	v_lshlrev_b64 v[2:3], 2, v[0:1]
	v_mul_f32_e32 v8, s11, v8
	v_add_co_u32 v2, vcc_lo, v5, v2
	v_add_co_ci_u32_e64 v3, null, v11, v3, vcc_lo
	s_andn2_b32 vcc_lo, exec_lo, s2
	s_cbranch_vccnz .LBB444_15
; %bb.14:
	flat_load_dword v12, v[2:3]
	s_waitcnt vmcnt(0) lgkmcnt(0)
	v_fmac_f32_e32 v8, s10, v12
.LBB444_15:
	flat_store_dword v[2:3], v8
.LBB444_16:
	s_or_b32 exec_lo, exec_lo, s1
	v_add_nc_u32_e32 v2, 16, v0
	v_cmp_le_i32_e32 vcc_lo, v10, v2
	v_cmp_gt_i32_e64 s1, s8, v2
	v_ashrrev_i32_e32 v3, 31, v2
	s_and_b32 s2, vcc_lo, s1
	s_and_saveexec_b32 s5, s2
	s_cbranch_execz .LBB444_20
; %bb.17:
	v_lshlrev_b64 v[12:13], 2, v[2:3]
	v_mul_f32_e32 v8, s11, v4
	v_cmp_ne_u32_e32 vcc_lo, 1, v9
	v_add_co_u32 v4, s2, v5, v12
	v_add_co_ci_u32_e64 v5, null, v11, v13, s2
	s_cbranch_vccnz .LBB444_19
; %bb.18:
	flat_load_dword v11, v[4:5]
	s_waitcnt vmcnt(0) lgkmcnt(0)
	v_fmac_f32_e32 v8, s10, v11
.LBB444_19:
	flat_store_dword v[4:5], v8
.LBB444_20:
	s_or_b32 exec_lo, exec_lo, s5
	v_add_nc_u32_e32 v8, 16, v10
	v_ashrrev_i32_e32 v10, 31, v8
	v_mul_lo_u32 v11, s41, v8
	v_mad_u64_u32 v[4:5], null, s40, v8, 0
	v_cmp_le_i32_e32 vcc_lo, v8, v0
	v_mul_lo_u32 v10, s40, v10
	s_and_b32 s0, vcc_lo, s0
	v_add3_u32 v5, v5, v10, v11
	v_lshlrev_b64 v[4:5], 2, v[4:5]
	v_add_co_u32 v4, s2, s4, v4
	v_add_co_ci_u32_e64 v5, null, s3, v5, s2
	s_and_saveexec_b32 s2, s0
	s_cbranch_execz .LBB444_24
; %bb.21:
	v_lshlrev_b64 v[0:1], 2, v[0:1]
	v_cmp_ne_u32_e32 vcc_lo, 1, v9
	v_mul_f32_e32 v7, s11, v7
	v_add_co_u32 v0, s0, v4, v0
	v_add_co_ci_u32_e64 v1, null, v5, v1, s0
	s_cbranch_vccnz .LBB444_23
; %bb.22:
	flat_load_dword v10, v[0:1]
	s_waitcnt vmcnt(0) lgkmcnt(0)
	v_fmac_f32_e32 v7, s10, v10
.LBB444_23:
	flat_store_dword v[0:1], v7
.LBB444_24:
	s_or_b32 exec_lo, exec_lo, s2
	v_cmp_le_i32_e32 vcc_lo, v8, v2
	s_and_b32 s0, vcc_lo, s1
	s_and_saveexec_b32 s1, s0
	s_cbranch_execz .LBB444_28
; %bb.25:
	v_lshlrev_b64 v[0:1], 2, v[2:3]
	v_cmp_ne_u32_e32 vcc_lo, 1, v9
	v_mul_f32_e32 v2, s11, v6
	v_add_co_u32 v0, s0, v4, v0
	v_add_co_ci_u32_e64 v1, null, v5, v1, s0
	s_cbranch_vccnz .LBB444_27
; %bb.26:
	flat_load_dword v3, v[0:1]
	s_waitcnt vmcnt(0) lgkmcnt(0)
	v_fmac_f32_e32 v2, s10, v3
.LBB444_27:
	flat_store_dword v[0:1], v2
.LBB444_28:
	s_endpgm
	.section	.rodata,"a",@progbits
	.p2align	6, 0x0
	.amdhsa_kernel _ZL29rocblas_internal_gemmt_kernelIlLi16ELi32ELi8ELc84ELc78ELc76ELb0ELb0EfPKfPKS1_PKPfEviT_T9_T10_S7_lS9_S7_lS8_T11_S7_li
		.amdhsa_group_segment_fixed_size 2048
		.amdhsa_private_segment_fixed_size 0
		.amdhsa_kernarg_size 108
		.amdhsa_user_sgpr_count 6
		.amdhsa_user_sgpr_private_segment_buffer 1
		.amdhsa_user_sgpr_dispatch_ptr 0
		.amdhsa_user_sgpr_queue_ptr 0
		.amdhsa_user_sgpr_kernarg_segment_ptr 1
		.amdhsa_user_sgpr_dispatch_id 0
		.amdhsa_user_sgpr_flat_scratch_init 0
		.amdhsa_user_sgpr_private_segment_size 0
		.amdhsa_wavefront_size32 1
		.amdhsa_uses_dynamic_stack 0
		.amdhsa_system_sgpr_private_segment_wavefront_offset 0
		.amdhsa_system_sgpr_workgroup_id_x 1
		.amdhsa_system_sgpr_workgroup_id_y 1
		.amdhsa_system_sgpr_workgroup_id_z 1
		.amdhsa_system_sgpr_workgroup_info 0
		.amdhsa_system_vgpr_workitem_id 1
		.amdhsa_next_free_vgpr 46
		.amdhsa_next_free_sgpr 44
		.amdhsa_reserve_vcc 1
		.amdhsa_reserve_flat_scratch 0
		.amdhsa_float_round_mode_32 0
		.amdhsa_float_round_mode_16_64 0
		.amdhsa_float_denorm_mode_32 3
		.amdhsa_float_denorm_mode_16_64 3
		.amdhsa_dx10_clamp 1
		.amdhsa_ieee_mode 1
		.amdhsa_fp16_overflow 0
		.amdhsa_workgroup_processor_mode 1
		.amdhsa_memory_ordered 1
		.amdhsa_forward_progress 1
		.amdhsa_shared_vgpr_count 0
		.amdhsa_exception_fp_ieee_invalid_op 0
		.amdhsa_exception_fp_denorm_src 0
		.amdhsa_exception_fp_ieee_div_zero 0
		.amdhsa_exception_fp_ieee_overflow 0
		.amdhsa_exception_fp_ieee_underflow 0
		.amdhsa_exception_fp_ieee_inexact 0
		.amdhsa_exception_int_div_zero 0
	.end_amdhsa_kernel
	.section	.text._ZL29rocblas_internal_gemmt_kernelIlLi16ELi32ELi8ELc84ELc78ELc76ELb0ELb0EfPKfPKS1_PKPfEviT_T9_T10_S7_lS9_S7_lS8_T11_S7_li,"axG",@progbits,_ZL29rocblas_internal_gemmt_kernelIlLi16ELi32ELi8ELc84ELc78ELc76ELb0ELb0EfPKfPKS1_PKPfEviT_T9_T10_S7_lS9_S7_lS8_T11_S7_li,comdat
.Lfunc_end444:
	.size	_ZL29rocblas_internal_gemmt_kernelIlLi16ELi32ELi8ELc84ELc78ELc76ELb0ELb0EfPKfPKS1_PKPfEviT_T9_T10_S7_lS9_S7_lS8_T11_S7_li, .Lfunc_end444-_ZL29rocblas_internal_gemmt_kernelIlLi16ELi32ELi8ELc84ELc78ELc76ELb0ELb0EfPKfPKS1_PKPfEviT_T9_T10_S7_lS9_S7_lS8_T11_S7_li
                                        ; -- End function
	.set _ZL29rocblas_internal_gemmt_kernelIlLi16ELi32ELi8ELc84ELc78ELc76ELb0ELb0EfPKfPKS1_PKPfEviT_T9_T10_S7_lS9_S7_lS8_T11_S7_li.num_vgpr, 46
	.set _ZL29rocblas_internal_gemmt_kernelIlLi16ELi32ELi8ELc84ELc78ELc76ELb0ELb0EfPKfPKS1_PKPfEviT_T9_T10_S7_lS9_S7_lS8_T11_S7_li.num_agpr, 0
	.set _ZL29rocblas_internal_gemmt_kernelIlLi16ELi32ELi8ELc84ELc78ELc76ELb0ELb0EfPKfPKS1_PKPfEviT_T9_T10_S7_lS9_S7_lS8_T11_S7_li.numbered_sgpr, 44
	.set _ZL29rocblas_internal_gemmt_kernelIlLi16ELi32ELi8ELc84ELc78ELc76ELb0ELb0EfPKfPKS1_PKPfEviT_T9_T10_S7_lS9_S7_lS8_T11_S7_li.num_named_barrier, 0
	.set _ZL29rocblas_internal_gemmt_kernelIlLi16ELi32ELi8ELc84ELc78ELc76ELb0ELb0EfPKfPKS1_PKPfEviT_T9_T10_S7_lS9_S7_lS8_T11_S7_li.private_seg_size, 0
	.set _ZL29rocblas_internal_gemmt_kernelIlLi16ELi32ELi8ELc84ELc78ELc76ELb0ELb0EfPKfPKS1_PKPfEviT_T9_T10_S7_lS9_S7_lS8_T11_S7_li.uses_vcc, 1
	.set _ZL29rocblas_internal_gemmt_kernelIlLi16ELi32ELi8ELc84ELc78ELc76ELb0ELb0EfPKfPKS1_PKPfEviT_T9_T10_S7_lS9_S7_lS8_T11_S7_li.uses_flat_scratch, 0
	.set _ZL29rocblas_internal_gemmt_kernelIlLi16ELi32ELi8ELc84ELc78ELc76ELb0ELb0EfPKfPKS1_PKPfEviT_T9_T10_S7_lS9_S7_lS8_T11_S7_li.has_dyn_sized_stack, 0
	.set _ZL29rocblas_internal_gemmt_kernelIlLi16ELi32ELi8ELc84ELc78ELc76ELb0ELb0EfPKfPKS1_PKPfEviT_T9_T10_S7_lS9_S7_lS8_T11_S7_li.has_recursion, 0
	.set _ZL29rocblas_internal_gemmt_kernelIlLi16ELi32ELi8ELc84ELc78ELc76ELb0ELb0EfPKfPKS1_PKPfEviT_T9_T10_S7_lS9_S7_lS8_T11_S7_li.has_indirect_call, 0
	.section	.AMDGPU.csdata,"",@progbits
; Kernel info:
; codeLenInByte = 1448
; TotalNumSgprs: 46
; NumVgprs: 46
; ScratchSize: 0
; MemoryBound: 0
; FloatMode: 240
; IeeeMode: 1
; LDSByteSize: 2048 bytes/workgroup (compile time only)
; SGPRBlocks: 0
; VGPRBlocks: 5
; NumSGPRsForWavesPerEU: 46
; NumVGPRsForWavesPerEU: 46
; Occupancy: 16
; WaveLimiterHint : 1
; COMPUTE_PGM_RSRC2:SCRATCH_EN: 0
; COMPUTE_PGM_RSRC2:USER_SGPR: 6
; COMPUTE_PGM_RSRC2:TRAP_HANDLER: 0
; COMPUTE_PGM_RSRC2:TGID_X_EN: 1
; COMPUTE_PGM_RSRC2:TGID_Y_EN: 1
; COMPUTE_PGM_RSRC2:TGID_Z_EN: 1
; COMPUTE_PGM_RSRC2:TIDIG_COMP_CNT: 1
	.section	.text._ZL29rocblas_internal_gemmt_kernelIlLi16ELi32ELi8ELc84ELc84ELc76ELb0ELb0EfPKfPKS1_PKPfEviT_T9_T10_S7_lS9_S7_lS8_T11_S7_li,"axG",@progbits,_ZL29rocblas_internal_gemmt_kernelIlLi16ELi32ELi8ELc84ELc84ELc76ELb0ELb0EfPKfPKS1_PKPfEviT_T9_T10_S7_lS9_S7_lS8_T11_S7_li,comdat
	.globl	_ZL29rocblas_internal_gemmt_kernelIlLi16ELi32ELi8ELc84ELc84ELc76ELb0ELb0EfPKfPKS1_PKPfEviT_T9_T10_S7_lS9_S7_lS8_T11_S7_li ; -- Begin function _ZL29rocblas_internal_gemmt_kernelIlLi16ELi32ELi8ELc84ELc84ELc76ELb0ELb0EfPKfPKS1_PKPfEviT_T9_T10_S7_lS9_S7_lS8_T11_S7_li
	.p2align	8
	.type	_ZL29rocblas_internal_gemmt_kernelIlLi16ELi32ELi8ELc84ELc84ELc76ELb0ELb0EfPKfPKS1_PKPfEviT_T9_T10_S7_lS9_S7_lS8_T11_S7_li,@function
_ZL29rocblas_internal_gemmt_kernelIlLi16ELi32ELi8ELc84ELc84ELc76ELb0ELb0EfPKfPKS1_PKPfEviT_T9_T10_S7_lS9_S7_lS8_T11_S7_li: ; @_ZL29rocblas_internal_gemmt_kernelIlLi16ELi32ELi8ELc84ELc84ELc76ELb0ELb0EfPKfPKS1_PKPfEviT_T9_T10_S7_lS9_S7_lS8_T11_S7_li
; %bb.0:
	s_clause 0x1
	s_load_dwordx8 s[36:43], s[4:5], 0x48
	s_load_dwordx16 s[12:27], s[4:5], 0x8
	s_waitcnt lgkmcnt(0)
	s_load_dword s10, s[36:37], 0x0
	s_load_dword s11, s[14:15], 0x0
	s_waitcnt lgkmcnt(0)
	v_cmp_neq_f32_e64 s0, s10, 1.0
	s_and_b32 vcc_lo, exec_lo, s0
	s_cbranch_vccnz .LBB445_2
; %bb.1:
	v_cmp_neq_f32_e64 s0, s11, 0
	s_cmp_lg_u64 s[12:13], 0
	s_cselect_b32 s1, -1, 0
	s_and_b32 s0, s1, s0
.LBB445_2:
	s_andn2_b32 vcc_lo, exec_lo, s0
	s_cbranch_vccnz .LBB445_28
; %bb.3:
	s_mov_b32 s9, 0
	v_mov_b32_e32 v5, 0
	s_lshl_b64 s[0:1], s[8:9], 3
	v_mov_b32_e32 v4, 0
	s_add_u32 s2, s38, s0
	s_addc_u32 s3, s39, s1
	s_load_dword s8, s[4:5], 0x0
	s_load_dwordx2 s[2:3], s[2:3], 0x0
	v_cmp_lt_i64_e64 s4, s[12:13], 1
	v_cmp_eq_f32_e64 s5, s11, 0
	v_mov_b32_e32 v7, 0
	v_mov_b32_e32 v6, 0
	s_lshl_b32 s6, s6, 5
	s_lshl_b32 s7, s7, 5
	s_or_b32 s4, s5, s4
	s_and_b32 vcc_lo, exec_lo, s4
	s_cbranch_vccnz .LBB445_12
; %bb.4:
	s_add_u32 s4, s22, s0
	s_addc_u32 s5, s23, s1
	s_lshl_b64 s[14:15], s[26:27], 2
	s_load_dwordx2 s[4:5], s[4:5], 0x0
	v_lshl_add_u32 v2, v1, 4, v0
	v_and_b32_e32 v8, 7, v0
	v_lshlrev_b32_e32 v9, 2, v0
	v_lshl_add_u32 v10, v1, 5, 0x400
	v_mov_b32_e32 v3, 0
	v_and_b32_e32 v5, 31, v2
	v_lshrrev_b32_e32 v12, 3, v2
	v_lshrrev_b32_e32 v11, 5, v2
	v_lshlrev_b32_e32 v2, 2, v8
	v_mov_b32_e32 v6, 0
	v_or_b32_e32 v17, s6, v5
	v_add_nc_u32_e32 v13, s7, v12
	v_lshlrev_b32_e32 v5, 2, v5
	v_lshl_or_b32 v2, v12, 5, v2
	v_mov_b32_e32 v7, 0
	v_mul_lo_u32 v18, s19, v17
	v_mad_u64_u32 v[15:16], null, s18, v17, 0
	v_ashrrev_i32_e32 v14, 31, v13
	s_waitcnt lgkmcnt(0)
	s_add_u32 s9, s4, s14
	s_addc_u32 s14, s5, s15
	s_add_u32 s0, s16, s0
	s_addc_u32 s1, s17, s1
	s_lshl_b64 s[4:5], s[20:21], 2
	s_load_dwordx2 s[0:1], s[0:1], 0x0
	v_mov_b32_e32 v4, 0
	v_lshl_or_b32 v12, v11, 7, v5
	v_mov_b32_e32 v5, 0
	s_waitcnt lgkmcnt(0)
	s_add_u32 s4, s0, s4
	s_addc_u32 s5, s1, s5
	s_ashr_i32 s0, s6, 31
	s_mul_i32 s1, s18, s0
	v_cmp_gt_i32_e64 s0, s8, v17
	v_add3_u32 v16, v16, s1, v18
	v_lshlrev_b64 v[17:18], 2, v[13:14]
	v_cmp_gt_i32_e64 s1, s8, v13
	v_add_nc_u32_e32 v13, 0x400, v2
	v_lshlrev_b64 v[19:20], 2, v[15:16]
	v_add_co_u32 v14, vcc_lo, s9, v17
	v_add_co_ci_u32_e64 v15, null, s14, v18, vcc_lo
	v_add_co_u32 v16, vcc_lo, s4, v19
	v_add_co_ci_u32_e64 v17, null, s5, v20, vcc_lo
	s_mov_b64 s[4:5], 0
	s_branch .LBB445_6
.LBB445_5:                              ;   in Loop: Header=BB445_6 Depth=1
	s_or_b32 exec_lo, exec_lo, s9
	s_waitcnt vmcnt(0) lgkmcnt(0)
	ds_write_b32 v13, v19
	s_waitcnt lgkmcnt(0)
	s_barrier
	buffer_gl0_inv
	ds_read_b128 v[18:21], v10
	ds_read2_b32 v[34:35], v9 offset1:16
	ds_read_b128 v[22:25], v10 offset:512
	ds_read2_b32 v[36:37], v9 offset0:32 offset1:48
	ds_read2_b32 v[38:39], v9 offset0:64 offset1:80
	;; [unrolled: 1-line block ×3, first 2 shown]
	ds_read_b128 v[26:29], v10 offset:16
	ds_read2_b32 v[42:43], v9 offset0:128 offset1:144
	ds_read_b128 v[30:33], v10 offset:528
	ds_read2_b32 v[44:45], v9 offset0:160 offset1:176
	s_add_u32 s4, s4, 8
	s_addc_u32 s5, s5, 0
	v_cmp_gt_i64_e64 s9, s[12:13], s[4:5]
	s_and_b32 vcc_lo, exec_lo, s9
	s_waitcnt lgkmcnt(8)
	v_fmac_f32_e32 v5, v34, v18
	v_fmac_f32_e32 v4, v35, v18
	s_waitcnt lgkmcnt(7)
	v_fmac_f32_e32 v7, v34, v22
	v_fmac_f32_e32 v6, v35, v22
	ds_read2_b32 v[34:35], v9 offset0:192 offset1:208
	s_waitcnt lgkmcnt(7)
	v_fmac_f32_e32 v5, v36, v19
	v_fmac_f32_e32 v4, v37, v19
	;; [unrolled: 1-line block ×4, first 2 shown]
	ds_read2_b32 v[18:19], v9 offset0:224 offset1:240
	s_waitcnt lgkmcnt(7)
	v_fmac_f32_e32 v5, v38, v20
	v_fmac_f32_e32 v4, v39, v20
	;; [unrolled: 1-line block ×4, first 2 shown]
	s_waitcnt lgkmcnt(0)
	v_fmac_f32_e32 v5, v40, v21
	v_fmac_f32_e32 v4, v41, v21
	v_fmac_f32_e32 v7, v40, v25
	v_fmac_f32_e32 v6, v41, v25
	s_barrier
	v_fmac_f32_e32 v5, v42, v26
	v_fmac_f32_e32 v4, v43, v26
	;; [unrolled: 1-line block ×4, first 2 shown]
	buffer_gl0_inv
	v_fmac_f32_e32 v5, v44, v27
	v_fmac_f32_e32 v4, v45, v27
	;; [unrolled: 1-line block ×12, first 2 shown]
	s_cbranch_vccz .LBB445_12
.LBB445_6:                              ; =>This Inner Loop Header: Depth=1
	v_mov_b32_e32 v18, 0
	s_and_saveexec_b32 s9, s0
	s_cbranch_execz .LBB445_10
; %bb.7:                                ;   in Loop: Header=BB445_6 Depth=1
	v_add_nc_u32_e32 v2, s4, v11
	v_mov_b32_e32 v18, 0
	s_mov_b32 s14, exec_lo
	v_cmpx_gt_u64_e64 s[12:13], v[2:3]
	s_cbranch_execz .LBB445_9
; %bb.8:                                ;   in Loop: Header=BB445_6 Depth=1
	v_lshlrev_b64 v[18:19], 2, v[2:3]
	v_add_co_u32 v18, vcc_lo, v16, v18
	v_add_co_ci_u32_e64 v19, null, v17, v19, vcc_lo
	flat_load_dword v18, v[18:19]
.LBB445_9:                              ;   in Loop: Header=BB445_6 Depth=1
	s_or_b32 exec_lo, exec_lo, s14
.LBB445_10:                             ;   in Loop: Header=BB445_6 Depth=1
	s_or_b32 exec_lo, exec_lo, s9
	v_add_nc_u32_e32 v2, s4, v8
	v_mov_b32_e32 v19, 0
	s_waitcnt vmcnt(0) lgkmcnt(0)
	ds_write_b32 v12, v18
	v_cmp_gt_u64_e32 vcc_lo, s[12:13], v[2:3]
	s_and_b32 s14, vcc_lo, s1
	s_and_saveexec_b32 s9, s14
	s_cbranch_execz .LBB445_5
; %bb.11:                               ;   in Loop: Header=BB445_6 Depth=1
	v_mad_u64_u32 v[18:19], null, s24, v2, 0
	v_mad_u64_u32 v[19:20], null, s25, v2, v[19:20]
	v_lshlrev_b64 v[18:19], 2, v[18:19]
	v_add_co_u32 v18, vcc_lo, v14, v18
	v_add_co_ci_u32_e64 v19, null, v15, v19, vcc_lo
	flat_load_dword v19, v[18:19]
	s_branch .LBB445_5
.LBB445_12:
	v_add_nc_u32_e32 v9, s7, v1
	s_lshl_b64 s[0:1], s[42:43], 2
	v_add_nc_u32_e32 v0, s6, v0
	s_waitcnt lgkmcnt(0)
	s_add_u32 s4, s2, s0
	v_cmp_neq_f32_e64 s2, s10, 0
	v_ashrrev_i32_e32 v3, 31, v9
	v_mul_lo_u32 v8, s41, v9
	v_mad_u64_u32 v[1:2], null, s40, v9, 0
	s_addc_u32 s3, s3, s1
	v_mul_lo_u32 v3, s40, v3
	v_cmp_le_i32_e32 vcc_lo, v9, v0
	v_cmp_gt_i32_e64 s0, s8, v0
	s_and_b32 s5, vcc_lo, s0
	v_add3_u32 v2, v2, v3, v8
	v_cndmask_b32_e64 v8, 0, 1, s2
	v_lshlrev_b64 v[2:3], 2, v[1:2]
	v_ashrrev_i32_e32 v1, 31, v0
	v_add_co_u32 v10, s1, s4, v2
	v_add_co_ci_u32_e64 v11, null, s3, v3, s1
	s_and_saveexec_b32 s1, s5
	s_cbranch_execz .LBB445_16
; %bb.13:
	v_lshlrev_b64 v[2:3], 2, v[0:1]
	v_mul_f32_e32 v5, s11, v5
	v_add_co_u32 v2, vcc_lo, v10, v2
	v_add_co_ci_u32_e64 v3, null, v11, v3, vcc_lo
	s_andn2_b32 vcc_lo, exec_lo, s2
	s_cbranch_vccnz .LBB445_15
; %bb.14:
	flat_load_dword v12, v[2:3]
	s_waitcnt vmcnt(0) lgkmcnt(0)
	v_fmac_f32_e32 v5, s10, v12
.LBB445_15:
	flat_store_dword v[2:3], v5
.LBB445_16:
	s_or_b32 exec_lo, exec_lo, s1
	v_add_nc_u32_e32 v2, 16, v0
	v_cmp_le_i32_e32 vcc_lo, v9, v2
	v_cmp_gt_i32_e64 s1, s8, v2
	v_ashrrev_i32_e32 v3, 31, v2
	s_and_b32 s2, vcc_lo, s1
	s_and_saveexec_b32 s5, s2
	s_cbranch_execz .LBB445_20
; %bb.17:
	v_lshlrev_b64 v[13:14], 2, v[2:3]
	v_mul_f32_e32 v12, s11, v4
	v_cmp_ne_u32_e32 vcc_lo, 1, v8
	v_add_co_u32 v4, s2, v10, v13
	v_add_co_ci_u32_e64 v5, null, v11, v14, s2
	s_cbranch_vccnz .LBB445_19
; %bb.18:
	flat_load_dword v10, v[4:5]
	s_waitcnt vmcnt(0) lgkmcnt(0)
	v_fmac_f32_e32 v12, s10, v10
.LBB445_19:
	flat_store_dword v[4:5], v12
.LBB445_20:
	s_or_b32 exec_lo, exec_lo, s5
	v_add_nc_u32_e32 v9, 16, v9
	v_ashrrev_i32_e32 v10, 31, v9
	v_mul_lo_u32 v11, s41, v9
	v_mad_u64_u32 v[4:5], null, s40, v9, 0
	v_cmp_le_i32_e32 vcc_lo, v9, v0
	v_mul_lo_u32 v10, s40, v10
	s_and_b32 s0, vcc_lo, s0
	v_add3_u32 v5, v5, v10, v11
	v_lshlrev_b64 v[4:5], 2, v[4:5]
	v_add_co_u32 v4, s2, s4, v4
	v_add_co_ci_u32_e64 v5, null, s3, v5, s2
	s_and_saveexec_b32 s2, s0
	s_cbranch_execz .LBB445_24
; %bb.21:
	v_lshlrev_b64 v[0:1], 2, v[0:1]
	v_cmp_ne_u32_e32 vcc_lo, 1, v8
	v_mul_f32_e32 v7, s11, v7
	v_add_co_u32 v0, s0, v4, v0
	v_add_co_ci_u32_e64 v1, null, v5, v1, s0
	s_cbranch_vccnz .LBB445_23
; %bb.22:
	flat_load_dword v10, v[0:1]
	s_waitcnt vmcnt(0) lgkmcnt(0)
	v_fmac_f32_e32 v7, s10, v10
.LBB445_23:
	flat_store_dword v[0:1], v7
.LBB445_24:
	s_or_b32 exec_lo, exec_lo, s2
	v_cmp_le_i32_e32 vcc_lo, v9, v2
	s_and_b32 s0, vcc_lo, s1
	s_and_saveexec_b32 s1, s0
	s_cbranch_execz .LBB445_28
; %bb.25:
	v_lshlrev_b64 v[0:1], 2, v[2:3]
	v_cmp_ne_u32_e32 vcc_lo, 1, v8
	v_mul_f32_e32 v2, s11, v6
	v_add_co_u32 v0, s0, v4, v0
	v_add_co_ci_u32_e64 v1, null, v5, v1, s0
	s_cbranch_vccnz .LBB445_27
; %bb.26:
	flat_load_dword v3, v[0:1]
	s_waitcnt vmcnt(0) lgkmcnt(0)
	v_fmac_f32_e32 v2, s10, v3
.LBB445_27:
	flat_store_dword v[0:1], v2
.LBB445_28:
	s_endpgm
	.section	.rodata,"a",@progbits
	.p2align	6, 0x0
	.amdhsa_kernel _ZL29rocblas_internal_gemmt_kernelIlLi16ELi32ELi8ELc84ELc84ELc76ELb0ELb0EfPKfPKS1_PKPfEviT_T9_T10_S7_lS9_S7_lS8_T11_S7_li
		.amdhsa_group_segment_fixed_size 2048
		.amdhsa_private_segment_fixed_size 0
		.amdhsa_kernarg_size 108
		.amdhsa_user_sgpr_count 6
		.amdhsa_user_sgpr_private_segment_buffer 1
		.amdhsa_user_sgpr_dispatch_ptr 0
		.amdhsa_user_sgpr_queue_ptr 0
		.amdhsa_user_sgpr_kernarg_segment_ptr 1
		.amdhsa_user_sgpr_dispatch_id 0
		.amdhsa_user_sgpr_flat_scratch_init 0
		.amdhsa_user_sgpr_private_segment_size 0
		.amdhsa_wavefront_size32 1
		.amdhsa_uses_dynamic_stack 0
		.amdhsa_system_sgpr_private_segment_wavefront_offset 0
		.amdhsa_system_sgpr_workgroup_id_x 1
		.amdhsa_system_sgpr_workgroup_id_y 1
		.amdhsa_system_sgpr_workgroup_id_z 1
		.amdhsa_system_sgpr_workgroup_info 0
		.amdhsa_system_vgpr_workitem_id 1
		.amdhsa_next_free_vgpr 46
		.amdhsa_next_free_sgpr 44
		.amdhsa_reserve_vcc 1
		.amdhsa_reserve_flat_scratch 0
		.amdhsa_float_round_mode_32 0
		.amdhsa_float_round_mode_16_64 0
		.amdhsa_float_denorm_mode_32 3
		.amdhsa_float_denorm_mode_16_64 3
		.amdhsa_dx10_clamp 1
		.amdhsa_ieee_mode 1
		.amdhsa_fp16_overflow 0
		.amdhsa_workgroup_processor_mode 1
		.amdhsa_memory_ordered 1
		.amdhsa_forward_progress 1
		.amdhsa_shared_vgpr_count 0
		.amdhsa_exception_fp_ieee_invalid_op 0
		.amdhsa_exception_fp_denorm_src 0
		.amdhsa_exception_fp_ieee_div_zero 0
		.amdhsa_exception_fp_ieee_overflow 0
		.amdhsa_exception_fp_ieee_underflow 0
		.amdhsa_exception_fp_ieee_inexact 0
		.amdhsa_exception_int_div_zero 0
	.end_amdhsa_kernel
	.section	.text._ZL29rocblas_internal_gemmt_kernelIlLi16ELi32ELi8ELc84ELc84ELc76ELb0ELb0EfPKfPKS1_PKPfEviT_T9_T10_S7_lS9_S7_lS8_T11_S7_li,"axG",@progbits,_ZL29rocblas_internal_gemmt_kernelIlLi16ELi32ELi8ELc84ELc84ELc76ELb0ELb0EfPKfPKS1_PKPfEviT_T9_T10_S7_lS9_S7_lS8_T11_S7_li,comdat
.Lfunc_end445:
	.size	_ZL29rocblas_internal_gemmt_kernelIlLi16ELi32ELi8ELc84ELc84ELc76ELb0ELb0EfPKfPKS1_PKPfEviT_T9_T10_S7_lS9_S7_lS8_T11_S7_li, .Lfunc_end445-_ZL29rocblas_internal_gemmt_kernelIlLi16ELi32ELi8ELc84ELc84ELc76ELb0ELb0EfPKfPKS1_PKPfEviT_T9_T10_S7_lS9_S7_lS8_T11_S7_li
                                        ; -- End function
	.set _ZL29rocblas_internal_gemmt_kernelIlLi16ELi32ELi8ELc84ELc84ELc76ELb0ELb0EfPKfPKS1_PKPfEviT_T9_T10_S7_lS9_S7_lS8_T11_S7_li.num_vgpr, 46
	.set _ZL29rocblas_internal_gemmt_kernelIlLi16ELi32ELi8ELc84ELc84ELc76ELb0ELb0EfPKfPKS1_PKPfEviT_T9_T10_S7_lS9_S7_lS8_T11_S7_li.num_agpr, 0
	.set _ZL29rocblas_internal_gemmt_kernelIlLi16ELi32ELi8ELc84ELc84ELc76ELb0ELb0EfPKfPKS1_PKPfEviT_T9_T10_S7_lS9_S7_lS8_T11_S7_li.numbered_sgpr, 44
	.set _ZL29rocblas_internal_gemmt_kernelIlLi16ELi32ELi8ELc84ELc84ELc76ELb0ELb0EfPKfPKS1_PKPfEviT_T9_T10_S7_lS9_S7_lS8_T11_S7_li.num_named_barrier, 0
	.set _ZL29rocblas_internal_gemmt_kernelIlLi16ELi32ELi8ELc84ELc84ELc76ELb0ELb0EfPKfPKS1_PKPfEviT_T9_T10_S7_lS9_S7_lS8_T11_S7_li.private_seg_size, 0
	.set _ZL29rocblas_internal_gemmt_kernelIlLi16ELi32ELi8ELc84ELc84ELc76ELb0ELb0EfPKfPKS1_PKPfEviT_T9_T10_S7_lS9_S7_lS8_T11_S7_li.uses_vcc, 1
	.set _ZL29rocblas_internal_gemmt_kernelIlLi16ELi32ELi8ELc84ELc84ELc76ELb0ELb0EfPKfPKS1_PKPfEviT_T9_T10_S7_lS9_S7_lS8_T11_S7_li.uses_flat_scratch, 0
	.set _ZL29rocblas_internal_gemmt_kernelIlLi16ELi32ELi8ELc84ELc84ELc76ELb0ELb0EfPKfPKS1_PKPfEviT_T9_T10_S7_lS9_S7_lS8_T11_S7_li.has_dyn_sized_stack, 0
	.set _ZL29rocblas_internal_gemmt_kernelIlLi16ELi32ELi8ELc84ELc84ELc76ELb0ELb0EfPKfPKS1_PKPfEviT_T9_T10_S7_lS9_S7_lS8_T11_S7_li.has_recursion, 0
	.set _ZL29rocblas_internal_gemmt_kernelIlLi16ELi32ELi8ELc84ELc84ELc76ELb0ELb0EfPKfPKS1_PKPfEviT_T9_T10_S7_lS9_S7_lS8_T11_S7_li.has_indirect_call, 0
	.section	.AMDGPU.csdata,"",@progbits
; Kernel info:
; codeLenInByte = 1432
; TotalNumSgprs: 46
; NumVgprs: 46
; ScratchSize: 0
; MemoryBound: 0
; FloatMode: 240
; IeeeMode: 1
; LDSByteSize: 2048 bytes/workgroup (compile time only)
; SGPRBlocks: 0
; VGPRBlocks: 5
; NumSGPRsForWavesPerEU: 46
; NumVGPRsForWavesPerEU: 46
; Occupancy: 16
; WaveLimiterHint : 1
; COMPUTE_PGM_RSRC2:SCRATCH_EN: 0
; COMPUTE_PGM_RSRC2:USER_SGPR: 6
; COMPUTE_PGM_RSRC2:TRAP_HANDLER: 0
; COMPUTE_PGM_RSRC2:TGID_X_EN: 1
; COMPUTE_PGM_RSRC2:TGID_Y_EN: 1
; COMPUTE_PGM_RSRC2:TGID_Z_EN: 1
; COMPUTE_PGM_RSRC2:TIDIG_COMP_CNT: 1
	.section	.text._ZL29rocblas_internal_gemmt_kernelIlLi16ELi32ELi8ELc84ELc67ELc76ELb0ELb0EfPKfPKS1_PKPfEviT_T9_T10_S7_lS9_S7_lS8_T11_S7_li,"axG",@progbits,_ZL29rocblas_internal_gemmt_kernelIlLi16ELi32ELi8ELc84ELc67ELc76ELb0ELb0EfPKfPKS1_PKPfEviT_T9_T10_S7_lS9_S7_lS8_T11_S7_li,comdat
	.globl	_ZL29rocblas_internal_gemmt_kernelIlLi16ELi32ELi8ELc84ELc67ELc76ELb0ELb0EfPKfPKS1_PKPfEviT_T9_T10_S7_lS9_S7_lS8_T11_S7_li ; -- Begin function _ZL29rocblas_internal_gemmt_kernelIlLi16ELi32ELi8ELc84ELc67ELc76ELb0ELb0EfPKfPKS1_PKPfEviT_T9_T10_S7_lS9_S7_lS8_T11_S7_li
	.p2align	8
	.type	_ZL29rocblas_internal_gemmt_kernelIlLi16ELi32ELi8ELc84ELc67ELc76ELb0ELb0EfPKfPKS1_PKPfEviT_T9_T10_S7_lS9_S7_lS8_T11_S7_li,@function
_ZL29rocblas_internal_gemmt_kernelIlLi16ELi32ELi8ELc84ELc67ELc76ELb0ELb0EfPKfPKS1_PKPfEviT_T9_T10_S7_lS9_S7_lS8_T11_S7_li: ; @_ZL29rocblas_internal_gemmt_kernelIlLi16ELi32ELi8ELc84ELc67ELc76ELb0ELb0EfPKfPKS1_PKPfEviT_T9_T10_S7_lS9_S7_lS8_T11_S7_li
; %bb.0:
	s_clause 0x1
	s_load_dwordx8 s[36:43], s[4:5], 0x48
	s_load_dwordx16 s[12:27], s[4:5], 0x8
	s_waitcnt lgkmcnt(0)
	s_load_dword s10, s[36:37], 0x0
	s_load_dword s11, s[14:15], 0x0
	s_waitcnt lgkmcnt(0)
	v_cmp_neq_f32_e64 s0, s10, 1.0
	s_and_b32 vcc_lo, exec_lo, s0
	s_cbranch_vccnz .LBB446_2
; %bb.1:
	v_cmp_neq_f32_e64 s0, s11, 0
	s_cmp_lg_u64 s[12:13], 0
	s_cselect_b32 s1, -1, 0
	s_and_b32 s0, s1, s0
.LBB446_2:
	s_andn2_b32 vcc_lo, exec_lo, s0
	s_cbranch_vccnz .LBB446_28
; %bb.3:
	s_mov_b32 s9, 0
	v_mov_b32_e32 v5, 0
	s_lshl_b64 s[0:1], s[8:9], 3
	v_mov_b32_e32 v4, 0
	s_add_u32 s2, s38, s0
	s_addc_u32 s3, s39, s1
	s_load_dword s8, s[4:5], 0x0
	s_load_dwordx2 s[2:3], s[2:3], 0x0
	v_cmp_lt_i64_e64 s4, s[12:13], 1
	v_cmp_eq_f32_e64 s5, s11, 0
	v_mov_b32_e32 v7, 0
	v_mov_b32_e32 v6, 0
	s_lshl_b32 s6, s6, 5
	s_lshl_b32 s7, s7, 5
	s_or_b32 s4, s5, s4
	s_and_b32 vcc_lo, exec_lo, s4
	s_cbranch_vccnz .LBB446_12
; %bb.4:
	s_add_u32 s4, s22, s0
	s_addc_u32 s5, s23, s1
	s_lshl_b64 s[14:15], s[26:27], 2
	s_load_dwordx2 s[4:5], s[4:5], 0x0
	v_lshl_add_u32 v2, v1, 4, v0
	v_and_b32_e32 v8, 7, v0
	v_lshlrev_b32_e32 v9, 2, v0
	v_lshl_add_u32 v10, v1, 5, 0x400
	v_mov_b32_e32 v3, 0
	v_and_b32_e32 v5, 31, v2
	v_lshrrev_b32_e32 v12, 3, v2
	v_lshrrev_b32_e32 v11, 5, v2
	v_lshlrev_b32_e32 v2, 2, v8
	v_mov_b32_e32 v6, 0
	v_or_b32_e32 v17, s6, v5
	v_add_nc_u32_e32 v13, s7, v12
	v_lshlrev_b32_e32 v5, 2, v5
	v_lshl_or_b32 v2, v12, 5, v2
	v_mov_b32_e32 v7, 0
	v_mul_lo_u32 v18, s19, v17
	v_mad_u64_u32 v[15:16], null, s18, v17, 0
	v_ashrrev_i32_e32 v14, 31, v13
	s_waitcnt lgkmcnt(0)
	s_add_u32 s9, s4, s14
	s_addc_u32 s14, s5, s15
	s_add_u32 s0, s16, s0
	s_addc_u32 s1, s17, s1
	s_lshl_b64 s[4:5], s[20:21], 2
	s_load_dwordx2 s[0:1], s[0:1], 0x0
	v_mov_b32_e32 v4, 0
	v_lshl_or_b32 v12, v11, 7, v5
	v_mov_b32_e32 v5, 0
	s_waitcnt lgkmcnt(0)
	s_add_u32 s4, s0, s4
	s_addc_u32 s5, s1, s5
	s_ashr_i32 s0, s6, 31
	s_mul_i32 s1, s18, s0
	v_cmp_gt_i32_e64 s0, s8, v17
	v_add3_u32 v16, v16, s1, v18
	v_lshlrev_b64 v[17:18], 2, v[13:14]
	v_cmp_gt_i32_e64 s1, s8, v13
	v_add_nc_u32_e32 v13, 0x400, v2
	v_lshlrev_b64 v[19:20], 2, v[15:16]
	v_add_co_u32 v14, vcc_lo, s9, v17
	v_add_co_ci_u32_e64 v15, null, s14, v18, vcc_lo
	v_add_co_u32 v16, vcc_lo, s4, v19
	v_add_co_ci_u32_e64 v17, null, s5, v20, vcc_lo
	s_mov_b64 s[4:5], 0
	s_branch .LBB446_6
.LBB446_5:                              ;   in Loop: Header=BB446_6 Depth=1
	s_or_b32 exec_lo, exec_lo, s9
	s_waitcnt vmcnt(0) lgkmcnt(0)
	ds_write_b32 v13, v19
	s_waitcnt lgkmcnt(0)
	s_barrier
	buffer_gl0_inv
	ds_read_b128 v[18:21], v10
	ds_read2_b32 v[34:35], v9 offset1:16
	ds_read_b128 v[22:25], v10 offset:512
	ds_read2_b32 v[36:37], v9 offset0:32 offset1:48
	ds_read2_b32 v[38:39], v9 offset0:64 offset1:80
	;; [unrolled: 1-line block ×3, first 2 shown]
	ds_read_b128 v[26:29], v10 offset:16
	ds_read2_b32 v[42:43], v9 offset0:128 offset1:144
	ds_read_b128 v[30:33], v10 offset:528
	ds_read2_b32 v[44:45], v9 offset0:160 offset1:176
	s_add_u32 s4, s4, 8
	s_addc_u32 s5, s5, 0
	v_cmp_gt_i64_e64 s9, s[12:13], s[4:5]
	s_and_b32 vcc_lo, exec_lo, s9
	s_waitcnt lgkmcnt(8)
	v_fmac_f32_e32 v5, v34, v18
	v_fmac_f32_e32 v4, v35, v18
	s_waitcnt lgkmcnt(7)
	v_fmac_f32_e32 v7, v34, v22
	v_fmac_f32_e32 v6, v35, v22
	ds_read2_b32 v[34:35], v9 offset0:192 offset1:208
	s_waitcnt lgkmcnt(7)
	v_fmac_f32_e32 v5, v36, v19
	v_fmac_f32_e32 v4, v37, v19
	;; [unrolled: 1-line block ×4, first 2 shown]
	ds_read2_b32 v[18:19], v9 offset0:224 offset1:240
	s_waitcnt lgkmcnt(7)
	v_fmac_f32_e32 v5, v38, v20
	v_fmac_f32_e32 v4, v39, v20
	;; [unrolled: 1-line block ×4, first 2 shown]
	s_waitcnt lgkmcnt(0)
	v_fmac_f32_e32 v5, v40, v21
	v_fmac_f32_e32 v4, v41, v21
	;; [unrolled: 1-line block ×4, first 2 shown]
	s_barrier
	v_fmac_f32_e32 v5, v42, v26
	v_fmac_f32_e32 v4, v43, v26
	;; [unrolled: 1-line block ×4, first 2 shown]
	buffer_gl0_inv
	v_fmac_f32_e32 v5, v44, v27
	v_fmac_f32_e32 v4, v45, v27
	;; [unrolled: 1-line block ×12, first 2 shown]
	s_cbranch_vccz .LBB446_12
.LBB446_6:                              ; =>This Inner Loop Header: Depth=1
	v_mov_b32_e32 v18, 0
	s_and_saveexec_b32 s9, s0
	s_cbranch_execz .LBB446_10
; %bb.7:                                ;   in Loop: Header=BB446_6 Depth=1
	v_add_nc_u32_e32 v2, s4, v11
	v_mov_b32_e32 v18, 0
	s_mov_b32 s14, exec_lo
	v_cmpx_gt_u64_e64 s[12:13], v[2:3]
	s_cbranch_execz .LBB446_9
; %bb.8:                                ;   in Loop: Header=BB446_6 Depth=1
	v_lshlrev_b64 v[18:19], 2, v[2:3]
	v_add_co_u32 v18, vcc_lo, v16, v18
	v_add_co_ci_u32_e64 v19, null, v17, v19, vcc_lo
	flat_load_dword v18, v[18:19]
.LBB446_9:                              ;   in Loop: Header=BB446_6 Depth=1
	s_or_b32 exec_lo, exec_lo, s14
.LBB446_10:                             ;   in Loop: Header=BB446_6 Depth=1
	s_or_b32 exec_lo, exec_lo, s9
	v_add_nc_u32_e32 v2, s4, v8
	v_mov_b32_e32 v19, 0
	s_waitcnt vmcnt(0) lgkmcnt(0)
	ds_write_b32 v12, v18
	v_cmp_gt_u64_e32 vcc_lo, s[12:13], v[2:3]
	s_and_b32 s14, vcc_lo, s1
	s_and_saveexec_b32 s9, s14
	s_cbranch_execz .LBB446_5
; %bb.11:                               ;   in Loop: Header=BB446_6 Depth=1
	v_mad_u64_u32 v[18:19], null, s24, v2, 0
	v_mad_u64_u32 v[19:20], null, s25, v2, v[19:20]
	v_lshlrev_b64 v[18:19], 2, v[18:19]
	v_add_co_u32 v18, vcc_lo, v14, v18
	v_add_co_ci_u32_e64 v19, null, v15, v19, vcc_lo
	flat_load_dword v19, v[18:19]
	s_branch .LBB446_5
.LBB446_12:
	v_add_nc_u32_e32 v9, s7, v1
	s_lshl_b64 s[0:1], s[42:43], 2
	v_add_nc_u32_e32 v0, s6, v0
	s_waitcnt lgkmcnt(0)
	s_add_u32 s4, s2, s0
	v_cmp_neq_f32_e64 s2, s10, 0
	v_ashrrev_i32_e32 v3, 31, v9
	v_mul_lo_u32 v8, s41, v9
	v_mad_u64_u32 v[1:2], null, s40, v9, 0
	s_addc_u32 s3, s3, s1
	v_mul_lo_u32 v3, s40, v3
	v_cmp_le_i32_e32 vcc_lo, v9, v0
	v_cmp_gt_i32_e64 s0, s8, v0
	s_and_b32 s5, vcc_lo, s0
	v_add3_u32 v2, v2, v3, v8
	v_cndmask_b32_e64 v8, 0, 1, s2
	v_lshlrev_b64 v[2:3], 2, v[1:2]
	v_ashrrev_i32_e32 v1, 31, v0
	v_add_co_u32 v10, s1, s4, v2
	v_add_co_ci_u32_e64 v11, null, s3, v3, s1
	s_and_saveexec_b32 s1, s5
	s_cbranch_execz .LBB446_16
; %bb.13:
	v_lshlrev_b64 v[2:3], 2, v[0:1]
	v_mul_f32_e32 v5, s11, v5
	v_add_co_u32 v2, vcc_lo, v10, v2
	v_add_co_ci_u32_e64 v3, null, v11, v3, vcc_lo
	s_andn2_b32 vcc_lo, exec_lo, s2
	s_cbranch_vccnz .LBB446_15
; %bb.14:
	flat_load_dword v12, v[2:3]
	s_waitcnt vmcnt(0) lgkmcnt(0)
	v_fmac_f32_e32 v5, s10, v12
.LBB446_15:
	flat_store_dword v[2:3], v5
.LBB446_16:
	s_or_b32 exec_lo, exec_lo, s1
	v_add_nc_u32_e32 v2, 16, v0
	v_cmp_le_i32_e32 vcc_lo, v9, v2
	v_cmp_gt_i32_e64 s1, s8, v2
	v_ashrrev_i32_e32 v3, 31, v2
	s_and_b32 s2, vcc_lo, s1
	s_and_saveexec_b32 s5, s2
	s_cbranch_execz .LBB446_20
; %bb.17:
	v_lshlrev_b64 v[13:14], 2, v[2:3]
	v_mul_f32_e32 v12, s11, v4
	v_cmp_ne_u32_e32 vcc_lo, 1, v8
	v_add_co_u32 v4, s2, v10, v13
	v_add_co_ci_u32_e64 v5, null, v11, v14, s2
	s_cbranch_vccnz .LBB446_19
; %bb.18:
	flat_load_dword v10, v[4:5]
	s_waitcnt vmcnt(0) lgkmcnt(0)
	v_fmac_f32_e32 v12, s10, v10
.LBB446_19:
	flat_store_dword v[4:5], v12
.LBB446_20:
	s_or_b32 exec_lo, exec_lo, s5
	v_add_nc_u32_e32 v9, 16, v9
	v_ashrrev_i32_e32 v10, 31, v9
	v_mul_lo_u32 v11, s41, v9
	v_mad_u64_u32 v[4:5], null, s40, v9, 0
	v_cmp_le_i32_e32 vcc_lo, v9, v0
	v_mul_lo_u32 v10, s40, v10
	s_and_b32 s0, vcc_lo, s0
	v_add3_u32 v5, v5, v10, v11
	v_lshlrev_b64 v[4:5], 2, v[4:5]
	v_add_co_u32 v4, s2, s4, v4
	v_add_co_ci_u32_e64 v5, null, s3, v5, s2
	s_and_saveexec_b32 s2, s0
	s_cbranch_execz .LBB446_24
; %bb.21:
	v_lshlrev_b64 v[0:1], 2, v[0:1]
	v_cmp_ne_u32_e32 vcc_lo, 1, v8
	v_mul_f32_e32 v7, s11, v7
	v_add_co_u32 v0, s0, v4, v0
	v_add_co_ci_u32_e64 v1, null, v5, v1, s0
	s_cbranch_vccnz .LBB446_23
; %bb.22:
	flat_load_dword v10, v[0:1]
	s_waitcnt vmcnt(0) lgkmcnt(0)
	v_fmac_f32_e32 v7, s10, v10
.LBB446_23:
	flat_store_dword v[0:1], v7
.LBB446_24:
	s_or_b32 exec_lo, exec_lo, s2
	v_cmp_le_i32_e32 vcc_lo, v9, v2
	s_and_b32 s0, vcc_lo, s1
	s_and_saveexec_b32 s1, s0
	s_cbranch_execz .LBB446_28
; %bb.25:
	v_lshlrev_b64 v[0:1], 2, v[2:3]
	v_cmp_ne_u32_e32 vcc_lo, 1, v8
	v_mul_f32_e32 v2, s11, v6
	v_add_co_u32 v0, s0, v4, v0
	v_add_co_ci_u32_e64 v1, null, v5, v1, s0
	s_cbranch_vccnz .LBB446_27
; %bb.26:
	flat_load_dword v3, v[0:1]
	s_waitcnt vmcnt(0) lgkmcnt(0)
	v_fmac_f32_e32 v2, s10, v3
.LBB446_27:
	flat_store_dword v[0:1], v2
.LBB446_28:
	s_endpgm
	.section	.rodata,"a",@progbits
	.p2align	6, 0x0
	.amdhsa_kernel _ZL29rocblas_internal_gemmt_kernelIlLi16ELi32ELi8ELc84ELc67ELc76ELb0ELb0EfPKfPKS1_PKPfEviT_T9_T10_S7_lS9_S7_lS8_T11_S7_li
		.amdhsa_group_segment_fixed_size 2048
		.amdhsa_private_segment_fixed_size 0
		.amdhsa_kernarg_size 108
		.amdhsa_user_sgpr_count 6
		.amdhsa_user_sgpr_private_segment_buffer 1
		.amdhsa_user_sgpr_dispatch_ptr 0
		.amdhsa_user_sgpr_queue_ptr 0
		.amdhsa_user_sgpr_kernarg_segment_ptr 1
		.amdhsa_user_sgpr_dispatch_id 0
		.amdhsa_user_sgpr_flat_scratch_init 0
		.amdhsa_user_sgpr_private_segment_size 0
		.amdhsa_wavefront_size32 1
		.amdhsa_uses_dynamic_stack 0
		.amdhsa_system_sgpr_private_segment_wavefront_offset 0
		.amdhsa_system_sgpr_workgroup_id_x 1
		.amdhsa_system_sgpr_workgroup_id_y 1
		.amdhsa_system_sgpr_workgroup_id_z 1
		.amdhsa_system_sgpr_workgroup_info 0
		.amdhsa_system_vgpr_workitem_id 1
		.amdhsa_next_free_vgpr 46
		.amdhsa_next_free_sgpr 44
		.amdhsa_reserve_vcc 1
		.amdhsa_reserve_flat_scratch 0
		.amdhsa_float_round_mode_32 0
		.amdhsa_float_round_mode_16_64 0
		.amdhsa_float_denorm_mode_32 3
		.amdhsa_float_denorm_mode_16_64 3
		.amdhsa_dx10_clamp 1
		.amdhsa_ieee_mode 1
		.amdhsa_fp16_overflow 0
		.amdhsa_workgroup_processor_mode 1
		.amdhsa_memory_ordered 1
		.amdhsa_forward_progress 1
		.amdhsa_shared_vgpr_count 0
		.amdhsa_exception_fp_ieee_invalid_op 0
		.amdhsa_exception_fp_denorm_src 0
		.amdhsa_exception_fp_ieee_div_zero 0
		.amdhsa_exception_fp_ieee_overflow 0
		.amdhsa_exception_fp_ieee_underflow 0
		.amdhsa_exception_fp_ieee_inexact 0
		.amdhsa_exception_int_div_zero 0
	.end_amdhsa_kernel
	.section	.text._ZL29rocblas_internal_gemmt_kernelIlLi16ELi32ELi8ELc84ELc67ELc76ELb0ELb0EfPKfPKS1_PKPfEviT_T9_T10_S7_lS9_S7_lS8_T11_S7_li,"axG",@progbits,_ZL29rocblas_internal_gemmt_kernelIlLi16ELi32ELi8ELc84ELc67ELc76ELb0ELb0EfPKfPKS1_PKPfEviT_T9_T10_S7_lS9_S7_lS8_T11_S7_li,comdat
.Lfunc_end446:
	.size	_ZL29rocblas_internal_gemmt_kernelIlLi16ELi32ELi8ELc84ELc67ELc76ELb0ELb0EfPKfPKS1_PKPfEviT_T9_T10_S7_lS9_S7_lS8_T11_S7_li, .Lfunc_end446-_ZL29rocblas_internal_gemmt_kernelIlLi16ELi32ELi8ELc84ELc67ELc76ELb0ELb0EfPKfPKS1_PKPfEviT_T9_T10_S7_lS9_S7_lS8_T11_S7_li
                                        ; -- End function
	.set _ZL29rocblas_internal_gemmt_kernelIlLi16ELi32ELi8ELc84ELc67ELc76ELb0ELb0EfPKfPKS1_PKPfEviT_T9_T10_S7_lS9_S7_lS8_T11_S7_li.num_vgpr, 46
	.set _ZL29rocblas_internal_gemmt_kernelIlLi16ELi32ELi8ELc84ELc67ELc76ELb0ELb0EfPKfPKS1_PKPfEviT_T9_T10_S7_lS9_S7_lS8_T11_S7_li.num_agpr, 0
	.set _ZL29rocblas_internal_gemmt_kernelIlLi16ELi32ELi8ELc84ELc67ELc76ELb0ELb0EfPKfPKS1_PKPfEviT_T9_T10_S7_lS9_S7_lS8_T11_S7_li.numbered_sgpr, 44
	.set _ZL29rocblas_internal_gemmt_kernelIlLi16ELi32ELi8ELc84ELc67ELc76ELb0ELb0EfPKfPKS1_PKPfEviT_T9_T10_S7_lS9_S7_lS8_T11_S7_li.num_named_barrier, 0
	.set _ZL29rocblas_internal_gemmt_kernelIlLi16ELi32ELi8ELc84ELc67ELc76ELb0ELb0EfPKfPKS1_PKPfEviT_T9_T10_S7_lS9_S7_lS8_T11_S7_li.private_seg_size, 0
	.set _ZL29rocblas_internal_gemmt_kernelIlLi16ELi32ELi8ELc84ELc67ELc76ELb0ELb0EfPKfPKS1_PKPfEviT_T9_T10_S7_lS9_S7_lS8_T11_S7_li.uses_vcc, 1
	.set _ZL29rocblas_internal_gemmt_kernelIlLi16ELi32ELi8ELc84ELc67ELc76ELb0ELb0EfPKfPKS1_PKPfEviT_T9_T10_S7_lS9_S7_lS8_T11_S7_li.uses_flat_scratch, 0
	.set _ZL29rocblas_internal_gemmt_kernelIlLi16ELi32ELi8ELc84ELc67ELc76ELb0ELb0EfPKfPKS1_PKPfEviT_T9_T10_S7_lS9_S7_lS8_T11_S7_li.has_dyn_sized_stack, 0
	.set _ZL29rocblas_internal_gemmt_kernelIlLi16ELi32ELi8ELc84ELc67ELc76ELb0ELb0EfPKfPKS1_PKPfEviT_T9_T10_S7_lS9_S7_lS8_T11_S7_li.has_recursion, 0
	.set _ZL29rocblas_internal_gemmt_kernelIlLi16ELi32ELi8ELc84ELc67ELc76ELb0ELb0EfPKfPKS1_PKPfEviT_T9_T10_S7_lS9_S7_lS8_T11_S7_li.has_indirect_call, 0
	.section	.AMDGPU.csdata,"",@progbits
; Kernel info:
; codeLenInByte = 1432
; TotalNumSgprs: 46
; NumVgprs: 46
; ScratchSize: 0
; MemoryBound: 0
; FloatMode: 240
; IeeeMode: 1
; LDSByteSize: 2048 bytes/workgroup (compile time only)
; SGPRBlocks: 0
; VGPRBlocks: 5
; NumSGPRsForWavesPerEU: 46
; NumVGPRsForWavesPerEU: 46
; Occupancy: 16
; WaveLimiterHint : 1
; COMPUTE_PGM_RSRC2:SCRATCH_EN: 0
; COMPUTE_PGM_RSRC2:USER_SGPR: 6
; COMPUTE_PGM_RSRC2:TRAP_HANDLER: 0
; COMPUTE_PGM_RSRC2:TGID_X_EN: 1
; COMPUTE_PGM_RSRC2:TGID_Y_EN: 1
; COMPUTE_PGM_RSRC2:TGID_Z_EN: 1
; COMPUTE_PGM_RSRC2:TIDIG_COMP_CNT: 1
	.section	.text._ZL29rocblas_internal_gemmt_kernelIlLi16ELi32ELi8ELc67ELc78ELc76ELb0ELb0EfPKfPKS1_PKPfEviT_T9_T10_S7_lS9_S7_lS8_T11_S7_li,"axG",@progbits,_ZL29rocblas_internal_gemmt_kernelIlLi16ELi32ELi8ELc67ELc78ELc76ELb0ELb0EfPKfPKS1_PKPfEviT_T9_T10_S7_lS9_S7_lS8_T11_S7_li,comdat
	.globl	_ZL29rocblas_internal_gemmt_kernelIlLi16ELi32ELi8ELc67ELc78ELc76ELb0ELb0EfPKfPKS1_PKPfEviT_T9_T10_S7_lS9_S7_lS8_T11_S7_li ; -- Begin function _ZL29rocblas_internal_gemmt_kernelIlLi16ELi32ELi8ELc67ELc78ELc76ELb0ELb0EfPKfPKS1_PKPfEviT_T9_T10_S7_lS9_S7_lS8_T11_S7_li
	.p2align	8
	.type	_ZL29rocblas_internal_gemmt_kernelIlLi16ELi32ELi8ELc67ELc78ELc76ELb0ELb0EfPKfPKS1_PKPfEviT_T9_T10_S7_lS9_S7_lS8_T11_S7_li,@function
_ZL29rocblas_internal_gemmt_kernelIlLi16ELi32ELi8ELc67ELc78ELc76ELb0ELb0EfPKfPKS1_PKPfEviT_T9_T10_S7_lS9_S7_lS8_T11_S7_li: ; @_ZL29rocblas_internal_gemmt_kernelIlLi16ELi32ELi8ELc67ELc78ELc76ELb0ELb0EfPKfPKS1_PKPfEviT_T9_T10_S7_lS9_S7_lS8_T11_S7_li
; %bb.0:
	s_clause 0x1
	s_load_dwordx8 s[36:43], s[4:5], 0x48
	s_load_dwordx16 s[12:27], s[4:5], 0x8
	s_waitcnt lgkmcnt(0)
	s_load_dword s10, s[36:37], 0x0
	s_load_dword s11, s[14:15], 0x0
	s_waitcnt lgkmcnt(0)
	v_cmp_neq_f32_e64 s0, s10, 1.0
	s_and_b32 vcc_lo, exec_lo, s0
	s_cbranch_vccnz .LBB447_2
; %bb.1:
	v_cmp_neq_f32_e64 s0, s11, 0
	s_cmp_lg_u64 s[12:13], 0
	s_cselect_b32 s1, -1, 0
	s_and_b32 s0, s1, s0
.LBB447_2:
	s_andn2_b32 vcc_lo, exec_lo, s0
	s_cbranch_vccnz .LBB447_28
; %bb.3:
	s_mov_b32 s9, 0
	v_mov_b32_e32 v8, 0
	s_lshl_b64 s[0:1], s[8:9], 3
	v_mov_b32_e32 v4, 0
	s_add_u32 s2, s38, s0
	s_addc_u32 s3, s39, s1
	s_load_dword s8, s[4:5], 0x0
	s_load_dwordx2 s[2:3], s[2:3], 0x0
	v_cmp_lt_i64_e64 s4, s[12:13], 1
	v_cmp_eq_f32_e64 s5, s11, 0
	v_mov_b32_e32 v7, 0
	v_mov_b32_e32 v6, 0
	s_lshl_b32 s6, s6, 5
	s_lshl_b32 s7, s7, 5
	s_or_b32 s4, s5, s4
	s_and_b32 vcc_lo, exec_lo, s4
	s_cbranch_vccnz .LBB447_12
; %bb.4:
	s_add_u32 s4, s22, s0
	s_addc_u32 s5, s23, s1
	s_lshl_b64 s[14:15], s[26:27], 2
	s_load_dwordx2 s[4:5], s[4:5], 0x0
	v_lshl_add_u32 v2, v1, 4, v0
	v_and_b32_e32 v5, 7, v0
	v_lshlrev_b32_e32 v9, 2, v0
	v_lshl_add_u32 v10, v1, 5, 0x400
	v_mov_b32_e32 v3, 0
	v_lshrrev_b32_e32 v8, 3, v2
	v_and_b32_e32 v14, 31, v2
	v_mov_b32_e32 v6, 0
	v_mov_b32_e32 v7, 0
	;; [unrolled: 1-line block ×3, first 2 shown]
	v_add_nc_u32_e32 v18, s7, v8
	v_or_b32_e32 v16, s6, v14
	v_lshlrev_b32_e32 v20, 2, v14
	v_ashrrev_i32_e32 v11, 31, v18
	v_mul_lo_u32 v17, s25, v18
	v_mad_u64_u32 v[12:13], null, s24, v18, 0
	s_waitcnt lgkmcnt(0)
	s_add_u32 s9, s4, s14
	s_addc_u32 s14, s5, s15
	s_add_u32 s0, s16, s0
	s_addc_u32 s1, s17, s1
	v_mul_lo_u32 v19, s24, v11
	s_load_dwordx2 s[0:1], s[0:1], 0x0
	v_mul_lo_u32 v21, s19, v16
	v_mad_u64_u32 v[14:15], null, s18, v16, 0
	s_lshl_b64 s[4:5], s[20:21], 2
	v_lshrrev_b32_e32 v11, 5, v2
	v_lshlrev_b32_e32 v2, 2, v5
	v_add3_u32 v13, v13, v19, v17
	v_lshl_or_b32 v2, v8, 5, v2
	v_mov_b32_e32 v8, 0
	s_waitcnt lgkmcnt(0)
	s_add_u32 s4, s0, s4
	s_addc_u32 s5, s1, s5
	s_ashr_i32 s0, s6, 31
	s_mul_i32 s1, s18, s0
	v_cmp_gt_i32_e64 s0, s8, v16
	v_add3_u32 v15, v15, s1, v21
	v_lshlrev_b64 v[16:17], 2, v[12:13]
	v_cmp_gt_i32_e64 s1, s8, v18
	v_lshl_or_b32 v12, v11, 7, v20
	v_add_nc_u32_e32 v13, 0x400, v2
	v_lshlrev_b64 v[18:19], 2, v[14:15]
	v_add_co_u32 v14, vcc_lo, s9, v16
	v_add_co_ci_u32_e64 v15, null, s14, v17, vcc_lo
	v_add_co_u32 v16, vcc_lo, s4, v18
	v_add_co_ci_u32_e64 v17, null, s5, v19, vcc_lo
	s_mov_b64 s[4:5], 0
	s_branch .LBB447_6
.LBB447_5:                              ;   in Loop: Header=BB447_6 Depth=1
	s_or_b32 exec_lo, exec_lo, s9
	s_waitcnt vmcnt(0) lgkmcnt(0)
	ds_write_b32 v13, v19
	s_waitcnt lgkmcnt(0)
	s_barrier
	buffer_gl0_inv
	ds_read_b128 v[18:21], v10
	ds_read2_b32 v[34:35], v9 offset1:16
	ds_read_b128 v[22:25], v10 offset:512
	ds_read2_b32 v[36:37], v9 offset0:32 offset1:48
	ds_read2_b32 v[38:39], v9 offset0:64 offset1:80
	;; [unrolled: 1-line block ×3, first 2 shown]
	ds_read_b128 v[26:29], v10 offset:16
	ds_read2_b32 v[42:43], v9 offset0:128 offset1:144
	ds_read_b128 v[30:33], v10 offset:528
	ds_read2_b32 v[44:45], v9 offset0:160 offset1:176
	s_add_u32 s4, s4, 8
	s_addc_u32 s5, s5, 0
	v_cmp_gt_i64_e64 s9, s[12:13], s[4:5]
	s_and_b32 vcc_lo, exec_lo, s9
	s_waitcnt lgkmcnt(8)
	v_fmac_f32_e32 v8, v34, v18
	v_fmac_f32_e32 v4, v35, v18
	s_waitcnt lgkmcnt(7)
	v_fmac_f32_e32 v7, v34, v22
	v_fmac_f32_e32 v6, v35, v22
	ds_read2_b32 v[34:35], v9 offset0:192 offset1:208
	s_waitcnt lgkmcnt(7)
	v_fmac_f32_e32 v8, v36, v19
	v_fmac_f32_e32 v4, v37, v19
	v_fmac_f32_e32 v7, v36, v23
	v_fmac_f32_e32 v6, v37, v23
	ds_read2_b32 v[18:19], v9 offset0:224 offset1:240
	s_waitcnt lgkmcnt(7)
	v_fmac_f32_e32 v8, v38, v20
	v_fmac_f32_e32 v4, v39, v20
	;; [unrolled: 1-line block ×4, first 2 shown]
	s_waitcnt lgkmcnt(0)
	v_fmac_f32_e32 v8, v40, v21
	v_fmac_f32_e32 v4, v41, v21
	;; [unrolled: 1-line block ×4, first 2 shown]
	s_barrier
	v_fmac_f32_e32 v8, v42, v26
	v_fmac_f32_e32 v4, v43, v26
	;; [unrolled: 1-line block ×4, first 2 shown]
	buffer_gl0_inv
	v_fmac_f32_e32 v8, v44, v27
	v_fmac_f32_e32 v4, v45, v27
	;; [unrolled: 1-line block ×12, first 2 shown]
	s_cbranch_vccz .LBB447_12
.LBB447_6:                              ; =>This Inner Loop Header: Depth=1
	v_mov_b32_e32 v18, 0
	s_and_saveexec_b32 s9, s0
	s_cbranch_execz .LBB447_10
; %bb.7:                                ;   in Loop: Header=BB447_6 Depth=1
	v_add_nc_u32_e32 v2, s4, v11
	v_mov_b32_e32 v18, 0
	s_mov_b32 s14, exec_lo
	v_cmpx_gt_u64_e64 s[12:13], v[2:3]
	s_cbranch_execz .LBB447_9
; %bb.8:                                ;   in Loop: Header=BB447_6 Depth=1
	v_lshlrev_b64 v[18:19], 2, v[2:3]
	v_add_co_u32 v18, vcc_lo, v16, v18
	v_add_co_ci_u32_e64 v19, null, v17, v19, vcc_lo
	flat_load_dword v18, v[18:19]
.LBB447_9:                              ;   in Loop: Header=BB447_6 Depth=1
	s_or_b32 exec_lo, exec_lo, s14
.LBB447_10:                             ;   in Loop: Header=BB447_6 Depth=1
	s_or_b32 exec_lo, exec_lo, s9
	v_add_nc_u32_e32 v2, s4, v5
	v_mov_b32_e32 v19, 0
	s_waitcnt vmcnt(0) lgkmcnt(0)
	ds_write_b32 v12, v18
	v_cmp_gt_u64_e32 vcc_lo, s[12:13], v[2:3]
	s_and_b32 s14, vcc_lo, s1
	s_and_saveexec_b32 s9, s14
	s_cbranch_execz .LBB447_5
; %bb.11:                               ;   in Loop: Header=BB447_6 Depth=1
	v_lshlrev_b64 v[18:19], 2, v[2:3]
	v_add_co_u32 v18, vcc_lo, v14, v18
	v_add_co_ci_u32_e64 v19, null, v15, v19, vcc_lo
	flat_load_dword v19, v[18:19]
	s_branch .LBB447_5
.LBB447_12:
	v_add_nc_u32_e32 v10, s7, v1
	s_lshl_b64 s[0:1], s[42:43], 2
	v_add_nc_u32_e32 v0, s6, v0
	s_waitcnt lgkmcnt(0)
	s_add_u32 s4, s2, s0
	v_cmp_neq_f32_e64 s2, s10, 0
	v_ashrrev_i32_e32 v3, 31, v10
	v_mul_lo_u32 v5, s41, v10
	v_mad_u64_u32 v[1:2], null, s40, v10, 0
	s_addc_u32 s3, s3, s1
	v_mul_lo_u32 v3, s40, v3
	v_cmp_le_i32_e32 vcc_lo, v10, v0
	v_cmp_gt_i32_e64 s0, s8, v0
	v_cndmask_b32_e64 v9, 0, 1, s2
	s_and_b32 s5, vcc_lo, s0
	v_add3_u32 v2, v2, v3, v5
	v_lshlrev_b64 v[2:3], 2, v[1:2]
	v_ashrrev_i32_e32 v1, 31, v0
	v_add_co_u32 v5, s1, s4, v2
	v_add_co_ci_u32_e64 v11, null, s3, v3, s1
	s_and_saveexec_b32 s1, s5
	s_cbranch_execz .LBB447_16
; %bb.13:
	v_lshlrev_b64 v[2:3], 2, v[0:1]
	v_mul_f32_e32 v8, s11, v8
	v_add_co_u32 v2, vcc_lo, v5, v2
	v_add_co_ci_u32_e64 v3, null, v11, v3, vcc_lo
	s_andn2_b32 vcc_lo, exec_lo, s2
	s_cbranch_vccnz .LBB447_15
; %bb.14:
	flat_load_dword v12, v[2:3]
	s_waitcnt vmcnt(0) lgkmcnt(0)
	v_fmac_f32_e32 v8, s10, v12
.LBB447_15:
	flat_store_dword v[2:3], v8
.LBB447_16:
	s_or_b32 exec_lo, exec_lo, s1
	v_add_nc_u32_e32 v2, 16, v0
	v_cmp_le_i32_e32 vcc_lo, v10, v2
	v_cmp_gt_i32_e64 s1, s8, v2
	v_ashrrev_i32_e32 v3, 31, v2
	s_and_b32 s2, vcc_lo, s1
	s_and_saveexec_b32 s5, s2
	s_cbranch_execz .LBB447_20
; %bb.17:
	v_lshlrev_b64 v[12:13], 2, v[2:3]
	v_mul_f32_e32 v8, s11, v4
	v_cmp_ne_u32_e32 vcc_lo, 1, v9
	v_add_co_u32 v4, s2, v5, v12
	v_add_co_ci_u32_e64 v5, null, v11, v13, s2
	s_cbranch_vccnz .LBB447_19
; %bb.18:
	flat_load_dword v11, v[4:5]
	s_waitcnt vmcnt(0) lgkmcnt(0)
	v_fmac_f32_e32 v8, s10, v11
.LBB447_19:
	flat_store_dword v[4:5], v8
.LBB447_20:
	s_or_b32 exec_lo, exec_lo, s5
	v_add_nc_u32_e32 v8, 16, v10
	v_ashrrev_i32_e32 v10, 31, v8
	v_mul_lo_u32 v11, s41, v8
	v_mad_u64_u32 v[4:5], null, s40, v8, 0
	v_cmp_le_i32_e32 vcc_lo, v8, v0
	v_mul_lo_u32 v10, s40, v10
	s_and_b32 s0, vcc_lo, s0
	v_add3_u32 v5, v5, v10, v11
	v_lshlrev_b64 v[4:5], 2, v[4:5]
	v_add_co_u32 v4, s2, s4, v4
	v_add_co_ci_u32_e64 v5, null, s3, v5, s2
	s_and_saveexec_b32 s2, s0
	s_cbranch_execz .LBB447_24
; %bb.21:
	v_lshlrev_b64 v[0:1], 2, v[0:1]
	v_cmp_ne_u32_e32 vcc_lo, 1, v9
	v_mul_f32_e32 v7, s11, v7
	v_add_co_u32 v0, s0, v4, v0
	v_add_co_ci_u32_e64 v1, null, v5, v1, s0
	s_cbranch_vccnz .LBB447_23
; %bb.22:
	flat_load_dword v10, v[0:1]
	s_waitcnt vmcnt(0) lgkmcnt(0)
	v_fmac_f32_e32 v7, s10, v10
.LBB447_23:
	flat_store_dword v[0:1], v7
.LBB447_24:
	s_or_b32 exec_lo, exec_lo, s2
	v_cmp_le_i32_e32 vcc_lo, v8, v2
	s_and_b32 s0, vcc_lo, s1
	s_and_saveexec_b32 s1, s0
	s_cbranch_execz .LBB447_28
; %bb.25:
	v_lshlrev_b64 v[0:1], 2, v[2:3]
	v_cmp_ne_u32_e32 vcc_lo, 1, v9
	v_mul_f32_e32 v2, s11, v6
	v_add_co_u32 v0, s0, v4, v0
	v_add_co_ci_u32_e64 v1, null, v5, v1, s0
	s_cbranch_vccnz .LBB447_27
; %bb.26:
	flat_load_dword v3, v[0:1]
	s_waitcnt vmcnt(0) lgkmcnt(0)
	v_fmac_f32_e32 v2, s10, v3
.LBB447_27:
	flat_store_dword v[0:1], v2
.LBB447_28:
	s_endpgm
	.section	.rodata,"a",@progbits
	.p2align	6, 0x0
	.amdhsa_kernel _ZL29rocblas_internal_gemmt_kernelIlLi16ELi32ELi8ELc67ELc78ELc76ELb0ELb0EfPKfPKS1_PKPfEviT_T9_T10_S7_lS9_S7_lS8_T11_S7_li
		.amdhsa_group_segment_fixed_size 2048
		.amdhsa_private_segment_fixed_size 0
		.amdhsa_kernarg_size 108
		.amdhsa_user_sgpr_count 6
		.amdhsa_user_sgpr_private_segment_buffer 1
		.amdhsa_user_sgpr_dispatch_ptr 0
		.amdhsa_user_sgpr_queue_ptr 0
		.amdhsa_user_sgpr_kernarg_segment_ptr 1
		.amdhsa_user_sgpr_dispatch_id 0
		.amdhsa_user_sgpr_flat_scratch_init 0
		.amdhsa_user_sgpr_private_segment_size 0
		.amdhsa_wavefront_size32 1
		.amdhsa_uses_dynamic_stack 0
		.amdhsa_system_sgpr_private_segment_wavefront_offset 0
		.amdhsa_system_sgpr_workgroup_id_x 1
		.amdhsa_system_sgpr_workgroup_id_y 1
		.amdhsa_system_sgpr_workgroup_id_z 1
		.amdhsa_system_sgpr_workgroup_info 0
		.amdhsa_system_vgpr_workitem_id 1
		.amdhsa_next_free_vgpr 46
		.amdhsa_next_free_sgpr 44
		.amdhsa_reserve_vcc 1
		.amdhsa_reserve_flat_scratch 0
		.amdhsa_float_round_mode_32 0
		.amdhsa_float_round_mode_16_64 0
		.amdhsa_float_denorm_mode_32 3
		.amdhsa_float_denorm_mode_16_64 3
		.amdhsa_dx10_clamp 1
		.amdhsa_ieee_mode 1
		.amdhsa_fp16_overflow 0
		.amdhsa_workgroup_processor_mode 1
		.amdhsa_memory_ordered 1
		.amdhsa_forward_progress 1
		.amdhsa_shared_vgpr_count 0
		.amdhsa_exception_fp_ieee_invalid_op 0
		.amdhsa_exception_fp_denorm_src 0
		.amdhsa_exception_fp_ieee_div_zero 0
		.amdhsa_exception_fp_ieee_overflow 0
		.amdhsa_exception_fp_ieee_underflow 0
		.amdhsa_exception_fp_ieee_inexact 0
		.amdhsa_exception_int_div_zero 0
	.end_amdhsa_kernel
	.section	.text._ZL29rocblas_internal_gemmt_kernelIlLi16ELi32ELi8ELc67ELc78ELc76ELb0ELb0EfPKfPKS1_PKPfEviT_T9_T10_S7_lS9_S7_lS8_T11_S7_li,"axG",@progbits,_ZL29rocblas_internal_gemmt_kernelIlLi16ELi32ELi8ELc67ELc78ELc76ELb0ELb0EfPKfPKS1_PKPfEviT_T9_T10_S7_lS9_S7_lS8_T11_S7_li,comdat
.Lfunc_end447:
	.size	_ZL29rocblas_internal_gemmt_kernelIlLi16ELi32ELi8ELc67ELc78ELc76ELb0ELb0EfPKfPKS1_PKPfEviT_T9_T10_S7_lS9_S7_lS8_T11_S7_li, .Lfunc_end447-_ZL29rocblas_internal_gemmt_kernelIlLi16ELi32ELi8ELc67ELc78ELc76ELb0ELb0EfPKfPKS1_PKPfEviT_T9_T10_S7_lS9_S7_lS8_T11_S7_li
                                        ; -- End function
	.set _ZL29rocblas_internal_gemmt_kernelIlLi16ELi32ELi8ELc67ELc78ELc76ELb0ELb0EfPKfPKS1_PKPfEviT_T9_T10_S7_lS9_S7_lS8_T11_S7_li.num_vgpr, 46
	.set _ZL29rocblas_internal_gemmt_kernelIlLi16ELi32ELi8ELc67ELc78ELc76ELb0ELb0EfPKfPKS1_PKPfEviT_T9_T10_S7_lS9_S7_lS8_T11_S7_li.num_agpr, 0
	.set _ZL29rocblas_internal_gemmt_kernelIlLi16ELi32ELi8ELc67ELc78ELc76ELb0ELb0EfPKfPKS1_PKPfEviT_T9_T10_S7_lS9_S7_lS8_T11_S7_li.numbered_sgpr, 44
	.set _ZL29rocblas_internal_gemmt_kernelIlLi16ELi32ELi8ELc67ELc78ELc76ELb0ELb0EfPKfPKS1_PKPfEviT_T9_T10_S7_lS9_S7_lS8_T11_S7_li.num_named_barrier, 0
	.set _ZL29rocblas_internal_gemmt_kernelIlLi16ELi32ELi8ELc67ELc78ELc76ELb0ELb0EfPKfPKS1_PKPfEviT_T9_T10_S7_lS9_S7_lS8_T11_S7_li.private_seg_size, 0
	.set _ZL29rocblas_internal_gemmt_kernelIlLi16ELi32ELi8ELc67ELc78ELc76ELb0ELb0EfPKfPKS1_PKPfEviT_T9_T10_S7_lS9_S7_lS8_T11_S7_li.uses_vcc, 1
	.set _ZL29rocblas_internal_gemmt_kernelIlLi16ELi32ELi8ELc67ELc78ELc76ELb0ELb0EfPKfPKS1_PKPfEviT_T9_T10_S7_lS9_S7_lS8_T11_S7_li.uses_flat_scratch, 0
	.set _ZL29rocblas_internal_gemmt_kernelIlLi16ELi32ELi8ELc67ELc78ELc76ELb0ELb0EfPKfPKS1_PKPfEviT_T9_T10_S7_lS9_S7_lS8_T11_S7_li.has_dyn_sized_stack, 0
	.set _ZL29rocblas_internal_gemmt_kernelIlLi16ELi32ELi8ELc67ELc78ELc76ELb0ELb0EfPKfPKS1_PKPfEviT_T9_T10_S7_lS9_S7_lS8_T11_S7_li.has_recursion, 0
	.set _ZL29rocblas_internal_gemmt_kernelIlLi16ELi32ELi8ELc67ELc78ELc76ELb0ELb0EfPKfPKS1_PKPfEviT_T9_T10_S7_lS9_S7_lS8_T11_S7_li.has_indirect_call, 0
	.section	.AMDGPU.csdata,"",@progbits
; Kernel info:
; codeLenInByte = 1448
; TotalNumSgprs: 46
; NumVgprs: 46
; ScratchSize: 0
; MemoryBound: 0
; FloatMode: 240
; IeeeMode: 1
; LDSByteSize: 2048 bytes/workgroup (compile time only)
; SGPRBlocks: 0
; VGPRBlocks: 5
; NumSGPRsForWavesPerEU: 46
; NumVGPRsForWavesPerEU: 46
; Occupancy: 16
; WaveLimiterHint : 1
; COMPUTE_PGM_RSRC2:SCRATCH_EN: 0
; COMPUTE_PGM_RSRC2:USER_SGPR: 6
; COMPUTE_PGM_RSRC2:TRAP_HANDLER: 0
; COMPUTE_PGM_RSRC2:TGID_X_EN: 1
; COMPUTE_PGM_RSRC2:TGID_Y_EN: 1
; COMPUTE_PGM_RSRC2:TGID_Z_EN: 1
; COMPUTE_PGM_RSRC2:TIDIG_COMP_CNT: 1
	.section	.text._ZL29rocblas_internal_gemmt_kernelIlLi16ELi32ELi8ELc67ELc84ELc76ELb0ELb0EfPKfPKS1_PKPfEviT_T9_T10_S7_lS9_S7_lS8_T11_S7_li,"axG",@progbits,_ZL29rocblas_internal_gemmt_kernelIlLi16ELi32ELi8ELc67ELc84ELc76ELb0ELb0EfPKfPKS1_PKPfEviT_T9_T10_S7_lS9_S7_lS8_T11_S7_li,comdat
	.globl	_ZL29rocblas_internal_gemmt_kernelIlLi16ELi32ELi8ELc67ELc84ELc76ELb0ELb0EfPKfPKS1_PKPfEviT_T9_T10_S7_lS9_S7_lS8_T11_S7_li ; -- Begin function _ZL29rocblas_internal_gemmt_kernelIlLi16ELi32ELi8ELc67ELc84ELc76ELb0ELb0EfPKfPKS1_PKPfEviT_T9_T10_S7_lS9_S7_lS8_T11_S7_li
	.p2align	8
	.type	_ZL29rocblas_internal_gemmt_kernelIlLi16ELi32ELi8ELc67ELc84ELc76ELb0ELb0EfPKfPKS1_PKPfEviT_T9_T10_S7_lS9_S7_lS8_T11_S7_li,@function
_ZL29rocblas_internal_gemmt_kernelIlLi16ELi32ELi8ELc67ELc84ELc76ELb0ELb0EfPKfPKS1_PKPfEviT_T9_T10_S7_lS9_S7_lS8_T11_S7_li: ; @_ZL29rocblas_internal_gemmt_kernelIlLi16ELi32ELi8ELc67ELc84ELc76ELb0ELb0EfPKfPKS1_PKPfEviT_T9_T10_S7_lS9_S7_lS8_T11_S7_li
; %bb.0:
	s_clause 0x1
	s_load_dwordx8 s[36:43], s[4:5], 0x48
	s_load_dwordx16 s[12:27], s[4:5], 0x8
	s_waitcnt lgkmcnt(0)
	s_load_dword s10, s[36:37], 0x0
	s_load_dword s11, s[14:15], 0x0
	s_waitcnt lgkmcnt(0)
	v_cmp_neq_f32_e64 s0, s10, 1.0
	s_and_b32 vcc_lo, exec_lo, s0
	s_cbranch_vccnz .LBB448_2
; %bb.1:
	v_cmp_neq_f32_e64 s0, s11, 0
	s_cmp_lg_u64 s[12:13], 0
	s_cselect_b32 s1, -1, 0
	s_and_b32 s0, s1, s0
.LBB448_2:
	s_andn2_b32 vcc_lo, exec_lo, s0
	s_cbranch_vccnz .LBB448_28
; %bb.3:
	s_mov_b32 s9, 0
	v_mov_b32_e32 v5, 0
	s_lshl_b64 s[0:1], s[8:9], 3
	v_mov_b32_e32 v4, 0
	s_add_u32 s2, s38, s0
	s_addc_u32 s3, s39, s1
	s_load_dword s8, s[4:5], 0x0
	s_load_dwordx2 s[2:3], s[2:3], 0x0
	v_cmp_lt_i64_e64 s4, s[12:13], 1
	v_cmp_eq_f32_e64 s5, s11, 0
	v_mov_b32_e32 v7, 0
	v_mov_b32_e32 v6, 0
	s_lshl_b32 s6, s6, 5
	s_lshl_b32 s7, s7, 5
	s_or_b32 s4, s5, s4
	s_and_b32 vcc_lo, exec_lo, s4
	s_cbranch_vccnz .LBB448_12
; %bb.4:
	s_add_u32 s4, s22, s0
	s_addc_u32 s5, s23, s1
	s_lshl_b64 s[14:15], s[26:27], 2
	s_load_dwordx2 s[4:5], s[4:5], 0x0
	v_lshl_add_u32 v2, v1, 4, v0
	v_and_b32_e32 v8, 7, v0
	v_lshlrev_b32_e32 v9, 2, v0
	v_lshl_add_u32 v10, v1, 5, 0x400
	v_mov_b32_e32 v3, 0
	v_and_b32_e32 v5, 31, v2
	v_lshrrev_b32_e32 v12, 3, v2
	v_lshrrev_b32_e32 v11, 5, v2
	v_lshlrev_b32_e32 v2, 2, v8
	v_mov_b32_e32 v6, 0
	v_or_b32_e32 v17, s6, v5
	v_add_nc_u32_e32 v13, s7, v12
	v_lshlrev_b32_e32 v5, 2, v5
	v_lshl_or_b32 v2, v12, 5, v2
	v_mov_b32_e32 v7, 0
	v_mul_lo_u32 v18, s19, v17
	v_mad_u64_u32 v[15:16], null, s18, v17, 0
	v_ashrrev_i32_e32 v14, 31, v13
	s_waitcnt lgkmcnt(0)
	s_add_u32 s9, s4, s14
	s_addc_u32 s14, s5, s15
	s_add_u32 s0, s16, s0
	s_addc_u32 s1, s17, s1
	s_lshl_b64 s[4:5], s[20:21], 2
	s_load_dwordx2 s[0:1], s[0:1], 0x0
	v_mov_b32_e32 v4, 0
	v_lshl_or_b32 v12, v11, 7, v5
	v_mov_b32_e32 v5, 0
	s_waitcnt lgkmcnt(0)
	s_add_u32 s4, s0, s4
	s_addc_u32 s5, s1, s5
	s_ashr_i32 s0, s6, 31
	s_mul_i32 s1, s18, s0
	v_cmp_gt_i32_e64 s0, s8, v17
	v_add3_u32 v16, v16, s1, v18
	v_lshlrev_b64 v[17:18], 2, v[13:14]
	v_cmp_gt_i32_e64 s1, s8, v13
	v_add_nc_u32_e32 v13, 0x400, v2
	v_lshlrev_b64 v[19:20], 2, v[15:16]
	v_add_co_u32 v14, vcc_lo, s9, v17
	v_add_co_ci_u32_e64 v15, null, s14, v18, vcc_lo
	v_add_co_u32 v16, vcc_lo, s4, v19
	v_add_co_ci_u32_e64 v17, null, s5, v20, vcc_lo
	s_mov_b64 s[4:5], 0
	s_branch .LBB448_6
.LBB448_5:                              ;   in Loop: Header=BB448_6 Depth=1
	s_or_b32 exec_lo, exec_lo, s9
	s_waitcnt vmcnt(0) lgkmcnt(0)
	ds_write_b32 v13, v19
	s_waitcnt lgkmcnt(0)
	s_barrier
	buffer_gl0_inv
	ds_read_b128 v[18:21], v10
	ds_read2_b32 v[34:35], v9 offset1:16
	ds_read_b128 v[22:25], v10 offset:512
	ds_read2_b32 v[36:37], v9 offset0:32 offset1:48
	ds_read2_b32 v[38:39], v9 offset0:64 offset1:80
	;; [unrolled: 1-line block ×3, first 2 shown]
	ds_read_b128 v[26:29], v10 offset:16
	ds_read2_b32 v[42:43], v9 offset0:128 offset1:144
	ds_read_b128 v[30:33], v10 offset:528
	ds_read2_b32 v[44:45], v9 offset0:160 offset1:176
	s_add_u32 s4, s4, 8
	s_addc_u32 s5, s5, 0
	v_cmp_gt_i64_e64 s9, s[12:13], s[4:5]
	s_and_b32 vcc_lo, exec_lo, s9
	s_waitcnt lgkmcnt(8)
	v_fmac_f32_e32 v5, v34, v18
	v_fmac_f32_e32 v4, v35, v18
	s_waitcnt lgkmcnt(7)
	v_fmac_f32_e32 v7, v34, v22
	v_fmac_f32_e32 v6, v35, v22
	ds_read2_b32 v[34:35], v9 offset0:192 offset1:208
	s_waitcnt lgkmcnt(7)
	v_fmac_f32_e32 v5, v36, v19
	v_fmac_f32_e32 v4, v37, v19
	;; [unrolled: 1-line block ×4, first 2 shown]
	ds_read2_b32 v[18:19], v9 offset0:224 offset1:240
	s_waitcnt lgkmcnt(7)
	v_fmac_f32_e32 v5, v38, v20
	v_fmac_f32_e32 v4, v39, v20
	;; [unrolled: 1-line block ×4, first 2 shown]
	s_waitcnt lgkmcnt(0)
	v_fmac_f32_e32 v5, v40, v21
	v_fmac_f32_e32 v4, v41, v21
	;; [unrolled: 1-line block ×4, first 2 shown]
	s_barrier
	v_fmac_f32_e32 v5, v42, v26
	v_fmac_f32_e32 v4, v43, v26
	;; [unrolled: 1-line block ×4, first 2 shown]
	buffer_gl0_inv
	v_fmac_f32_e32 v5, v44, v27
	v_fmac_f32_e32 v4, v45, v27
	;; [unrolled: 1-line block ×12, first 2 shown]
	s_cbranch_vccz .LBB448_12
.LBB448_6:                              ; =>This Inner Loop Header: Depth=1
	v_mov_b32_e32 v18, 0
	s_and_saveexec_b32 s9, s0
	s_cbranch_execz .LBB448_10
; %bb.7:                                ;   in Loop: Header=BB448_6 Depth=1
	v_add_nc_u32_e32 v2, s4, v11
	v_mov_b32_e32 v18, 0
	s_mov_b32 s14, exec_lo
	v_cmpx_gt_u64_e64 s[12:13], v[2:3]
	s_cbranch_execz .LBB448_9
; %bb.8:                                ;   in Loop: Header=BB448_6 Depth=1
	v_lshlrev_b64 v[18:19], 2, v[2:3]
	v_add_co_u32 v18, vcc_lo, v16, v18
	v_add_co_ci_u32_e64 v19, null, v17, v19, vcc_lo
	flat_load_dword v18, v[18:19]
.LBB448_9:                              ;   in Loop: Header=BB448_6 Depth=1
	s_or_b32 exec_lo, exec_lo, s14
.LBB448_10:                             ;   in Loop: Header=BB448_6 Depth=1
	s_or_b32 exec_lo, exec_lo, s9
	v_add_nc_u32_e32 v2, s4, v8
	v_mov_b32_e32 v19, 0
	s_waitcnt vmcnt(0) lgkmcnt(0)
	ds_write_b32 v12, v18
	v_cmp_gt_u64_e32 vcc_lo, s[12:13], v[2:3]
	s_and_b32 s14, vcc_lo, s1
	s_and_saveexec_b32 s9, s14
	s_cbranch_execz .LBB448_5
; %bb.11:                               ;   in Loop: Header=BB448_6 Depth=1
	v_mad_u64_u32 v[18:19], null, s24, v2, 0
	v_mad_u64_u32 v[19:20], null, s25, v2, v[19:20]
	v_lshlrev_b64 v[18:19], 2, v[18:19]
	v_add_co_u32 v18, vcc_lo, v14, v18
	v_add_co_ci_u32_e64 v19, null, v15, v19, vcc_lo
	flat_load_dword v19, v[18:19]
	s_branch .LBB448_5
.LBB448_12:
	v_add_nc_u32_e32 v9, s7, v1
	s_lshl_b64 s[0:1], s[42:43], 2
	v_add_nc_u32_e32 v0, s6, v0
	s_waitcnt lgkmcnt(0)
	s_add_u32 s4, s2, s0
	v_cmp_neq_f32_e64 s2, s10, 0
	v_ashrrev_i32_e32 v3, 31, v9
	v_mul_lo_u32 v8, s41, v9
	v_mad_u64_u32 v[1:2], null, s40, v9, 0
	s_addc_u32 s3, s3, s1
	v_mul_lo_u32 v3, s40, v3
	v_cmp_le_i32_e32 vcc_lo, v9, v0
	v_cmp_gt_i32_e64 s0, s8, v0
	s_and_b32 s5, vcc_lo, s0
	v_add3_u32 v2, v2, v3, v8
	v_cndmask_b32_e64 v8, 0, 1, s2
	v_lshlrev_b64 v[2:3], 2, v[1:2]
	v_ashrrev_i32_e32 v1, 31, v0
	v_add_co_u32 v10, s1, s4, v2
	v_add_co_ci_u32_e64 v11, null, s3, v3, s1
	s_and_saveexec_b32 s1, s5
	s_cbranch_execz .LBB448_16
; %bb.13:
	v_lshlrev_b64 v[2:3], 2, v[0:1]
	v_mul_f32_e32 v5, s11, v5
	v_add_co_u32 v2, vcc_lo, v10, v2
	v_add_co_ci_u32_e64 v3, null, v11, v3, vcc_lo
	s_andn2_b32 vcc_lo, exec_lo, s2
	s_cbranch_vccnz .LBB448_15
; %bb.14:
	flat_load_dword v12, v[2:3]
	s_waitcnt vmcnt(0) lgkmcnt(0)
	v_fmac_f32_e32 v5, s10, v12
.LBB448_15:
	flat_store_dword v[2:3], v5
.LBB448_16:
	s_or_b32 exec_lo, exec_lo, s1
	v_add_nc_u32_e32 v2, 16, v0
	v_cmp_le_i32_e32 vcc_lo, v9, v2
	v_cmp_gt_i32_e64 s1, s8, v2
	v_ashrrev_i32_e32 v3, 31, v2
	s_and_b32 s2, vcc_lo, s1
	s_and_saveexec_b32 s5, s2
	s_cbranch_execz .LBB448_20
; %bb.17:
	v_lshlrev_b64 v[13:14], 2, v[2:3]
	v_mul_f32_e32 v12, s11, v4
	v_cmp_ne_u32_e32 vcc_lo, 1, v8
	v_add_co_u32 v4, s2, v10, v13
	v_add_co_ci_u32_e64 v5, null, v11, v14, s2
	s_cbranch_vccnz .LBB448_19
; %bb.18:
	flat_load_dword v10, v[4:5]
	s_waitcnt vmcnt(0) lgkmcnt(0)
	v_fmac_f32_e32 v12, s10, v10
.LBB448_19:
	flat_store_dword v[4:5], v12
.LBB448_20:
	s_or_b32 exec_lo, exec_lo, s5
	v_add_nc_u32_e32 v9, 16, v9
	v_ashrrev_i32_e32 v10, 31, v9
	v_mul_lo_u32 v11, s41, v9
	v_mad_u64_u32 v[4:5], null, s40, v9, 0
	v_cmp_le_i32_e32 vcc_lo, v9, v0
	v_mul_lo_u32 v10, s40, v10
	s_and_b32 s0, vcc_lo, s0
	v_add3_u32 v5, v5, v10, v11
	v_lshlrev_b64 v[4:5], 2, v[4:5]
	v_add_co_u32 v4, s2, s4, v4
	v_add_co_ci_u32_e64 v5, null, s3, v5, s2
	s_and_saveexec_b32 s2, s0
	s_cbranch_execz .LBB448_24
; %bb.21:
	v_lshlrev_b64 v[0:1], 2, v[0:1]
	v_cmp_ne_u32_e32 vcc_lo, 1, v8
	v_mul_f32_e32 v7, s11, v7
	v_add_co_u32 v0, s0, v4, v0
	v_add_co_ci_u32_e64 v1, null, v5, v1, s0
	s_cbranch_vccnz .LBB448_23
; %bb.22:
	flat_load_dword v10, v[0:1]
	s_waitcnt vmcnt(0) lgkmcnt(0)
	v_fmac_f32_e32 v7, s10, v10
.LBB448_23:
	flat_store_dword v[0:1], v7
.LBB448_24:
	s_or_b32 exec_lo, exec_lo, s2
	v_cmp_le_i32_e32 vcc_lo, v9, v2
	s_and_b32 s0, vcc_lo, s1
	s_and_saveexec_b32 s1, s0
	s_cbranch_execz .LBB448_28
; %bb.25:
	v_lshlrev_b64 v[0:1], 2, v[2:3]
	v_cmp_ne_u32_e32 vcc_lo, 1, v8
	v_mul_f32_e32 v2, s11, v6
	v_add_co_u32 v0, s0, v4, v0
	v_add_co_ci_u32_e64 v1, null, v5, v1, s0
	s_cbranch_vccnz .LBB448_27
; %bb.26:
	flat_load_dword v3, v[0:1]
	s_waitcnt vmcnt(0) lgkmcnt(0)
	v_fmac_f32_e32 v2, s10, v3
.LBB448_27:
	flat_store_dword v[0:1], v2
.LBB448_28:
	s_endpgm
	.section	.rodata,"a",@progbits
	.p2align	6, 0x0
	.amdhsa_kernel _ZL29rocblas_internal_gemmt_kernelIlLi16ELi32ELi8ELc67ELc84ELc76ELb0ELb0EfPKfPKS1_PKPfEviT_T9_T10_S7_lS9_S7_lS8_T11_S7_li
		.amdhsa_group_segment_fixed_size 2048
		.amdhsa_private_segment_fixed_size 0
		.amdhsa_kernarg_size 108
		.amdhsa_user_sgpr_count 6
		.amdhsa_user_sgpr_private_segment_buffer 1
		.amdhsa_user_sgpr_dispatch_ptr 0
		.amdhsa_user_sgpr_queue_ptr 0
		.amdhsa_user_sgpr_kernarg_segment_ptr 1
		.amdhsa_user_sgpr_dispatch_id 0
		.amdhsa_user_sgpr_flat_scratch_init 0
		.amdhsa_user_sgpr_private_segment_size 0
		.amdhsa_wavefront_size32 1
		.amdhsa_uses_dynamic_stack 0
		.amdhsa_system_sgpr_private_segment_wavefront_offset 0
		.amdhsa_system_sgpr_workgroup_id_x 1
		.amdhsa_system_sgpr_workgroup_id_y 1
		.amdhsa_system_sgpr_workgroup_id_z 1
		.amdhsa_system_sgpr_workgroup_info 0
		.amdhsa_system_vgpr_workitem_id 1
		.amdhsa_next_free_vgpr 46
		.amdhsa_next_free_sgpr 44
		.amdhsa_reserve_vcc 1
		.amdhsa_reserve_flat_scratch 0
		.amdhsa_float_round_mode_32 0
		.amdhsa_float_round_mode_16_64 0
		.amdhsa_float_denorm_mode_32 3
		.amdhsa_float_denorm_mode_16_64 3
		.amdhsa_dx10_clamp 1
		.amdhsa_ieee_mode 1
		.amdhsa_fp16_overflow 0
		.amdhsa_workgroup_processor_mode 1
		.amdhsa_memory_ordered 1
		.amdhsa_forward_progress 1
		.amdhsa_shared_vgpr_count 0
		.amdhsa_exception_fp_ieee_invalid_op 0
		.amdhsa_exception_fp_denorm_src 0
		.amdhsa_exception_fp_ieee_div_zero 0
		.amdhsa_exception_fp_ieee_overflow 0
		.amdhsa_exception_fp_ieee_underflow 0
		.amdhsa_exception_fp_ieee_inexact 0
		.amdhsa_exception_int_div_zero 0
	.end_amdhsa_kernel
	.section	.text._ZL29rocblas_internal_gemmt_kernelIlLi16ELi32ELi8ELc67ELc84ELc76ELb0ELb0EfPKfPKS1_PKPfEviT_T9_T10_S7_lS9_S7_lS8_T11_S7_li,"axG",@progbits,_ZL29rocblas_internal_gemmt_kernelIlLi16ELi32ELi8ELc67ELc84ELc76ELb0ELb0EfPKfPKS1_PKPfEviT_T9_T10_S7_lS9_S7_lS8_T11_S7_li,comdat
.Lfunc_end448:
	.size	_ZL29rocblas_internal_gemmt_kernelIlLi16ELi32ELi8ELc67ELc84ELc76ELb0ELb0EfPKfPKS1_PKPfEviT_T9_T10_S7_lS9_S7_lS8_T11_S7_li, .Lfunc_end448-_ZL29rocblas_internal_gemmt_kernelIlLi16ELi32ELi8ELc67ELc84ELc76ELb0ELb0EfPKfPKS1_PKPfEviT_T9_T10_S7_lS9_S7_lS8_T11_S7_li
                                        ; -- End function
	.set _ZL29rocblas_internal_gemmt_kernelIlLi16ELi32ELi8ELc67ELc84ELc76ELb0ELb0EfPKfPKS1_PKPfEviT_T9_T10_S7_lS9_S7_lS8_T11_S7_li.num_vgpr, 46
	.set _ZL29rocblas_internal_gemmt_kernelIlLi16ELi32ELi8ELc67ELc84ELc76ELb0ELb0EfPKfPKS1_PKPfEviT_T9_T10_S7_lS9_S7_lS8_T11_S7_li.num_agpr, 0
	.set _ZL29rocblas_internal_gemmt_kernelIlLi16ELi32ELi8ELc67ELc84ELc76ELb0ELb0EfPKfPKS1_PKPfEviT_T9_T10_S7_lS9_S7_lS8_T11_S7_li.numbered_sgpr, 44
	.set _ZL29rocblas_internal_gemmt_kernelIlLi16ELi32ELi8ELc67ELc84ELc76ELb0ELb0EfPKfPKS1_PKPfEviT_T9_T10_S7_lS9_S7_lS8_T11_S7_li.num_named_barrier, 0
	.set _ZL29rocblas_internal_gemmt_kernelIlLi16ELi32ELi8ELc67ELc84ELc76ELb0ELb0EfPKfPKS1_PKPfEviT_T9_T10_S7_lS9_S7_lS8_T11_S7_li.private_seg_size, 0
	.set _ZL29rocblas_internal_gemmt_kernelIlLi16ELi32ELi8ELc67ELc84ELc76ELb0ELb0EfPKfPKS1_PKPfEviT_T9_T10_S7_lS9_S7_lS8_T11_S7_li.uses_vcc, 1
	.set _ZL29rocblas_internal_gemmt_kernelIlLi16ELi32ELi8ELc67ELc84ELc76ELb0ELb0EfPKfPKS1_PKPfEviT_T9_T10_S7_lS9_S7_lS8_T11_S7_li.uses_flat_scratch, 0
	.set _ZL29rocblas_internal_gemmt_kernelIlLi16ELi32ELi8ELc67ELc84ELc76ELb0ELb0EfPKfPKS1_PKPfEviT_T9_T10_S7_lS9_S7_lS8_T11_S7_li.has_dyn_sized_stack, 0
	.set _ZL29rocblas_internal_gemmt_kernelIlLi16ELi32ELi8ELc67ELc84ELc76ELb0ELb0EfPKfPKS1_PKPfEviT_T9_T10_S7_lS9_S7_lS8_T11_S7_li.has_recursion, 0
	.set _ZL29rocblas_internal_gemmt_kernelIlLi16ELi32ELi8ELc67ELc84ELc76ELb0ELb0EfPKfPKS1_PKPfEviT_T9_T10_S7_lS9_S7_lS8_T11_S7_li.has_indirect_call, 0
	.section	.AMDGPU.csdata,"",@progbits
; Kernel info:
; codeLenInByte = 1432
; TotalNumSgprs: 46
; NumVgprs: 46
; ScratchSize: 0
; MemoryBound: 0
; FloatMode: 240
; IeeeMode: 1
; LDSByteSize: 2048 bytes/workgroup (compile time only)
; SGPRBlocks: 0
; VGPRBlocks: 5
; NumSGPRsForWavesPerEU: 46
; NumVGPRsForWavesPerEU: 46
; Occupancy: 16
; WaveLimiterHint : 1
; COMPUTE_PGM_RSRC2:SCRATCH_EN: 0
; COMPUTE_PGM_RSRC2:USER_SGPR: 6
; COMPUTE_PGM_RSRC2:TRAP_HANDLER: 0
; COMPUTE_PGM_RSRC2:TGID_X_EN: 1
; COMPUTE_PGM_RSRC2:TGID_Y_EN: 1
; COMPUTE_PGM_RSRC2:TGID_Z_EN: 1
; COMPUTE_PGM_RSRC2:TIDIG_COMP_CNT: 1
	.section	.text._ZL29rocblas_internal_gemmt_kernelIlLi16ELi32ELi8ELc67ELc67ELc76ELb0ELb0EfPKfPKS1_PKPfEviT_T9_T10_S7_lS9_S7_lS8_T11_S7_li,"axG",@progbits,_ZL29rocblas_internal_gemmt_kernelIlLi16ELi32ELi8ELc67ELc67ELc76ELb0ELb0EfPKfPKS1_PKPfEviT_T9_T10_S7_lS9_S7_lS8_T11_S7_li,comdat
	.globl	_ZL29rocblas_internal_gemmt_kernelIlLi16ELi32ELi8ELc67ELc67ELc76ELb0ELb0EfPKfPKS1_PKPfEviT_T9_T10_S7_lS9_S7_lS8_T11_S7_li ; -- Begin function _ZL29rocblas_internal_gemmt_kernelIlLi16ELi32ELi8ELc67ELc67ELc76ELb0ELb0EfPKfPKS1_PKPfEviT_T9_T10_S7_lS9_S7_lS8_T11_S7_li
	.p2align	8
	.type	_ZL29rocblas_internal_gemmt_kernelIlLi16ELi32ELi8ELc67ELc67ELc76ELb0ELb0EfPKfPKS1_PKPfEviT_T9_T10_S7_lS9_S7_lS8_T11_S7_li,@function
_ZL29rocblas_internal_gemmt_kernelIlLi16ELi32ELi8ELc67ELc67ELc76ELb0ELb0EfPKfPKS1_PKPfEviT_T9_T10_S7_lS9_S7_lS8_T11_S7_li: ; @_ZL29rocblas_internal_gemmt_kernelIlLi16ELi32ELi8ELc67ELc67ELc76ELb0ELb0EfPKfPKS1_PKPfEviT_T9_T10_S7_lS9_S7_lS8_T11_S7_li
; %bb.0:
	s_clause 0x1
	s_load_dwordx8 s[36:43], s[4:5], 0x48
	s_load_dwordx16 s[12:27], s[4:5], 0x8
	s_waitcnt lgkmcnt(0)
	s_load_dword s10, s[36:37], 0x0
	s_load_dword s11, s[14:15], 0x0
	s_waitcnt lgkmcnt(0)
	v_cmp_neq_f32_e64 s0, s10, 1.0
	s_and_b32 vcc_lo, exec_lo, s0
	s_cbranch_vccnz .LBB449_2
; %bb.1:
	v_cmp_neq_f32_e64 s0, s11, 0
	s_cmp_lg_u64 s[12:13], 0
	s_cselect_b32 s1, -1, 0
	s_and_b32 s0, s1, s0
.LBB449_2:
	s_andn2_b32 vcc_lo, exec_lo, s0
	s_cbranch_vccnz .LBB449_28
; %bb.3:
	s_mov_b32 s9, 0
	v_mov_b32_e32 v5, 0
	s_lshl_b64 s[0:1], s[8:9], 3
	v_mov_b32_e32 v4, 0
	s_add_u32 s2, s38, s0
	s_addc_u32 s3, s39, s1
	s_load_dword s8, s[4:5], 0x0
	s_load_dwordx2 s[2:3], s[2:3], 0x0
	v_cmp_lt_i64_e64 s4, s[12:13], 1
	v_cmp_eq_f32_e64 s5, s11, 0
	v_mov_b32_e32 v7, 0
	v_mov_b32_e32 v6, 0
	s_lshl_b32 s6, s6, 5
	s_lshl_b32 s7, s7, 5
	s_or_b32 s4, s5, s4
	s_and_b32 vcc_lo, exec_lo, s4
	s_cbranch_vccnz .LBB449_12
; %bb.4:
	s_add_u32 s4, s22, s0
	s_addc_u32 s5, s23, s1
	s_lshl_b64 s[14:15], s[26:27], 2
	s_load_dwordx2 s[4:5], s[4:5], 0x0
	v_lshl_add_u32 v2, v1, 4, v0
	v_and_b32_e32 v8, 7, v0
	v_lshlrev_b32_e32 v9, 2, v0
	v_lshl_add_u32 v10, v1, 5, 0x400
	v_mov_b32_e32 v3, 0
	v_and_b32_e32 v5, 31, v2
	v_lshrrev_b32_e32 v12, 3, v2
	v_lshrrev_b32_e32 v11, 5, v2
	v_lshlrev_b32_e32 v2, 2, v8
	v_mov_b32_e32 v6, 0
	v_or_b32_e32 v17, s6, v5
	v_add_nc_u32_e32 v13, s7, v12
	v_lshlrev_b32_e32 v5, 2, v5
	v_lshl_or_b32 v2, v12, 5, v2
	v_mov_b32_e32 v7, 0
	v_mul_lo_u32 v18, s19, v17
	v_mad_u64_u32 v[15:16], null, s18, v17, 0
	v_ashrrev_i32_e32 v14, 31, v13
	s_waitcnt lgkmcnt(0)
	s_add_u32 s9, s4, s14
	s_addc_u32 s14, s5, s15
	s_add_u32 s0, s16, s0
	s_addc_u32 s1, s17, s1
	s_lshl_b64 s[4:5], s[20:21], 2
	s_load_dwordx2 s[0:1], s[0:1], 0x0
	v_mov_b32_e32 v4, 0
	v_lshl_or_b32 v12, v11, 7, v5
	v_mov_b32_e32 v5, 0
	s_waitcnt lgkmcnt(0)
	s_add_u32 s4, s0, s4
	s_addc_u32 s5, s1, s5
	s_ashr_i32 s0, s6, 31
	s_mul_i32 s1, s18, s0
	v_cmp_gt_i32_e64 s0, s8, v17
	v_add3_u32 v16, v16, s1, v18
	v_lshlrev_b64 v[17:18], 2, v[13:14]
	v_cmp_gt_i32_e64 s1, s8, v13
	v_add_nc_u32_e32 v13, 0x400, v2
	v_lshlrev_b64 v[19:20], 2, v[15:16]
	v_add_co_u32 v14, vcc_lo, s9, v17
	v_add_co_ci_u32_e64 v15, null, s14, v18, vcc_lo
	v_add_co_u32 v16, vcc_lo, s4, v19
	v_add_co_ci_u32_e64 v17, null, s5, v20, vcc_lo
	s_mov_b64 s[4:5], 0
	s_branch .LBB449_6
.LBB449_5:                              ;   in Loop: Header=BB449_6 Depth=1
	s_or_b32 exec_lo, exec_lo, s9
	s_waitcnt vmcnt(0) lgkmcnt(0)
	ds_write_b32 v13, v19
	s_waitcnt lgkmcnt(0)
	s_barrier
	buffer_gl0_inv
	ds_read_b128 v[18:21], v10
	ds_read2_b32 v[34:35], v9 offset1:16
	ds_read_b128 v[22:25], v10 offset:512
	ds_read2_b32 v[36:37], v9 offset0:32 offset1:48
	ds_read2_b32 v[38:39], v9 offset0:64 offset1:80
	;; [unrolled: 1-line block ×3, first 2 shown]
	ds_read_b128 v[26:29], v10 offset:16
	ds_read2_b32 v[42:43], v9 offset0:128 offset1:144
	ds_read_b128 v[30:33], v10 offset:528
	ds_read2_b32 v[44:45], v9 offset0:160 offset1:176
	s_add_u32 s4, s4, 8
	s_addc_u32 s5, s5, 0
	v_cmp_gt_i64_e64 s9, s[12:13], s[4:5]
	s_and_b32 vcc_lo, exec_lo, s9
	s_waitcnt lgkmcnt(8)
	v_fmac_f32_e32 v5, v34, v18
	v_fmac_f32_e32 v4, v35, v18
	s_waitcnt lgkmcnt(7)
	v_fmac_f32_e32 v7, v34, v22
	v_fmac_f32_e32 v6, v35, v22
	ds_read2_b32 v[34:35], v9 offset0:192 offset1:208
	s_waitcnt lgkmcnt(7)
	v_fmac_f32_e32 v5, v36, v19
	v_fmac_f32_e32 v4, v37, v19
	;; [unrolled: 1-line block ×4, first 2 shown]
	ds_read2_b32 v[18:19], v9 offset0:224 offset1:240
	s_waitcnt lgkmcnt(7)
	v_fmac_f32_e32 v5, v38, v20
	v_fmac_f32_e32 v4, v39, v20
	;; [unrolled: 1-line block ×4, first 2 shown]
	s_waitcnt lgkmcnt(0)
	v_fmac_f32_e32 v5, v40, v21
	v_fmac_f32_e32 v4, v41, v21
	;; [unrolled: 1-line block ×4, first 2 shown]
	s_barrier
	v_fmac_f32_e32 v5, v42, v26
	v_fmac_f32_e32 v4, v43, v26
	;; [unrolled: 1-line block ×4, first 2 shown]
	buffer_gl0_inv
	v_fmac_f32_e32 v5, v44, v27
	v_fmac_f32_e32 v4, v45, v27
	;; [unrolled: 1-line block ×12, first 2 shown]
	s_cbranch_vccz .LBB449_12
.LBB449_6:                              ; =>This Inner Loop Header: Depth=1
	v_mov_b32_e32 v18, 0
	s_and_saveexec_b32 s9, s0
	s_cbranch_execz .LBB449_10
; %bb.7:                                ;   in Loop: Header=BB449_6 Depth=1
	v_add_nc_u32_e32 v2, s4, v11
	v_mov_b32_e32 v18, 0
	s_mov_b32 s14, exec_lo
	v_cmpx_gt_u64_e64 s[12:13], v[2:3]
	s_cbranch_execz .LBB449_9
; %bb.8:                                ;   in Loop: Header=BB449_6 Depth=1
	v_lshlrev_b64 v[18:19], 2, v[2:3]
	v_add_co_u32 v18, vcc_lo, v16, v18
	v_add_co_ci_u32_e64 v19, null, v17, v19, vcc_lo
	flat_load_dword v18, v[18:19]
.LBB449_9:                              ;   in Loop: Header=BB449_6 Depth=1
	s_or_b32 exec_lo, exec_lo, s14
.LBB449_10:                             ;   in Loop: Header=BB449_6 Depth=1
	s_or_b32 exec_lo, exec_lo, s9
	v_add_nc_u32_e32 v2, s4, v8
	v_mov_b32_e32 v19, 0
	s_waitcnt vmcnt(0) lgkmcnt(0)
	ds_write_b32 v12, v18
	v_cmp_gt_u64_e32 vcc_lo, s[12:13], v[2:3]
	s_and_b32 s14, vcc_lo, s1
	s_and_saveexec_b32 s9, s14
	s_cbranch_execz .LBB449_5
; %bb.11:                               ;   in Loop: Header=BB449_6 Depth=1
	v_mad_u64_u32 v[18:19], null, s24, v2, 0
	v_mad_u64_u32 v[19:20], null, s25, v2, v[19:20]
	v_lshlrev_b64 v[18:19], 2, v[18:19]
	v_add_co_u32 v18, vcc_lo, v14, v18
	v_add_co_ci_u32_e64 v19, null, v15, v19, vcc_lo
	flat_load_dword v19, v[18:19]
	s_branch .LBB449_5
.LBB449_12:
	v_add_nc_u32_e32 v9, s7, v1
	s_lshl_b64 s[0:1], s[42:43], 2
	v_add_nc_u32_e32 v0, s6, v0
	s_waitcnt lgkmcnt(0)
	s_add_u32 s4, s2, s0
	v_cmp_neq_f32_e64 s2, s10, 0
	v_ashrrev_i32_e32 v3, 31, v9
	v_mul_lo_u32 v8, s41, v9
	v_mad_u64_u32 v[1:2], null, s40, v9, 0
	s_addc_u32 s3, s3, s1
	v_mul_lo_u32 v3, s40, v3
	v_cmp_le_i32_e32 vcc_lo, v9, v0
	v_cmp_gt_i32_e64 s0, s8, v0
	s_and_b32 s5, vcc_lo, s0
	v_add3_u32 v2, v2, v3, v8
	v_cndmask_b32_e64 v8, 0, 1, s2
	v_lshlrev_b64 v[2:3], 2, v[1:2]
	v_ashrrev_i32_e32 v1, 31, v0
	v_add_co_u32 v10, s1, s4, v2
	v_add_co_ci_u32_e64 v11, null, s3, v3, s1
	s_and_saveexec_b32 s1, s5
	s_cbranch_execz .LBB449_16
; %bb.13:
	v_lshlrev_b64 v[2:3], 2, v[0:1]
	v_mul_f32_e32 v5, s11, v5
	v_add_co_u32 v2, vcc_lo, v10, v2
	v_add_co_ci_u32_e64 v3, null, v11, v3, vcc_lo
	s_andn2_b32 vcc_lo, exec_lo, s2
	s_cbranch_vccnz .LBB449_15
; %bb.14:
	flat_load_dword v12, v[2:3]
	s_waitcnt vmcnt(0) lgkmcnt(0)
	v_fmac_f32_e32 v5, s10, v12
.LBB449_15:
	flat_store_dword v[2:3], v5
.LBB449_16:
	s_or_b32 exec_lo, exec_lo, s1
	v_add_nc_u32_e32 v2, 16, v0
	v_cmp_le_i32_e32 vcc_lo, v9, v2
	v_cmp_gt_i32_e64 s1, s8, v2
	v_ashrrev_i32_e32 v3, 31, v2
	s_and_b32 s2, vcc_lo, s1
	s_and_saveexec_b32 s5, s2
	s_cbranch_execz .LBB449_20
; %bb.17:
	v_lshlrev_b64 v[13:14], 2, v[2:3]
	v_mul_f32_e32 v12, s11, v4
	v_cmp_ne_u32_e32 vcc_lo, 1, v8
	v_add_co_u32 v4, s2, v10, v13
	v_add_co_ci_u32_e64 v5, null, v11, v14, s2
	s_cbranch_vccnz .LBB449_19
; %bb.18:
	flat_load_dword v10, v[4:5]
	s_waitcnt vmcnt(0) lgkmcnt(0)
	v_fmac_f32_e32 v12, s10, v10
.LBB449_19:
	flat_store_dword v[4:5], v12
.LBB449_20:
	s_or_b32 exec_lo, exec_lo, s5
	v_add_nc_u32_e32 v9, 16, v9
	v_ashrrev_i32_e32 v10, 31, v9
	v_mul_lo_u32 v11, s41, v9
	v_mad_u64_u32 v[4:5], null, s40, v9, 0
	v_cmp_le_i32_e32 vcc_lo, v9, v0
	v_mul_lo_u32 v10, s40, v10
	s_and_b32 s0, vcc_lo, s0
	v_add3_u32 v5, v5, v10, v11
	v_lshlrev_b64 v[4:5], 2, v[4:5]
	v_add_co_u32 v4, s2, s4, v4
	v_add_co_ci_u32_e64 v5, null, s3, v5, s2
	s_and_saveexec_b32 s2, s0
	s_cbranch_execz .LBB449_24
; %bb.21:
	v_lshlrev_b64 v[0:1], 2, v[0:1]
	v_cmp_ne_u32_e32 vcc_lo, 1, v8
	v_mul_f32_e32 v7, s11, v7
	v_add_co_u32 v0, s0, v4, v0
	v_add_co_ci_u32_e64 v1, null, v5, v1, s0
	s_cbranch_vccnz .LBB449_23
; %bb.22:
	flat_load_dword v10, v[0:1]
	s_waitcnt vmcnt(0) lgkmcnt(0)
	v_fmac_f32_e32 v7, s10, v10
.LBB449_23:
	flat_store_dword v[0:1], v7
.LBB449_24:
	s_or_b32 exec_lo, exec_lo, s2
	v_cmp_le_i32_e32 vcc_lo, v9, v2
	s_and_b32 s0, vcc_lo, s1
	s_and_saveexec_b32 s1, s0
	s_cbranch_execz .LBB449_28
; %bb.25:
	v_lshlrev_b64 v[0:1], 2, v[2:3]
	v_cmp_ne_u32_e32 vcc_lo, 1, v8
	v_mul_f32_e32 v2, s11, v6
	v_add_co_u32 v0, s0, v4, v0
	v_add_co_ci_u32_e64 v1, null, v5, v1, s0
	s_cbranch_vccnz .LBB449_27
; %bb.26:
	flat_load_dword v3, v[0:1]
	s_waitcnt vmcnt(0) lgkmcnt(0)
	v_fmac_f32_e32 v2, s10, v3
.LBB449_27:
	flat_store_dword v[0:1], v2
.LBB449_28:
	s_endpgm
	.section	.rodata,"a",@progbits
	.p2align	6, 0x0
	.amdhsa_kernel _ZL29rocblas_internal_gemmt_kernelIlLi16ELi32ELi8ELc67ELc67ELc76ELb0ELb0EfPKfPKS1_PKPfEviT_T9_T10_S7_lS9_S7_lS8_T11_S7_li
		.amdhsa_group_segment_fixed_size 2048
		.amdhsa_private_segment_fixed_size 0
		.amdhsa_kernarg_size 108
		.amdhsa_user_sgpr_count 6
		.amdhsa_user_sgpr_private_segment_buffer 1
		.amdhsa_user_sgpr_dispatch_ptr 0
		.amdhsa_user_sgpr_queue_ptr 0
		.amdhsa_user_sgpr_kernarg_segment_ptr 1
		.amdhsa_user_sgpr_dispatch_id 0
		.amdhsa_user_sgpr_flat_scratch_init 0
		.amdhsa_user_sgpr_private_segment_size 0
		.amdhsa_wavefront_size32 1
		.amdhsa_uses_dynamic_stack 0
		.amdhsa_system_sgpr_private_segment_wavefront_offset 0
		.amdhsa_system_sgpr_workgroup_id_x 1
		.amdhsa_system_sgpr_workgroup_id_y 1
		.amdhsa_system_sgpr_workgroup_id_z 1
		.amdhsa_system_sgpr_workgroup_info 0
		.amdhsa_system_vgpr_workitem_id 1
		.amdhsa_next_free_vgpr 46
		.amdhsa_next_free_sgpr 44
		.amdhsa_reserve_vcc 1
		.amdhsa_reserve_flat_scratch 0
		.amdhsa_float_round_mode_32 0
		.amdhsa_float_round_mode_16_64 0
		.amdhsa_float_denorm_mode_32 3
		.amdhsa_float_denorm_mode_16_64 3
		.amdhsa_dx10_clamp 1
		.amdhsa_ieee_mode 1
		.amdhsa_fp16_overflow 0
		.amdhsa_workgroup_processor_mode 1
		.amdhsa_memory_ordered 1
		.amdhsa_forward_progress 1
		.amdhsa_shared_vgpr_count 0
		.amdhsa_exception_fp_ieee_invalid_op 0
		.amdhsa_exception_fp_denorm_src 0
		.amdhsa_exception_fp_ieee_div_zero 0
		.amdhsa_exception_fp_ieee_overflow 0
		.amdhsa_exception_fp_ieee_underflow 0
		.amdhsa_exception_fp_ieee_inexact 0
		.amdhsa_exception_int_div_zero 0
	.end_amdhsa_kernel
	.section	.text._ZL29rocblas_internal_gemmt_kernelIlLi16ELi32ELi8ELc67ELc67ELc76ELb0ELb0EfPKfPKS1_PKPfEviT_T9_T10_S7_lS9_S7_lS8_T11_S7_li,"axG",@progbits,_ZL29rocblas_internal_gemmt_kernelIlLi16ELi32ELi8ELc67ELc67ELc76ELb0ELb0EfPKfPKS1_PKPfEviT_T9_T10_S7_lS9_S7_lS8_T11_S7_li,comdat
.Lfunc_end449:
	.size	_ZL29rocblas_internal_gemmt_kernelIlLi16ELi32ELi8ELc67ELc67ELc76ELb0ELb0EfPKfPKS1_PKPfEviT_T9_T10_S7_lS9_S7_lS8_T11_S7_li, .Lfunc_end449-_ZL29rocblas_internal_gemmt_kernelIlLi16ELi32ELi8ELc67ELc67ELc76ELb0ELb0EfPKfPKS1_PKPfEviT_T9_T10_S7_lS9_S7_lS8_T11_S7_li
                                        ; -- End function
	.set _ZL29rocblas_internal_gemmt_kernelIlLi16ELi32ELi8ELc67ELc67ELc76ELb0ELb0EfPKfPKS1_PKPfEviT_T9_T10_S7_lS9_S7_lS8_T11_S7_li.num_vgpr, 46
	.set _ZL29rocblas_internal_gemmt_kernelIlLi16ELi32ELi8ELc67ELc67ELc76ELb0ELb0EfPKfPKS1_PKPfEviT_T9_T10_S7_lS9_S7_lS8_T11_S7_li.num_agpr, 0
	.set _ZL29rocblas_internal_gemmt_kernelIlLi16ELi32ELi8ELc67ELc67ELc76ELb0ELb0EfPKfPKS1_PKPfEviT_T9_T10_S7_lS9_S7_lS8_T11_S7_li.numbered_sgpr, 44
	.set _ZL29rocblas_internal_gemmt_kernelIlLi16ELi32ELi8ELc67ELc67ELc76ELb0ELb0EfPKfPKS1_PKPfEviT_T9_T10_S7_lS9_S7_lS8_T11_S7_li.num_named_barrier, 0
	.set _ZL29rocblas_internal_gemmt_kernelIlLi16ELi32ELi8ELc67ELc67ELc76ELb0ELb0EfPKfPKS1_PKPfEviT_T9_T10_S7_lS9_S7_lS8_T11_S7_li.private_seg_size, 0
	.set _ZL29rocblas_internal_gemmt_kernelIlLi16ELi32ELi8ELc67ELc67ELc76ELb0ELb0EfPKfPKS1_PKPfEviT_T9_T10_S7_lS9_S7_lS8_T11_S7_li.uses_vcc, 1
	.set _ZL29rocblas_internal_gemmt_kernelIlLi16ELi32ELi8ELc67ELc67ELc76ELb0ELb0EfPKfPKS1_PKPfEviT_T9_T10_S7_lS9_S7_lS8_T11_S7_li.uses_flat_scratch, 0
	.set _ZL29rocblas_internal_gemmt_kernelIlLi16ELi32ELi8ELc67ELc67ELc76ELb0ELb0EfPKfPKS1_PKPfEviT_T9_T10_S7_lS9_S7_lS8_T11_S7_li.has_dyn_sized_stack, 0
	.set _ZL29rocblas_internal_gemmt_kernelIlLi16ELi32ELi8ELc67ELc67ELc76ELb0ELb0EfPKfPKS1_PKPfEviT_T9_T10_S7_lS9_S7_lS8_T11_S7_li.has_recursion, 0
	.set _ZL29rocblas_internal_gemmt_kernelIlLi16ELi32ELi8ELc67ELc67ELc76ELb0ELb0EfPKfPKS1_PKPfEviT_T9_T10_S7_lS9_S7_lS8_T11_S7_li.has_indirect_call, 0
	.section	.AMDGPU.csdata,"",@progbits
; Kernel info:
; codeLenInByte = 1432
; TotalNumSgprs: 46
; NumVgprs: 46
; ScratchSize: 0
; MemoryBound: 0
; FloatMode: 240
; IeeeMode: 1
; LDSByteSize: 2048 bytes/workgroup (compile time only)
; SGPRBlocks: 0
; VGPRBlocks: 5
; NumSGPRsForWavesPerEU: 46
; NumVGPRsForWavesPerEU: 46
; Occupancy: 16
; WaveLimiterHint : 1
; COMPUTE_PGM_RSRC2:SCRATCH_EN: 0
; COMPUTE_PGM_RSRC2:USER_SGPR: 6
; COMPUTE_PGM_RSRC2:TRAP_HANDLER: 0
; COMPUTE_PGM_RSRC2:TGID_X_EN: 1
; COMPUTE_PGM_RSRC2:TGID_Y_EN: 1
; COMPUTE_PGM_RSRC2:TGID_Z_EN: 1
; COMPUTE_PGM_RSRC2:TIDIG_COMP_CNT: 1
	.section	.text._ZL29rocblas_internal_gemmt_kernelIlLi16ELi32ELi8ELc78ELc78ELc85ELb0ELb0EffPKPKfPKPfEviT_T9_T10_S7_lS9_S7_lS8_T11_S7_li,"axG",@progbits,_ZL29rocblas_internal_gemmt_kernelIlLi16ELi32ELi8ELc78ELc78ELc85ELb0ELb0EffPKPKfPKPfEviT_T9_T10_S7_lS9_S7_lS8_T11_S7_li,comdat
	.globl	_ZL29rocblas_internal_gemmt_kernelIlLi16ELi32ELi8ELc78ELc78ELc85ELb0ELb0EffPKPKfPKPfEviT_T9_T10_S7_lS9_S7_lS8_T11_S7_li ; -- Begin function _ZL29rocblas_internal_gemmt_kernelIlLi16ELi32ELi8ELc78ELc78ELc85ELb0ELb0EffPKPKfPKPfEviT_T9_T10_S7_lS9_S7_lS8_T11_S7_li
	.p2align	8
	.type	_ZL29rocblas_internal_gemmt_kernelIlLi16ELi32ELi8ELc78ELc78ELc85ELb0ELb0EffPKPKfPKPfEviT_T9_T10_S7_lS9_S7_lS8_T11_S7_li,@function
_ZL29rocblas_internal_gemmt_kernelIlLi16ELi32ELi8ELc78ELc78ELc85ELb0ELb0EffPKPKfPKPfEviT_T9_T10_S7_lS9_S7_lS8_T11_S7_li: ; @_ZL29rocblas_internal_gemmt_kernelIlLi16ELi32ELi8ELc78ELc78ELc85ELb0ELb0EffPKPKfPKPfEviT_T9_T10_S7_lS9_S7_lS8_T11_S7_li
; %bb.0:
	s_clause 0x2
	s_load_dword s24, s[4:5], 0x48
	s_load_dwordx2 s[16:17], s[4:5], 0x8
	s_load_dword s25, s[4:5], 0x10
	s_waitcnt lgkmcnt(0)
	v_cmp_neq_f32_e64 s0, s24, 1.0
	s_and_b32 vcc_lo, exec_lo, s0
	s_cbranch_vccnz .LBB450_2
; %bb.1:
	v_cmp_neq_f32_e64 s0, s25, 0
	s_cmp_lg_u64 s[16:17], 0
	s_cselect_b32 s1, -1, 0
	s_and_b32 s0, s1, s0
.LBB450_2:
	s_andn2_b32 vcc_lo, exec_lo, s0
	s_cbranch_vccnz .LBB450_28
; %bb.3:
	s_clause 0x1
	s_load_dwordx4 s[0:3], s[4:5], 0x50
	s_load_dword s26, s[4:5], 0x0
	s_mov_b32 s9, 0
	v_mov_b32_e32 v8, 0
	s_lshl_b64 s[22:23], s[8:9], 3
	v_mov_b32_e32 v4, 0
	v_mov_b32_e32 v7, 0
	;; [unrolled: 1-line block ×3, first 2 shown]
	s_waitcnt lgkmcnt(0)
	s_add_u32 s0, s0, s22
	s_addc_u32 s1, s1, s23
	s_load_dwordx2 s[20:21], s[4:5], 0x60
	s_load_dwordx2 s[18:19], s[0:1], 0x0
	v_cmp_lt_i64_e64 s0, s[16:17], 1
	v_cmp_eq_f32_e64 s1, s25, 0
	s_lshl_b32 s27, s6, 5
	s_lshl_b32 s28, s7, 5
	s_or_b32 s0, s1, s0
	s_and_b32 vcc_lo, exec_lo, s0
	s_cbranch_vccnz .LBB450_12
; %bb.4:
	s_clause 0x1
	s_load_dwordx8 s[8:15], s[4:5], 0x18
	s_load_dwordx4 s[4:7], s[4:5], 0x38
	v_lshl_add_u32 v2, v1, 4, v0
	v_and_b32_e32 v5, 7, v0
	v_lshlrev_b32_e32 v9, 2, v0
	v_lshl_add_u32 v10, v1, 5, 0x400
	v_mov_b32_e32 v3, 0
	v_lshrrev_b32_e32 v8, 3, v2
	v_and_b32_e32 v12, 31, v2
	v_lshlrev_b32_e32 v18, 2, v5
	v_lshrrev_b32_e32 v11, 5, v2
	v_mov_b32_e32 v6, 0
	v_add_nc_u32_e32 v19, s28, v8
	v_or_b32_e32 v15, s27, v12
	v_lshl_or_b32 v8, v8, 5, v18
	v_lshlrev_b32_e32 v2, 2, v12
	v_mov_b32_e32 v7, 0
	v_ashrrev_i32_e32 v4, 31, v19
	v_lshl_or_b32 v12, v11, 7, v2
	s_waitcnt lgkmcnt(0)
	s_add_u32 s0, s14, s22
	s_addc_u32 s1, s15, s23
	s_lshl_b64 s[6:7], s[6:7], 2
	s_load_dwordx2 s[0:1], s[0:1], 0x0
	v_mul_lo_u32 v16, s4, v4
	v_mul_lo_u32 v17, s5, v19
	v_mad_u64_u32 v[13:14], null, s4, v19, 0
	v_mov_b32_e32 v4, 0
	v_add3_u32 v14, v14, v16, v17
	v_ashrrev_i32_e32 v16, 31, v15
	v_lshlrev_b64 v[17:18], 2, v[13:14]
	v_add_nc_u32_e32 v13, 0x400, v8
	v_mov_b32_e32 v8, 0
	s_waitcnt lgkmcnt(0)
	s_add_u32 s14, s0, s6
	s_addc_u32 s15, s1, s7
	s_add_u32 s0, s8, s22
	s_addc_u32 s1, s9, s23
	s_lshl_b64 s[6:7], s[12:13], 2
	s_load_dwordx2 s[4:5], s[0:1], 0x0
	v_cmp_gt_i32_e64 s1, s26, v19
	v_lshlrev_b64 v[19:20], 2, v[15:16]
	v_add_co_u32 v14, vcc_lo, s14, v17
	v_cmp_gt_i32_e64 s0, s26, v15
	v_add_co_ci_u32_e64 v15, null, s15, v18, vcc_lo
	s_waitcnt lgkmcnt(0)
	s_add_u32 s4, s4, s6
	s_addc_u32 s5, s5, s7
	v_add_co_u32 v16, vcc_lo, s4, v19
	v_add_co_ci_u32_e64 v17, null, s5, v20, vcc_lo
	s_mov_b64 s[4:5], 0
	s_branch .LBB450_6
.LBB450_5:                              ;   in Loop: Header=BB450_6 Depth=1
	s_or_b32 exec_lo, exec_lo, s6
	s_waitcnt vmcnt(0) lgkmcnt(0)
	ds_write_b32 v13, v19
	s_waitcnt lgkmcnt(0)
	s_barrier
	buffer_gl0_inv
	ds_read_b128 v[18:21], v10
	ds_read2_b32 v[34:35], v9 offset1:16
	ds_read_b128 v[22:25], v10 offset:512
	ds_read2_b32 v[36:37], v9 offset0:32 offset1:48
	ds_read2_b32 v[38:39], v9 offset0:64 offset1:80
	;; [unrolled: 1-line block ×3, first 2 shown]
	ds_read_b128 v[26:29], v10 offset:16
	ds_read2_b32 v[42:43], v9 offset0:128 offset1:144
	ds_read_b128 v[30:33], v10 offset:528
	ds_read2_b32 v[44:45], v9 offset0:160 offset1:176
	s_add_u32 s4, s4, 8
	s_addc_u32 s5, s5, 0
	v_cmp_gt_i64_e64 s6, s[16:17], s[4:5]
	s_and_b32 vcc_lo, exec_lo, s6
	s_waitcnt lgkmcnt(8)
	v_fmac_f32_e32 v8, v34, v18
	v_fmac_f32_e32 v4, v35, v18
	s_waitcnt lgkmcnt(7)
	v_fmac_f32_e32 v7, v34, v22
	v_fmac_f32_e32 v6, v35, v22
	ds_read2_b32 v[34:35], v9 offset0:192 offset1:208
	s_waitcnt lgkmcnt(7)
	v_fmac_f32_e32 v8, v36, v19
	v_fmac_f32_e32 v4, v37, v19
	;; [unrolled: 1-line block ×4, first 2 shown]
	ds_read2_b32 v[18:19], v9 offset0:224 offset1:240
	s_waitcnt lgkmcnt(7)
	v_fmac_f32_e32 v8, v38, v20
	v_fmac_f32_e32 v4, v39, v20
	;; [unrolled: 1-line block ×4, first 2 shown]
	s_waitcnt lgkmcnt(0)
	v_fmac_f32_e32 v8, v40, v21
	v_fmac_f32_e32 v4, v41, v21
	;; [unrolled: 1-line block ×4, first 2 shown]
	s_barrier
	v_fmac_f32_e32 v8, v42, v26
	v_fmac_f32_e32 v4, v43, v26
	;; [unrolled: 1-line block ×4, first 2 shown]
	buffer_gl0_inv
	v_fmac_f32_e32 v8, v44, v27
	v_fmac_f32_e32 v4, v45, v27
	;; [unrolled: 1-line block ×12, first 2 shown]
	s_cbranch_vccz .LBB450_12
.LBB450_6:                              ; =>This Inner Loop Header: Depth=1
	v_mov_b32_e32 v18, 0
	s_and_saveexec_b32 s6, s0
	s_cbranch_execz .LBB450_10
; %bb.7:                                ;   in Loop: Header=BB450_6 Depth=1
	v_add_nc_u32_e32 v2, s4, v11
	v_mov_b32_e32 v18, 0
	s_mov_b32 s7, exec_lo
	v_cmpx_gt_u64_e64 s[16:17], v[2:3]
	s_cbranch_execz .LBB450_9
; %bb.8:                                ;   in Loop: Header=BB450_6 Depth=1
	v_mad_u64_u32 v[18:19], null, s10, v2, 0
	v_mad_u64_u32 v[19:20], null, s11, v2, v[19:20]
	v_lshlrev_b64 v[18:19], 2, v[18:19]
	v_add_co_u32 v18, vcc_lo, v16, v18
	v_add_co_ci_u32_e64 v19, null, v17, v19, vcc_lo
	flat_load_dword v18, v[18:19]
.LBB450_9:                              ;   in Loop: Header=BB450_6 Depth=1
	s_or_b32 exec_lo, exec_lo, s7
.LBB450_10:                             ;   in Loop: Header=BB450_6 Depth=1
	s_or_b32 exec_lo, exec_lo, s6
	v_add_nc_u32_e32 v2, s4, v5
	v_mov_b32_e32 v19, 0
	s_waitcnt vmcnt(0) lgkmcnt(0)
	ds_write_b32 v12, v18
	v_cmp_gt_u64_e32 vcc_lo, s[16:17], v[2:3]
	s_and_b32 s7, vcc_lo, s1
	s_and_saveexec_b32 s6, s7
	s_cbranch_execz .LBB450_5
; %bb.11:                               ;   in Loop: Header=BB450_6 Depth=1
	v_lshlrev_b64 v[18:19], 2, v[2:3]
	v_add_co_u32 v18, vcc_lo, v14, v18
	v_add_co_ci_u32_e64 v19, null, v15, v19, vcc_lo
	flat_load_dword v19, v[18:19]
	s_branch .LBB450_5
.LBB450_12:
	v_add_nc_u32_e32 v10, s28, v1
	v_add_nc_u32_e32 v0, s27, v0
	s_waitcnt lgkmcnt(0)
	s_lshl_b64 s[0:1], s[20:21], 2
	v_cmp_neq_f32_e64 s6, s24, 0
	s_add_u32 s4, s18, s0
	v_ashrrev_i32_e32 v3, 31, v10
	v_mul_lo_u32 v5, s3, v10
	v_mad_u64_u32 v[1:2], null, s2, v10, 0
	s_addc_u32 s5, s19, s1
	v_mul_lo_u32 v3, s2, v3
	v_cmp_gt_i32_e64 s0, s26, v10
	v_cmp_le_i32_e32 vcc_lo, v0, v10
	v_cndmask_b32_e64 v9, 0, 1, s6
	s_and_b32 s7, s0, vcc_lo
	v_add3_u32 v2, v2, v3, v5
	v_lshlrev_b64 v[2:3], 2, v[1:2]
	v_ashrrev_i32_e32 v1, 31, v0
	v_add_co_u32 v5, s1, s4, v2
	v_add_co_ci_u32_e64 v11, null, s5, v3, s1
	s_and_saveexec_b32 s1, s7
	s_cbranch_execz .LBB450_16
; %bb.13:
	v_lshlrev_b64 v[2:3], 2, v[0:1]
	v_mul_f32_e32 v8, s25, v8
	v_add_co_u32 v2, vcc_lo, v5, v2
	v_add_co_ci_u32_e64 v3, null, v11, v3, vcc_lo
	s_andn2_b32 vcc_lo, exec_lo, s6
	s_cbranch_vccnz .LBB450_15
; %bb.14:
	flat_load_dword v12, v[2:3]
	s_waitcnt vmcnt(0) lgkmcnt(0)
	v_fmac_f32_e32 v8, s24, v12
.LBB450_15:
	flat_store_dword v[2:3], v8
.LBB450_16:
	s_or_b32 exec_lo, exec_lo, s1
	v_add_nc_u32_e32 v2, 16, v0
	v_cmp_le_i32_e32 vcc_lo, v2, v10
	v_ashrrev_i32_e32 v3, 31, v2
	s_and_b32 s0, s0, vcc_lo
	s_and_saveexec_b32 s1, s0
	s_cbranch_execz .LBB450_20
; %bb.17:
	v_lshlrev_b64 v[12:13], 2, v[2:3]
	v_mul_f32_e32 v8, s25, v4
	v_cmp_ne_u32_e32 vcc_lo, 1, v9
	v_add_co_u32 v4, s0, v5, v12
	v_add_co_ci_u32_e64 v5, null, v11, v13, s0
	s_cbranch_vccnz .LBB450_19
; %bb.18:
	flat_load_dword v11, v[4:5]
	s_waitcnt vmcnt(0) lgkmcnt(0)
	v_fmac_f32_e32 v8, s24, v11
.LBB450_19:
	flat_store_dword v[4:5], v8
.LBB450_20:
	s_or_b32 exec_lo, exec_lo, s1
	v_add_nc_u32_e32 v8, 16, v10
	v_ashrrev_i32_e32 v10, 31, v8
	v_mul_lo_u32 v11, s3, v8
	v_mad_u64_u32 v[4:5], null, s2, v8, 0
	v_cmp_gt_i32_e64 s0, s26, v8
	v_mul_lo_u32 v10, s2, v10
	v_cmp_le_i32_e32 vcc_lo, v0, v8
	v_add3_u32 v5, v5, v10, v11
	v_lshlrev_b64 v[4:5], 2, v[4:5]
	v_add_co_u32 v4, s1, s4, v4
	v_add_co_ci_u32_e64 v5, null, s5, v5, s1
	s_and_b32 s1, s0, vcc_lo
	s_and_saveexec_b32 s2, s1
	s_cbranch_execz .LBB450_24
; %bb.21:
	v_lshlrev_b64 v[0:1], 2, v[0:1]
	v_cmp_ne_u32_e32 vcc_lo, 1, v9
	v_mul_f32_e32 v7, s25, v7
	v_add_co_u32 v0, s1, v4, v0
	v_add_co_ci_u32_e64 v1, null, v5, v1, s1
	s_cbranch_vccnz .LBB450_23
; %bb.22:
	flat_load_dword v10, v[0:1]
	s_waitcnt vmcnt(0) lgkmcnt(0)
	v_fmac_f32_e32 v7, s24, v10
.LBB450_23:
	flat_store_dword v[0:1], v7
.LBB450_24:
	s_or_b32 exec_lo, exec_lo, s2
	v_cmp_le_i32_e32 vcc_lo, v2, v8
	s_and_b32 s0, s0, vcc_lo
	s_and_saveexec_b32 s1, s0
	s_cbranch_execz .LBB450_28
; %bb.25:
	v_lshlrev_b64 v[0:1], 2, v[2:3]
	v_cmp_ne_u32_e32 vcc_lo, 1, v9
	v_mul_f32_e32 v2, s25, v6
	v_add_co_u32 v0, s0, v4, v0
	v_add_co_ci_u32_e64 v1, null, v5, v1, s0
	s_cbranch_vccnz .LBB450_27
; %bb.26:
	flat_load_dword v3, v[0:1]
	s_waitcnt vmcnt(0) lgkmcnt(0)
	v_fmac_f32_e32 v2, s24, v3
.LBB450_27:
	flat_store_dword v[0:1], v2
.LBB450_28:
	s_endpgm
	.section	.rodata,"a",@progbits
	.p2align	6, 0x0
	.amdhsa_kernel _ZL29rocblas_internal_gemmt_kernelIlLi16ELi32ELi8ELc78ELc78ELc85ELb0ELb0EffPKPKfPKPfEviT_T9_T10_S7_lS9_S7_lS8_T11_S7_li
		.amdhsa_group_segment_fixed_size 2048
		.amdhsa_private_segment_fixed_size 0
		.amdhsa_kernarg_size 108
		.amdhsa_user_sgpr_count 6
		.amdhsa_user_sgpr_private_segment_buffer 1
		.amdhsa_user_sgpr_dispatch_ptr 0
		.amdhsa_user_sgpr_queue_ptr 0
		.amdhsa_user_sgpr_kernarg_segment_ptr 1
		.amdhsa_user_sgpr_dispatch_id 0
		.amdhsa_user_sgpr_flat_scratch_init 0
		.amdhsa_user_sgpr_private_segment_size 0
		.amdhsa_wavefront_size32 1
		.amdhsa_uses_dynamic_stack 0
		.amdhsa_system_sgpr_private_segment_wavefront_offset 0
		.amdhsa_system_sgpr_workgroup_id_x 1
		.amdhsa_system_sgpr_workgroup_id_y 1
		.amdhsa_system_sgpr_workgroup_id_z 1
		.amdhsa_system_sgpr_workgroup_info 0
		.amdhsa_system_vgpr_workitem_id 1
		.amdhsa_next_free_vgpr 46
		.amdhsa_next_free_sgpr 29
		.amdhsa_reserve_vcc 1
		.amdhsa_reserve_flat_scratch 0
		.amdhsa_float_round_mode_32 0
		.amdhsa_float_round_mode_16_64 0
		.amdhsa_float_denorm_mode_32 3
		.amdhsa_float_denorm_mode_16_64 3
		.amdhsa_dx10_clamp 1
		.amdhsa_ieee_mode 1
		.amdhsa_fp16_overflow 0
		.amdhsa_workgroup_processor_mode 1
		.amdhsa_memory_ordered 1
		.amdhsa_forward_progress 1
		.amdhsa_shared_vgpr_count 0
		.amdhsa_exception_fp_ieee_invalid_op 0
		.amdhsa_exception_fp_denorm_src 0
		.amdhsa_exception_fp_ieee_div_zero 0
		.amdhsa_exception_fp_ieee_overflow 0
		.amdhsa_exception_fp_ieee_underflow 0
		.amdhsa_exception_fp_ieee_inexact 0
		.amdhsa_exception_int_div_zero 0
	.end_amdhsa_kernel
	.section	.text._ZL29rocblas_internal_gemmt_kernelIlLi16ELi32ELi8ELc78ELc78ELc85ELb0ELb0EffPKPKfPKPfEviT_T9_T10_S7_lS9_S7_lS8_T11_S7_li,"axG",@progbits,_ZL29rocblas_internal_gemmt_kernelIlLi16ELi32ELi8ELc78ELc78ELc85ELb0ELb0EffPKPKfPKPfEviT_T9_T10_S7_lS9_S7_lS8_T11_S7_li,comdat
.Lfunc_end450:
	.size	_ZL29rocblas_internal_gemmt_kernelIlLi16ELi32ELi8ELc78ELc78ELc85ELb0ELb0EffPKPKfPKPfEviT_T9_T10_S7_lS9_S7_lS8_T11_S7_li, .Lfunc_end450-_ZL29rocblas_internal_gemmt_kernelIlLi16ELi32ELi8ELc78ELc78ELc85ELb0ELb0EffPKPKfPKPfEviT_T9_T10_S7_lS9_S7_lS8_T11_S7_li
                                        ; -- End function
	.set _ZL29rocblas_internal_gemmt_kernelIlLi16ELi32ELi8ELc78ELc78ELc85ELb0ELb0EffPKPKfPKPfEviT_T9_T10_S7_lS9_S7_lS8_T11_S7_li.num_vgpr, 46
	.set _ZL29rocblas_internal_gemmt_kernelIlLi16ELi32ELi8ELc78ELc78ELc85ELb0ELb0EffPKPKfPKPfEviT_T9_T10_S7_lS9_S7_lS8_T11_S7_li.num_agpr, 0
	.set _ZL29rocblas_internal_gemmt_kernelIlLi16ELi32ELi8ELc78ELc78ELc85ELb0ELb0EffPKPKfPKPfEviT_T9_T10_S7_lS9_S7_lS8_T11_S7_li.numbered_sgpr, 29
	.set _ZL29rocblas_internal_gemmt_kernelIlLi16ELi32ELi8ELc78ELc78ELc85ELb0ELb0EffPKPKfPKPfEviT_T9_T10_S7_lS9_S7_lS8_T11_S7_li.num_named_barrier, 0
	.set _ZL29rocblas_internal_gemmt_kernelIlLi16ELi32ELi8ELc78ELc78ELc85ELb0ELb0EffPKPKfPKPfEviT_T9_T10_S7_lS9_S7_lS8_T11_S7_li.private_seg_size, 0
	.set _ZL29rocblas_internal_gemmt_kernelIlLi16ELi32ELi8ELc78ELc78ELc85ELb0ELb0EffPKPKfPKPfEviT_T9_T10_S7_lS9_S7_lS8_T11_S7_li.uses_vcc, 1
	.set _ZL29rocblas_internal_gemmt_kernelIlLi16ELi32ELi8ELc78ELc78ELc85ELb0ELb0EffPKPKfPKPfEviT_T9_T10_S7_lS9_S7_lS8_T11_S7_li.uses_flat_scratch, 0
	.set _ZL29rocblas_internal_gemmt_kernelIlLi16ELi32ELi8ELc78ELc78ELc85ELb0ELb0EffPKPKfPKPfEviT_T9_T10_S7_lS9_S7_lS8_T11_S7_li.has_dyn_sized_stack, 0
	.set _ZL29rocblas_internal_gemmt_kernelIlLi16ELi32ELi8ELc78ELc78ELc85ELb0ELb0EffPKPKfPKPfEviT_T9_T10_S7_lS9_S7_lS8_T11_S7_li.has_recursion, 0
	.set _ZL29rocblas_internal_gemmt_kernelIlLi16ELi32ELi8ELc78ELc78ELc85ELb0ELb0EffPKPKfPKPfEviT_T9_T10_S7_lS9_S7_lS8_T11_S7_li.has_indirect_call, 0
	.section	.AMDGPU.csdata,"",@progbits
; Kernel info:
; codeLenInByte = 1472
; TotalNumSgprs: 31
; NumVgprs: 46
; ScratchSize: 0
; MemoryBound: 0
; FloatMode: 240
; IeeeMode: 1
; LDSByteSize: 2048 bytes/workgroup (compile time only)
; SGPRBlocks: 0
; VGPRBlocks: 5
; NumSGPRsForWavesPerEU: 31
; NumVGPRsForWavesPerEU: 46
; Occupancy: 16
; WaveLimiterHint : 1
; COMPUTE_PGM_RSRC2:SCRATCH_EN: 0
; COMPUTE_PGM_RSRC2:USER_SGPR: 6
; COMPUTE_PGM_RSRC2:TRAP_HANDLER: 0
; COMPUTE_PGM_RSRC2:TGID_X_EN: 1
; COMPUTE_PGM_RSRC2:TGID_Y_EN: 1
; COMPUTE_PGM_RSRC2:TGID_Z_EN: 1
; COMPUTE_PGM_RSRC2:TIDIG_COMP_CNT: 1
	.section	.text._ZL29rocblas_internal_gemmt_kernelIlLi16ELi32ELi8ELc78ELc84ELc85ELb0ELb0EffPKPKfPKPfEviT_T9_T10_S7_lS9_S7_lS8_T11_S7_li,"axG",@progbits,_ZL29rocblas_internal_gemmt_kernelIlLi16ELi32ELi8ELc78ELc84ELc85ELb0ELb0EffPKPKfPKPfEviT_T9_T10_S7_lS9_S7_lS8_T11_S7_li,comdat
	.globl	_ZL29rocblas_internal_gemmt_kernelIlLi16ELi32ELi8ELc78ELc84ELc85ELb0ELb0EffPKPKfPKPfEviT_T9_T10_S7_lS9_S7_lS8_T11_S7_li ; -- Begin function _ZL29rocblas_internal_gemmt_kernelIlLi16ELi32ELi8ELc78ELc84ELc85ELb0ELb0EffPKPKfPKPfEviT_T9_T10_S7_lS9_S7_lS8_T11_S7_li
	.p2align	8
	.type	_ZL29rocblas_internal_gemmt_kernelIlLi16ELi32ELi8ELc78ELc84ELc85ELb0ELb0EffPKPKfPKPfEviT_T9_T10_S7_lS9_S7_lS8_T11_S7_li,@function
_ZL29rocblas_internal_gemmt_kernelIlLi16ELi32ELi8ELc78ELc84ELc85ELb0ELb0EffPKPKfPKPfEviT_T9_T10_S7_lS9_S7_lS8_T11_S7_li: ; @_ZL29rocblas_internal_gemmt_kernelIlLi16ELi32ELi8ELc78ELc84ELc85ELb0ELb0EffPKPKfPKPfEviT_T9_T10_S7_lS9_S7_lS8_T11_S7_li
; %bb.0:
	s_clause 0x2
	s_load_dword s24, s[4:5], 0x48
	s_load_dwordx2 s[16:17], s[4:5], 0x8
	s_load_dword s25, s[4:5], 0x10
	s_waitcnt lgkmcnt(0)
	v_cmp_neq_f32_e64 s0, s24, 1.0
	s_and_b32 vcc_lo, exec_lo, s0
	s_cbranch_vccnz .LBB451_2
; %bb.1:
	v_cmp_neq_f32_e64 s0, s25, 0
	s_cmp_lg_u64 s[16:17], 0
	s_cselect_b32 s1, -1, 0
	s_and_b32 s0, s1, s0
.LBB451_2:
	s_andn2_b32 vcc_lo, exec_lo, s0
	s_cbranch_vccnz .LBB451_28
; %bb.3:
	s_clause 0x1
	s_load_dwordx4 s[0:3], s[4:5], 0x50
	s_load_dword s26, s[4:5], 0x0
	s_mov_b32 s9, 0
	v_mov_b32_e32 v8, 0
	s_lshl_b64 s[22:23], s[8:9], 3
	v_mov_b32_e32 v4, 0
	v_mov_b32_e32 v7, 0
	;; [unrolled: 1-line block ×3, first 2 shown]
	s_waitcnt lgkmcnt(0)
	s_add_u32 s0, s0, s22
	s_addc_u32 s1, s1, s23
	s_load_dwordx2 s[20:21], s[4:5], 0x60
	s_load_dwordx2 s[18:19], s[0:1], 0x0
	v_cmp_lt_i64_e64 s0, s[16:17], 1
	v_cmp_eq_f32_e64 s1, s25, 0
	s_lshl_b32 s27, s6, 5
	s_lshl_b32 s28, s7, 5
	s_or_b32 s0, s1, s0
	s_and_b32 vcc_lo, exec_lo, s0
	s_cbranch_vccnz .LBB451_12
; %bb.4:
	s_clause 0x1
	s_load_dwordx8 s[8:15], s[4:5], 0x18
	s_load_dwordx4 s[4:7], s[4:5], 0x38
	v_lshl_add_u32 v2, v1, 4, v0
	v_and_b32_e32 v5, 7, v0
	v_lshlrev_b32_e32 v9, 2, v0
	v_lshl_add_u32 v10, v1, 5, 0x400
	v_mov_b32_e32 v3, 0
	v_lshrrev_b32_e32 v8, 3, v2
	v_and_b32_e32 v12, 31, v2
	v_lshlrev_b32_e32 v16, 2, v5
	v_lshrrev_b32_e32 v11, 5, v2
	v_mov_b32_e32 v6, 0
	v_add_nc_u32_e32 v13, s28, v8
	v_or_b32_e32 v15, s27, v12
	v_lshl_or_b32 v8, v8, 5, v16
	v_lshlrev_b32_e32 v2, 2, v12
	v_mov_b32_e32 v7, 0
	v_ashrrev_i32_e32 v14, 31, v13
	v_ashrrev_i32_e32 v16, 31, v15
	v_mov_b32_e32 v4, 0
	s_waitcnt lgkmcnt(0)
	s_add_u32 s0, s14, s22
	s_addc_u32 s1, s15, s23
	s_lshl_b64 s[6:7], s[6:7], 2
	s_load_dwordx2 s[0:1], s[0:1], 0x0
	v_lshlrev_b64 v[17:18], 2, v[13:14]
	v_lshlrev_b64 v[19:20], 2, v[15:16]
	v_lshl_or_b32 v12, v11, 7, v2
	s_waitcnt lgkmcnt(0)
	s_add_u32 s14, s0, s6
	s_addc_u32 s15, s1, s7
	s_add_u32 s0, s8, s22
	s_addc_u32 s1, s9, s23
	s_lshl_b64 s[8:9], s[12:13], 2
	s_load_dwordx2 s[6:7], s[0:1], 0x0
	v_add_co_u32 v14, vcc_lo, s14, v17
	v_cmp_gt_i32_e64 s0, s26, v15
	v_add_co_ci_u32_e64 v15, null, s15, v18, vcc_lo
	v_cmp_gt_i32_e64 s1, s26, v13
	v_add_nc_u32_e32 v13, 0x400, v8
	v_mov_b32_e32 v8, 0
	s_waitcnt lgkmcnt(0)
	s_add_u32 s6, s6, s8
	s_addc_u32 s7, s7, s9
	v_add_co_u32 v16, vcc_lo, s6, v19
	v_add_co_ci_u32_e64 v17, null, s7, v20, vcc_lo
	s_mov_b64 s[6:7], 0
	s_branch .LBB451_6
.LBB451_5:                              ;   in Loop: Header=BB451_6 Depth=1
	s_or_b32 exec_lo, exec_lo, s8
	s_waitcnt vmcnt(0) lgkmcnt(0)
	ds_write_b32 v13, v19
	s_waitcnt lgkmcnt(0)
	s_barrier
	buffer_gl0_inv
	ds_read_b128 v[18:21], v10
	ds_read2_b32 v[34:35], v9 offset1:16
	ds_read_b128 v[22:25], v10 offset:512
	ds_read2_b32 v[36:37], v9 offset0:32 offset1:48
	ds_read2_b32 v[38:39], v9 offset0:64 offset1:80
	;; [unrolled: 1-line block ×3, first 2 shown]
	ds_read_b128 v[26:29], v10 offset:16
	ds_read2_b32 v[42:43], v9 offset0:128 offset1:144
	ds_read_b128 v[30:33], v10 offset:528
	ds_read2_b32 v[44:45], v9 offset0:160 offset1:176
	s_add_u32 s6, s6, 8
	s_addc_u32 s7, s7, 0
	v_cmp_gt_i64_e64 s8, s[16:17], s[6:7]
	s_and_b32 vcc_lo, exec_lo, s8
	s_waitcnt lgkmcnt(8)
	v_fmac_f32_e32 v8, v34, v18
	v_fmac_f32_e32 v4, v35, v18
	s_waitcnt lgkmcnt(7)
	v_fmac_f32_e32 v7, v34, v22
	v_fmac_f32_e32 v6, v35, v22
	ds_read2_b32 v[34:35], v9 offset0:192 offset1:208
	s_waitcnt lgkmcnt(7)
	v_fmac_f32_e32 v8, v36, v19
	v_fmac_f32_e32 v4, v37, v19
	;; [unrolled: 1-line block ×4, first 2 shown]
	ds_read2_b32 v[18:19], v9 offset0:224 offset1:240
	s_waitcnt lgkmcnt(7)
	v_fmac_f32_e32 v8, v38, v20
	v_fmac_f32_e32 v4, v39, v20
	;; [unrolled: 1-line block ×4, first 2 shown]
	s_waitcnt lgkmcnt(0)
	v_fmac_f32_e32 v8, v40, v21
	v_fmac_f32_e32 v4, v41, v21
	;; [unrolled: 1-line block ×4, first 2 shown]
	s_barrier
	v_fmac_f32_e32 v8, v42, v26
	v_fmac_f32_e32 v4, v43, v26
	;; [unrolled: 1-line block ×4, first 2 shown]
	buffer_gl0_inv
	v_fmac_f32_e32 v8, v44, v27
	v_fmac_f32_e32 v4, v45, v27
	;; [unrolled: 1-line block ×12, first 2 shown]
	s_cbranch_vccz .LBB451_12
.LBB451_6:                              ; =>This Inner Loop Header: Depth=1
	v_mov_b32_e32 v18, 0
	s_and_saveexec_b32 s8, s0
	s_cbranch_execz .LBB451_10
; %bb.7:                                ;   in Loop: Header=BB451_6 Depth=1
	v_add_nc_u32_e32 v2, s6, v11
	v_mov_b32_e32 v18, 0
	s_mov_b32 s9, exec_lo
	v_cmpx_gt_u64_e64 s[16:17], v[2:3]
	s_cbranch_execz .LBB451_9
; %bb.8:                                ;   in Loop: Header=BB451_6 Depth=1
	v_mad_u64_u32 v[18:19], null, s10, v2, 0
	v_mad_u64_u32 v[19:20], null, s11, v2, v[19:20]
	v_lshlrev_b64 v[18:19], 2, v[18:19]
	v_add_co_u32 v18, vcc_lo, v16, v18
	v_add_co_ci_u32_e64 v19, null, v17, v19, vcc_lo
	flat_load_dword v18, v[18:19]
.LBB451_9:                              ;   in Loop: Header=BB451_6 Depth=1
	s_or_b32 exec_lo, exec_lo, s9
.LBB451_10:                             ;   in Loop: Header=BB451_6 Depth=1
	s_or_b32 exec_lo, exec_lo, s8
	v_add_nc_u32_e32 v2, s6, v5
	v_mov_b32_e32 v19, 0
	s_waitcnt vmcnt(0) lgkmcnt(0)
	ds_write_b32 v12, v18
	v_cmp_gt_u64_e32 vcc_lo, s[16:17], v[2:3]
	s_and_b32 s9, vcc_lo, s1
	s_and_saveexec_b32 s8, s9
	s_cbranch_execz .LBB451_5
; %bb.11:                               ;   in Loop: Header=BB451_6 Depth=1
	v_mad_u64_u32 v[18:19], null, s4, v2, 0
	v_mad_u64_u32 v[19:20], null, s5, v2, v[19:20]
	v_lshlrev_b64 v[18:19], 2, v[18:19]
	v_add_co_u32 v18, vcc_lo, v14, v18
	v_add_co_ci_u32_e64 v19, null, v15, v19, vcc_lo
	flat_load_dword v19, v[18:19]
	s_branch .LBB451_5
.LBB451_12:
	v_add_nc_u32_e32 v10, s28, v1
	v_add_nc_u32_e32 v0, s27, v0
	s_waitcnt lgkmcnt(0)
	s_lshl_b64 s[0:1], s[20:21], 2
	v_cmp_neq_f32_e64 s6, s24, 0
	s_add_u32 s4, s18, s0
	v_ashrrev_i32_e32 v3, 31, v10
	v_mul_lo_u32 v5, s3, v10
	v_mad_u64_u32 v[1:2], null, s2, v10, 0
	s_addc_u32 s5, s19, s1
	v_mul_lo_u32 v3, s2, v3
	v_cmp_gt_i32_e64 s0, s26, v10
	v_cmp_le_i32_e32 vcc_lo, v0, v10
	v_cndmask_b32_e64 v9, 0, 1, s6
	s_and_b32 s7, s0, vcc_lo
	v_add3_u32 v2, v2, v3, v5
	v_lshlrev_b64 v[2:3], 2, v[1:2]
	v_ashrrev_i32_e32 v1, 31, v0
	v_add_co_u32 v5, s1, s4, v2
	v_add_co_ci_u32_e64 v11, null, s5, v3, s1
	s_and_saveexec_b32 s1, s7
	s_cbranch_execz .LBB451_16
; %bb.13:
	v_lshlrev_b64 v[2:3], 2, v[0:1]
	v_mul_f32_e32 v8, s25, v8
	v_add_co_u32 v2, vcc_lo, v5, v2
	v_add_co_ci_u32_e64 v3, null, v11, v3, vcc_lo
	s_andn2_b32 vcc_lo, exec_lo, s6
	s_cbranch_vccnz .LBB451_15
; %bb.14:
	flat_load_dword v12, v[2:3]
	s_waitcnt vmcnt(0) lgkmcnt(0)
	v_fmac_f32_e32 v8, s24, v12
.LBB451_15:
	flat_store_dword v[2:3], v8
.LBB451_16:
	s_or_b32 exec_lo, exec_lo, s1
	v_add_nc_u32_e32 v2, 16, v0
	v_cmp_le_i32_e32 vcc_lo, v2, v10
	v_ashrrev_i32_e32 v3, 31, v2
	s_and_b32 s0, s0, vcc_lo
	s_and_saveexec_b32 s1, s0
	s_cbranch_execz .LBB451_20
; %bb.17:
	v_lshlrev_b64 v[12:13], 2, v[2:3]
	v_mul_f32_e32 v8, s25, v4
	v_cmp_ne_u32_e32 vcc_lo, 1, v9
	v_add_co_u32 v4, s0, v5, v12
	v_add_co_ci_u32_e64 v5, null, v11, v13, s0
	s_cbranch_vccnz .LBB451_19
; %bb.18:
	flat_load_dword v11, v[4:5]
	s_waitcnt vmcnt(0) lgkmcnt(0)
	v_fmac_f32_e32 v8, s24, v11
.LBB451_19:
	flat_store_dword v[4:5], v8
.LBB451_20:
	s_or_b32 exec_lo, exec_lo, s1
	v_add_nc_u32_e32 v8, 16, v10
	v_ashrrev_i32_e32 v10, 31, v8
	v_mul_lo_u32 v11, s3, v8
	v_mad_u64_u32 v[4:5], null, s2, v8, 0
	v_cmp_gt_i32_e64 s0, s26, v8
	v_mul_lo_u32 v10, s2, v10
	v_cmp_le_i32_e32 vcc_lo, v0, v8
	v_add3_u32 v5, v5, v10, v11
	v_lshlrev_b64 v[4:5], 2, v[4:5]
	v_add_co_u32 v4, s1, s4, v4
	v_add_co_ci_u32_e64 v5, null, s5, v5, s1
	s_and_b32 s1, s0, vcc_lo
	s_and_saveexec_b32 s2, s1
	s_cbranch_execz .LBB451_24
; %bb.21:
	v_lshlrev_b64 v[0:1], 2, v[0:1]
	v_cmp_ne_u32_e32 vcc_lo, 1, v9
	v_mul_f32_e32 v7, s25, v7
	v_add_co_u32 v0, s1, v4, v0
	v_add_co_ci_u32_e64 v1, null, v5, v1, s1
	s_cbranch_vccnz .LBB451_23
; %bb.22:
	flat_load_dword v10, v[0:1]
	s_waitcnt vmcnt(0) lgkmcnt(0)
	v_fmac_f32_e32 v7, s24, v10
.LBB451_23:
	flat_store_dword v[0:1], v7
.LBB451_24:
	s_or_b32 exec_lo, exec_lo, s2
	v_cmp_le_i32_e32 vcc_lo, v2, v8
	s_and_b32 s0, s0, vcc_lo
	s_and_saveexec_b32 s1, s0
	s_cbranch_execz .LBB451_28
; %bb.25:
	v_lshlrev_b64 v[0:1], 2, v[2:3]
	v_cmp_ne_u32_e32 vcc_lo, 1, v9
	v_mul_f32_e32 v2, s25, v6
	v_add_co_u32 v0, s0, v4, v0
	v_add_co_ci_u32_e64 v1, null, v5, v1, s0
	s_cbranch_vccnz .LBB451_27
; %bb.26:
	flat_load_dword v3, v[0:1]
	s_waitcnt vmcnt(0) lgkmcnt(0)
	v_fmac_f32_e32 v2, s24, v3
.LBB451_27:
	flat_store_dword v[0:1], v2
.LBB451_28:
	s_endpgm
	.section	.rodata,"a",@progbits
	.p2align	6, 0x0
	.amdhsa_kernel _ZL29rocblas_internal_gemmt_kernelIlLi16ELi32ELi8ELc78ELc84ELc85ELb0ELb0EffPKPKfPKPfEviT_T9_T10_S7_lS9_S7_lS8_T11_S7_li
		.amdhsa_group_segment_fixed_size 2048
		.amdhsa_private_segment_fixed_size 0
		.amdhsa_kernarg_size 108
		.amdhsa_user_sgpr_count 6
		.amdhsa_user_sgpr_private_segment_buffer 1
		.amdhsa_user_sgpr_dispatch_ptr 0
		.amdhsa_user_sgpr_queue_ptr 0
		.amdhsa_user_sgpr_kernarg_segment_ptr 1
		.amdhsa_user_sgpr_dispatch_id 0
		.amdhsa_user_sgpr_flat_scratch_init 0
		.amdhsa_user_sgpr_private_segment_size 0
		.amdhsa_wavefront_size32 1
		.amdhsa_uses_dynamic_stack 0
		.amdhsa_system_sgpr_private_segment_wavefront_offset 0
		.amdhsa_system_sgpr_workgroup_id_x 1
		.amdhsa_system_sgpr_workgroup_id_y 1
		.amdhsa_system_sgpr_workgroup_id_z 1
		.amdhsa_system_sgpr_workgroup_info 0
		.amdhsa_system_vgpr_workitem_id 1
		.amdhsa_next_free_vgpr 46
		.amdhsa_next_free_sgpr 29
		.amdhsa_reserve_vcc 1
		.amdhsa_reserve_flat_scratch 0
		.amdhsa_float_round_mode_32 0
		.amdhsa_float_round_mode_16_64 0
		.amdhsa_float_denorm_mode_32 3
		.amdhsa_float_denorm_mode_16_64 3
		.amdhsa_dx10_clamp 1
		.amdhsa_ieee_mode 1
		.amdhsa_fp16_overflow 0
		.amdhsa_workgroup_processor_mode 1
		.amdhsa_memory_ordered 1
		.amdhsa_forward_progress 1
		.amdhsa_shared_vgpr_count 0
		.amdhsa_exception_fp_ieee_invalid_op 0
		.amdhsa_exception_fp_denorm_src 0
		.amdhsa_exception_fp_ieee_div_zero 0
		.amdhsa_exception_fp_ieee_overflow 0
		.amdhsa_exception_fp_ieee_underflow 0
		.amdhsa_exception_fp_ieee_inexact 0
		.amdhsa_exception_int_div_zero 0
	.end_amdhsa_kernel
	.section	.text._ZL29rocblas_internal_gemmt_kernelIlLi16ELi32ELi8ELc78ELc84ELc85ELb0ELb0EffPKPKfPKPfEviT_T9_T10_S7_lS9_S7_lS8_T11_S7_li,"axG",@progbits,_ZL29rocblas_internal_gemmt_kernelIlLi16ELi32ELi8ELc78ELc84ELc85ELb0ELb0EffPKPKfPKPfEviT_T9_T10_S7_lS9_S7_lS8_T11_S7_li,comdat
.Lfunc_end451:
	.size	_ZL29rocblas_internal_gemmt_kernelIlLi16ELi32ELi8ELc78ELc84ELc85ELb0ELb0EffPKPKfPKPfEviT_T9_T10_S7_lS9_S7_lS8_T11_S7_li, .Lfunc_end451-_ZL29rocblas_internal_gemmt_kernelIlLi16ELi32ELi8ELc78ELc84ELc85ELb0ELb0EffPKPKfPKPfEviT_T9_T10_S7_lS9_S7_lS8_T11_S7_li
                                        ; -- End function
	.set _ZL29rocblas_internal_gemmt_kernelIlLi16ELi32ELi8ELc78ELc84ELc85ELb0ELb0EffPKPKfPKPfEviT_T9_T10_S7_lS9_S7_lS8_T11_S7_li.num_vgpr, 46
	.set _ZL29rocblas_internal_gemmt_kernelIlLi16ELi32ELi8ELc78ELc84ELc85ELb0ELb0EffPKPKfPKPfEviT_T9_T10_S7_lS9_S7_lS8_T11_S7_li.num_agpr, 0
	.set _ZL29rocblas_internal_gemmt_kernelIlLi16ELi32ELi8ELc78ELc84ELc85ELb0ELb0EffPKPKfPKPfEviT_T9_T10_S7_lS9_S7_lS8_T11_S7_li.numbered_sgpr, 29
	.set _ZL29rocblas_internal_gemmt_kernelIlLi16ELi32ELi8ELc78ELc84ELc85ELb0ELb0EffPKPKfPKPfEviT_T9_T10_S7_lS9_S7_lS8_T11_S7_li.num_named_barrier, 0
	.set _ZL29rocblas_internal_gemmt_kernelIlLi16ELi32ELi8ELc78ELc84ELc85ELb0ELb0EffPKPKfPKPfEviT_T9_T10_S7_lS9_S7_lS8_T11_S7_li.private_seg_size, 0
	.set _ZL29rocblas_internal_gemmt_kernelIlLi16ELi32ELi8ELc78ELc84ELc85ELb0ELb0EffPKPKfPKPfEviT_T9_T10_S7_lS9_S7_lS8_T11_S7_li.uses_vcc, 1
	.set _ZL29rocblas_internal_gemmt_kernelIlLi16ELi32ELi8ELc78ELc84ELc85ELb0ELb0EffPKPKfPKPfEviT_T9_T10_S7_lS9_S7_lS8_T11_S7_li.uses_flat_scratch, 0
	.set _ZL29rocblas_internal_gemmt_kernelIlLi16ELi32ELi8ELc78ELc84ELc85ELb0ELb0EffPKPKfPKPfEviT_T9_T10_S7_lS9_S7_lS8_T11_S7_li.has_dyn_sized_stack, 0
	.set _ZL29rocblas_internal_gemmt_kernelIlLi16ELi32ELi8ELc78ELc84ELc85ELb0ELb0EffPKPKfPKPfEviT_T9_T10_S7_lS9_S7_lS8_T11_S7_li.has_recursion, 0
	.set _ZL29rocblas_internal_gemmt_kernelIlLi16ELi32ELi8ELc78ELc84ELc85ELb0ELb0EffPKPKfPKPfEviT_T9_T10_S7_lS9_S7_lS8_T11_S7_li.has_indirect_call, 0
	.section	.AMDGPU.csdata,"",@progbits
; Kernel info:
; codeLenInByte = 1456
; TotalNumSgprs: 31
; NumVgprs: 46
; ScratchSize: 0
; MemoryBound: 0
; FloatMode: 240
; IeeeMode: 1
; LDSByteSize: 2048 bytes/workgroup (compile time only)
; SGPRBlocks: 0
; VGPRBlocks: 5
; NumSGPRsForWavesPerEU: 31
; NumVGPRsForWavesPerEU: 46
; Occupancy: 16
; WaveLimiterHint : 1
; COMPUTE_PGM_RSRC2:SCRATCH_EN: 0
; COMPUTE_PGM_RSRC2:USER_SGPR: 6
; COMPUTE_PGM_RSRC2:TRAP_HANDLER: 0
; COMPUTE_PGM_RSRC2:TGID_X_EN: 1
; COMPUTE_PGM_RSRC2:TGID_Y_EN: 1
; COMPUTE_PGM_RSRC2:TGID_Z_EN: 1
; COMPUTE_PGM_RSRC2:TIDIG_COMP_CNT: 1
	.section	.text._ZL29rocblas_internal_gemmt_kernelIlLi16ELi32ELi8ELc78ELc67ELc85ELb0ELb0EffPKPKfPKPfEviT_T9_T10_S7_lS9_S7_lS8_T11_S7_li,"axG",@progbits,_ZL29rocblas_internal_gemmt_kernelIlLi16ELi32ELi8ELc78ELc67ELc85ELb0ELb0EffPKPKfPKPfEviT_T9_T10_S7_lS9_S7_lS8_T11_S7_li,comdat
	.globl	_ZL29rocblas_internal_gemmt_kernelIlLi16ELi32ELi8ELc78ELc67ELc85ELb0ELb0EffPKPKfPKPfEviT_T9_T10_S7_lS9_S7_lS8_T11_S7_li ; -- Begin function _ZL29rocblas_internal_gemmt_kernelIlLi16ELi32ELi8ELc78ELc67ELc85ELb0ELb0EffPKPKfPKPfEviT_T9_T10_S7_lS9_S7_lS8_T11_S7_li
	.p2align	8
	.type	_ZL29rocblas_internal_gemmt_kernelIlLi16ELi32ELi8ELc78ELc67ELc85ELb0ELb0EffPKPKfPKPfEviT_T9_T10_S7_lS9_S7_lS8_T11_S7_li,@function
_ZL29rocblas_internal_gemmt_kernelIlLi16ELi32ELi8ELc78ELc67ELc85ELb0ELb0EffPKPKfPKPfEviT_T9_T10_S7_lS9_S7_lS8_T11_S7_li: ; @_ZL29rocblas_internal_gemmt_kernelIlLi16ELi32ELi8ELc78ELc67ELc85ELb0ELb0EffPKPKfPKPfEviT_T9_T10_S7_lS9_S7_lS8_T11_S7_li
; %bb.0:
	s_clause 0x2
	s_load_dword s24, s[4:5], 0x48
	s_load_dwordx2 s[16:17], s[4:5], 0x8
	s_load_dword s25, s[4:5], 0x10
	s_waitcnt lgkmcnt(0)
	v_cmp_neq_f32_e64 s0, s24, 1.0
	s_and_b32 vcc_lo, exec_lo, s0
	s_cbranch_vccnz .LBB452_2
; %bb.1:
	v_cmp_neq_f32_e64 s0, s25, 0
	s_cmp_lg_u64 s[16:17], 0
	s_cselect_b32 s1, -1, 0
	s_and_b32 s0, s1, s0
.LBB452_2:
	s_andn2_b32 vcc_lo, exec_lo, s0
	s_cbranch_vccnz .LBB452_28
; %bb.3:
	s_clause 0x1
	s_load_dwordx4 s[0:3], s[4:5], 0x50
	s_load_dword s26, s[4:5], 0x0
	s_mov_b32 s9, 0
	v_mov_b32_e32 v8, 0
	s_lshl_b64 s[22:23], s[8:9], 3
	v_mov_b32_e32 v4, 0
	v_mov_b32_e32 v7, 0
	;; [unrolled: 1-line block ×3, first 2 shown]
	s_waitcnt lgkmcnt(0)
	s_add_u32 s0, s0, s22
	s_addc_u32 s1, s1, s23
	s_load_dwordx2 s[20:21], s[4:5], 0x60
	s_load_dwordx2 s[18:19], s[0:1], 0x0
	v_cmp_lt_i64_e64 s0, s[16:17], 1
	v_cmp_eq_f32_e64 s1, s25, 0
	s_lshl_b32 s27, s6, 5
	s_lshl_b32 s28, s7, 5
	s_or_b32 s0, s1, s0
	s_and_b32 vcc_lo, exec_lo, s0
	s_cbranch_vccnz .LBB452_12
; %bb.4:
	s_clause 0x1
	s_load_dwordx8 s[8:15], s[4:5], 0x18
	s_load_dwordx4 s[4:7], s[4:5], 0x38
	v_lshl_add_u32 v2, v1, 4, v0
	v_and_b32_e32 v5, 7, v0
	v_lshlrev_b32_e32 v9, 2, v0
	v_lshl_add_u32 v10, v1, 5, 0x400
	v_mov_b32_e32 v3, 0
	v_lshrrev_b32_e32 v8, 3, v2
	v_and_b32_e32 v12, 31, v2
	v_lshlrev_b32_e32 v16, 2, v5
	v_lshrrev_b32_e32 v11, 5, v2
	v_mov_b32_e32 v6, 0
	v_add_nc_u32_e32 v13, s28, v8
	v_or_b32_e32 v15, s27, v12
	v_lshl_or_b32 v8, v8, 5, v16
	v_lshlrev_b32_e32 v2, 2, v12
	v_mov_b32_e32 v7, 0
	v_ashrrev_i32_e32 v14, 31, v13
	v_ashrrev_i32_e32 v16, 31, v15
	v_mov_b32_e32 v4, 0
	s_waitcnt lgkmcnt(0)
	s_add_u32 s0, s14, s22
	s_addc_u32 s1, s15, s23
	s_lshl_b64 s[6:7], s[6:7], 2
	s_load_dwordx2 s[0:1], s[0:1], 0x0
	v_lshlrev_b64 v[17:18], 2, v[13:14]
	v_lshlrev_b64 v[19:20], 2, v[15:16]
	v_lshl_or_b32 v12, v11, 7, v2
	s_waitcnt lgkmcnt(0)
	s_add_u32 s14, s0, s6
	s_addc_u32 s15, s1, s7
	s_add_u32 s0, s8, s22
	s_addc_u32 s1, s9, s23
	s_lshl_b64 s[8:9], s[12:13], 2
	s_load_dwordx2 s[6:7], s[0:1], 0x0
	v_add_co_u32 v14, vcc_lo, s14, v17
	v_cmp_gt_i32_e64 s0, s26, v15
	v_add_co_ci_u32_e64 v15, null, s15, v18, vcc_lo
	v_cmp_gt_i32_e64 s1, s26, v13
	v_add_nc_u32_e32 v13, 0x400, v8
	v_mov_b32_e32 v8, 0
	s_waitcnt lgkmcnt(0)
	s_add_u32 s6, s6, s8
	s_addc_u32 s7, s7, s9
	v_add_co_u32 v16, vcc_lo, s6, v19
	v_add_co_ci_u32_e64 v17, null, s7, v20, vcc_lo
	s_mov_b64 s[6:7], 0
	s_branch .LBB452_6
.LBB452_5:                              ;   in Loop: Header=BB452_6 Depth=1
	s_or_b32 exec_lo, exec_lo, s8
	s_waitcnt vmcnt(0) lgkmcnt(0)
	ds_write_b32 v13, v19
	s_waitcnt lgkmcnt(0)
	s_barrier
	buffer_gl0_inv
	ds_read_b128 v[18:21], v10
	ds_read2_b32 v[34:35], v9 offset1:16
	ds_read_b128 v[22:25], v10 offset:512
	ds_read2_b32 v[36:37], v9 offset0:32 offset1:48
	ds_read2_b32 v[38:39], v9 offset0:64 offset1:80
	;; [unrolled: 1-line block ×3, first 2 shown]
	ds_read_b128 v[26:29], v10 offset:16
	ds_read2_b32 v[42:43], v9 offset0:128 offset1:144
	ds_read_b128 v[30:33], v10 offset:528
	ds_read2_b32 v[44:45], v9 offset0:160 offset1:176
	s_add_u32 s6, s6, 8
	s_addc_u32 s7, s7, 0
	v_cmp_gt_i64_e64 s8, s[16:17], s[6:7]
	s_and_b32 vcc_lo, exec_lo, s8
	s_waitcnt lgkmcnt(8)
	v_fmac_f32_e32 v8, v34, v18
	v_fmac_f32_e32 v4, v35, v18
	s_waitcnt lgkmcnt(7)
	v_fmac_f32_e32 v7, v34, v22
	v_fmac_f32_e32 v6, v35, v22
	ds_read2_b32 v[34:35], v9 offset0:192 offset1:208
	s_waitcnt lgkmcnt(7)
	v_fmac_f32_e32 v8, v36, v19
	v_fmac_f32_e32 v4, v37, v19
	;; [unrolled: 1-line block ×4, first 2 shown]
	ds_read2_b32 v[18:19], v9 offset0:224 offset1:240
	s_waitcnt lgkmcnt(7)
	v_fmac_f32_e32 v8, v38, v20
	v_fmac_f32_e32 v4, v39, v20
	;; [unrolled: 1-line block ×4, first 2 shown]
	s_waitcnt lgkmcnt(0)
	v_fmac_f32_e32 v8, v40, v21
	v_fmac_f32_e32 v4, v41, v21
	;; [unrolled: 1-line block ×4, first 2 shown]
	s_barrier
	v_fmac_f32_e32 v8, v42, v26
	v_fmac_f32_e32 v4, v43, v26
	v_fmac_f32_e32 v7, v42, v30
	v_fmac_f32_e32 v6, v43, v30
	buffer_gl0_inv
	v_fmac_f32_e32 v8, v44, v27
	v_fmac_f32_e32 v4, v45, v27
	;; [unrolled: 1-line block ×12, first 2 shown]
	s_cbranch_vccz .LBB452_12
.LBB452_6:                              ; =>This Inner Loop Header: Depth=1
	v_mov_b32_e32 v18, 0
	s_and_saveexec_b32 s8, s0
	s_cbranch_execz .LBB452_10
; %bb.7:                                ;   in Loop: Header=BB452_6 Depth=1
	v_add_nc_u32_e32 v2, s6, v11
	v_mov_b32_e32 v18, 0
	s_mov_b32 s9, exec_lo
	v_cmpx_gt_u64_e64 s[16:17], v[2:3]
	s_cbranch_execz .LBB452_9
; %bb.8:                                ;   in Loop: Header=BB452_6 Depth=1
	v_mad_u64_u32 v[18:19], null, s10, v2, 0
	v_mad_u64_u32 v[19:20], null, s11, v2, v[19:20]
	v_lshlrev_b64 v[18:19], 2, v[18:19]
	v_add_co_u32 v18, vcc_lo, v16, v18
	v_add_co_ci_u32_e64 v19, null, v17, v19, vcc_lo
	flat_load_dword v18, v[18:19]
.LBB452_9:                              ;   in Loop: Header=BB452_6 Depth=1
	s_or_b32 exec_lo, exec_lo, s9
.LBB452_10:                             ;   in Loop: Header=BB452_6 Depth=1
	s_or_b32 exec_lo, exec_lo, s8
	v_add_nc_u32_e32 v2, s6, v5
	v_mov_b32_e32 v19, 0
	s_waitcnt vmcnt(0) lgkmcnt(0)
	ds_write_b32 v12, v18
	v_cmp_gt_u64_e32 vcc_lo, s[16:17], v[2:3]
	s_and_b32 s9, vcc_lo, s1
	s_and_saveexec_b32 s8, s9
	s_cbranch_execz .LBB452_5
; %bb.11:                               ;   in Loop: Header=BB452_6 Depth=1
	v_mad_u64_u32 v[18:19], null, s4, v2, 0
	v_mad_u64_u32 v[19:20], null, s5, v2, v[19:20]
	v_lshlrev_b64 v[18:19], 2, v[18:19]
	v_add_co_u32 v18, vcc_lo, v14, v18
	v_add_co_ci_u32_e64 v19, null, v15, v19, vcc_lo
	flat_load_dword v19, v[18:19]
	s_branch .LBB452_5
.LBB452_12:
	v_add_nc_u32_e32 v10, s28, v1
	v_add_nc_u32_e32 v0, s27, v0
	s_waitcnt lgkmcnt(0)
	s_lshl_b64 s[0:1], s[20:21], 2
	v_cmp_neq_f32_e64 s6, s24, 0
	s_add_u32 s4, s18, s0
	v_ashrrev_i32_e32 v3, 31, v10
	v_mul_lo_u32 v5, s3, v10
	v_mad_u64_u32 v[1:2], null, s2, v10, 0
	s_addc_u32 s5, s19, s1
	v_mul_lo_u32 v3, s2, v3
	v_cmp_gt_i32_e64 s0, s26, v10
	v_cmp_le_i32_e32 vcc_lo, v0, v10
	v_cndmask_b32_e64 v9, 0, 1, s6
	s_and_b32 s7, s0, vcc_lo
	v_add3_u32 v2, v2, v3, v5
	v_lshlrev_b64 v[2:3], 2, v[1:2]
	v_ashrrev_i32_e32 v1, 31, v0
	v_add_co_u32 v5, s1, s4, v2
	v_add_co_ci_u32_e64 v11, null, s5, v3, s1
	s_and_saveexec_b32 s1, s7
	s_cbranch_execz .LBB452_16
; %bb.13:
	v_lshlrev_b64 v[2:3], 2, v[0:1]
	v_mul_f32_e32 v8, s25, v8
	v_add_co_u32 v2, vcc_lo, v5, v2
	v_add_co_ci_u32_e64 v3, null, v11, v3, vcc_lo
	s_andn2_b32 vcc_lo, exec_lo, s6
	s_cbranch_vccnz .LBB452_15
; %bb.14:
	flat_load_dword v12, v[2:3]
	s_waitcnt vmcnt(0) lgkmcnt(0)
	v_fmac_f32_e32 v8, s24, v12
.LBB452_15:
	flat_store_dword v[2:3], v8
.LBB452_16:
	s_or_b32 exec_lo, exec_lo, s1
	v_add_nc_u32_e32 v2, 16, v0
	v_cmp_le_i32_e32 vcc_lo, v2, v10
	v_ashrrev_i32_e32 v3, 31, v2
	s_and_b32 s0, s0, vcc_lo
	s_and_saveexec_b32 s1, s0
	s_cbranch_execz .LBB452_20
; %bb.17:
	v_lshlrev_b64 v[12:13], 2, v[2:3]
	v_mul_f32_e32 v8, s25, v4
	v_cmp_ne_u32_e32 vcc_lo, 1, v9
	v_add_co_u32 v4, s0, v5, v12
	v_add_co_ci_u32_e64 v5, null, v11, v13, s0
	s_cbranch_vccnz .LBB452_19
; %bb.18:
	flat_load_dword v11, v[4:5]
	s_waitcnt vmcnt(0) lgkmcnt(0)
	v_fmac_f32_e32 v8, s24, v11
.LBB452_19:
	flat_store_dword v[4:5], v8
.LBB452_20:
	s_or_b32 exec_lo, exec_lo, s1
	v_add_nc_u32_e32 v8, 16, v10
	v_ashrrev_i32_e32 v10, 31, v8
	v_mul_lo_u32 v11, s3, v8
	v_mad_u64_u32 v[4:5], null, s2, v8, 0
	v_cmp_gt_i32_e64 s0, s26, v8
	v_mul_lo_u32 v10, s2, v10
	v_cmp_le_i32_e32 vcc_lo, v0, v8
	v_add3_u32 v5, v5, v10, v11
	v_lshlrev_b64 v[4:5], 2, v[4:5]
	v_add_co_u32 v4, s1, s4, v4
	v_add_co_ci_u32_e64 v5, null, s5, v5, s1
	s_and_b32 s1, s0, vcc_lo
	s_and_saveexec_b32 s2, s1
	s_cbranch_execz .LBB452_24
; %bb.21:
	v_lshlrev_b64 v[0:1], 2, v[0:1]
	v_cmp_ne_u32_e32 vcc_lo, 1, v9
	v_mul_f32_e32 v7, s25, v7
	v_add_co_u32 v0, s1, v4, v0
	v_add_co_ci_u32_e64 v1, null, v5, v1, s1
	s_cbranch_vccnz .LBB452_23
; %bb.22:
	flat_load_dword v10, v[0:1]
	s_waitcnt vmcnt(0) lgkmcnt(0)
	v_fmac_f32_e32 v7, s24, v10
.LBB452_23:
	flat_store_dword v[0:1], v7
.LBB452_24:
	s_or_b32 exec_lo, exec_lo, s2
	v_cmp_le_i32_e32 vcc_lo, v2, v8
	s_and_b32 s0, s0, vcc_lo
	s_and_saveexec_b32 s1, s0
	s_cbranch_execz .LBB452_28
; %bb.25:
	v_lshlrev_b64 v[0:1], 2, v[2:3]
	v_cmp_ne_u32_e32 vcc_lo, 1, v9
	v_mul_f32_e32 v2, s25, v6
	v_add_co_u32 v0, s0, v4, v0
	v_add_co_ci_u32_e64 v1, null, v5, v1, s0
	s_cbranch_vccnz .LBB452_27
; %bb.26:
	flat_load_dword v3, v[0:1]
	s_waitcnt vmcnt(0) lgkmcnt(0)
	v_fmac_f32_e32 v2, s24, v3
.LBB452_27:
	flat_store_dword v[0:1], v2
.LBB452_28:
	s_endpgm
	.section	.rodata,"a",@progbits
	.p2align	6, 0x0
	.amdhsa_kernel _ZL29rocblas_internal_gemmt_kernelIlLi16ELi32ELi8ELc78ELc67ELc85ELb0ELb0EffPKPKfPKPfEviT_T9_T10_S7_lS9_S7_lS8_T11_S7_li
		.amdhsa_group_segment_fixed_size 2048
		.amdhsa_private_segment_fixed_size 0
		.amdhsa_kernarg_size 108
		.amdhsa_user_sgpr_count 6
		.amdhsa_user_sgpr_private_segment_buffer 1
		.amdhsa_user_sgpr_dispatch_ptr 0
		.amdhsa_user_sgpr_queue_ptr 0
		.amdhsa_user_sgpr_kernarg_segment_ptr 1
		.amdhsa_user_sgpr_dispatch_id 0
		.amdhsa_user_sgpr_flat_scratch_init 0
		.amdhsa_user_sgpr_private_segment_size 0
		.amdhsa_wavefront_size32 1
		.amdhsa_uses_dynamic_stack 0
		.amdhsa_system_sgpr_private_segment_wavefront_offset 0
		.amdhsa_system_sgpr_workgroup_id_x 1
		.amdhsa_system_sgpr_workgroup_id_y 1
		.amdhsa_system_sgpr_workgroup_id_z 1
		.amdhsa_system_sgpr_workgroup_info 0
		.amdhsa_system_vgpr_workitem_id 1
		.amdhsa_next_free_vgpr 46
		.amdhsa_next_free_sgpr 29
		.amdhsa_reserve_vcc 1
		.amdhsa_reserve_flat_scratch 0
		.amdhsa_float_round_mode_32 0
		.amdhsa_float_round_mode_16_64 0
		.amdhsa_float_denorm_mode_32 3
		.amdhsa_float_denorm_mode_16_64 3
		.amdhsa_dx10_clamp 1
		.amdhsa_ieee_mode 1
		.amdhsa_fp16_overflow 0
		.amdhsa_workgroup_processor_mode 1
		.amdhsa_memory_ordered 1
		.amdhsa_forward_progress 1
		.amdhsa_shared_vgpr_count 0
		.amdhsa_exception_fp_ieee_invalid_op 0
		.amdhsa_exception_fp_denorm_src 0
		.amdhsa_exception_fp_ieee_div_zero 0
		.amdhsa_exception_fp_ieee_overflow 0
		.amdhsa_exception_fp_ieee_underflow 0
		.amdhsa_exception_fp_ieee_inexact 0
		.amdhsa_exception_int_div_zero 0
	.end_amdhsa_kernel
	.section	.text._ZL29rocblas_internal_gemmt_kernelIlLi16ELi32ELi8ELc78ELc67ELc85ELb0ELb0EffPKPKfPKPfEviT_T9_T10_S7_lS9_S7_lS8_T11_S7_li,"axG",@progbits,_ZL29rocblas_internal_gemmt_kernelIlLi16ELi32ELi8ELc78ELc67ELc85ELb0ELb0EffPKPKfPKPfEviT_T9_T10_S7_lS9_S7_lS8_T11_S7_li,comdat
.Lfunc_end452:
	.size	_ZL29rocblas_internal_gemmt_kernelIlLi16ELi32ELi8ELc78ELc67ELc85ELb0ELb0EffPKPKfPKPfEviT_T9_T10_S7_lS9_S7_lS8_T11_S7_li, .Lfunc_end452-_ZL29rocblas_internal_gemmt_kernelIlLi16ELi32ELi8ELc78ELc67ELc85ELb0ELb0EffPKPKfPKPfEviT_T9_T10_S7_lS9_S7_lS8_T11_S7_li
                                        ; -- End function
	.set _ZL29rocblas_internal_gemmt_kernelIlLi16ELi32ELi8ELc78ELc67ELc85ELb0ELb0EffPKPKfPKPfEviT_T9_T10_S7_lS9_S7_lS8_T11_S7_li.num_vgpr, 46
	.set _ZL29rocblas_internal_gemmt_kernelIlLi16ELi32ELi8ELc78ELc67ELc85ELb0ELb0EffPKPKfPKPfEviT_T9_T10_S7_lS9_S7_lS8_T11_S7_li.num_agpr, 0
	.set _ZL29rocblas_internal_gemmt_kernelIlLi16ELi32ELi8ELc78ELc67ELc85ELb0ELb0EffPKPKfPKPfEviT_T9_T10_S7_lS9_S7_lS8_T11_S7_li.numbered_sgpr, 29
	.set _ZL29rocblas_internal_gemmt_kernelIlLi16ELi32ELi8ELc78ELc67ELc85ELb0ELb0EffPKPKfPKPfEviT_T9_T10_S7_lS9_S7_lS8_T11_S7_li.num_named_barrier, 0
	.set _ZL29rocblas_internal_gemmt_kernelIlLi16ELi32ELi8ELc78ELc67ELc85ELb0ELb0EffPKPKfPKPfEviT_T9_T10_S7_lS9_S7_lS8_T11_S7_li.private_seg_size, 0
	.set _ZL29rocblas_internal_gemmt_kernelIlLi16ELi32ELi8ELc78ELc67ELc85ELb0ELb0EffPKPKfPKPfEviT_T9_T10_S7_lS9_S7_lS8_T11_S7_li.uses_vcc, 1
	.set _ZL29rocblas_internal_gemmt_kernelIlLi16ELi32ELi8ELc78ELc67ELc85ELb0ELb0EffPKPKfPKPfEviT_T9_T10_S7_lS9_S7_lS8_T11_S7_li.uses_flat_scratch, 0
	.set _ZL29rocblas_internal_gemmt_kernelIlLi16ELi32ELi8ELc78ELc67ELc85ELb0ELb0EffPKPKfPKPfEviT_T9_T10_S7_lS9_S7_lS8_T11_S7_li.has_dyn_sized_stack, 0
	.set _ZL29rocblas_internal_gemmt_kernelIlLi16ELi32ELi8ELc78ELc67ELc85ELb0ELb0EffPKPKfPKPfEviT_T9_T10_S7_lS9_S7_lS8_T11_S7_li.has_recursion, 0
	.set _ZL29rocblas_internal_gemmt_kernelIlLi16ELi32ELi8ELc78ELc67ELc85ELb0ELb0EffPKPKfPKPfEviT_T9_T10_S7_lS9_S7_lS8_T11_S7_li.has_indirect_call, 0
	.section	.AMDGPU.csdata,"",@progbits
; Kernel info:
; codeLenInByte = 1456
; TotalNumSgprs: 31
; NumVgprs: 46
; ScratchSize: 0
; MemoryBound: 0
; FloatMode: 240
; IeeeMode: 1
; LDSByteSize: 2048 bytes/workgroup (compile time only)
; SGPRBlocks: 0
; VGPRBlocks: 5
; NumSGPRsForWavesPerEU: 31
; NumVGPRsForWavesPerEU: 46
; Occupancy: 16
; WaveLimiterHint : 1
; COMPUTE_PGM_RSRC2:SCRATCH_EN: 0
; COMPUTE_PGM_RSRC2:USER_SGPR: 6
; COMPUTE_PGM_RSRC2:TRAP_HANDLER: 0
; COMPUTE_PGM_RSRC2:TGID_X_EN: 1
; COMPUTE_PGM_RSRC2:TGID_Y_EN: 1
; COMPUTE_PGM_RSRC2:TGID_Z_EN: 1
; COMPUTE_PGM_RSRC2:TIDIG_COMP_CNT: 1
	.section	.text._ZL29rocblas_internal_gemmt_kernelIlLi16ELi32ELi8ELc84ELc78ELc85ELb0ELb0EffPKPKfPKPfEviT_T9_T10_S7_lS9_S7_lS8_T11_S7_li,"axG",@progbits,_ZL29rocblas_internal_gemmt_kernelIlLi16ELi32ELi8ELc84ELc78ELc85ELb0ELb0EffPKPKfPKPfEviT_T9_T10_S7_lS9_S7_lS8_T11_S7_li,comdat
	.globl	_ZL29rocblas_internal_gemmt_kernelIlLi16ELi32ELi8ELc84ELc78ELc85ELb0ELb0EffPKPKfPKPfEviT_T9_T10_S7_lS9_S7_lS8_T11_S7_li ; -- Begin function _ZL29rocblas_internal_gemmt_kernelIlLi16ELi32ELi8ELc84ELc78ELc85ELb0ELb0EffPKPKfPKPfEviT_T9_T10_S7_lS9_S7_lS8_T11_S7_li
	.p2align	8
	.type	_ZL29rocblas_internal_gemmt_kernelIlLi16ELi32ELi8ELc84ELc78ELc85ELb0ELb0EffPKPKfPKPfEviT_T9_T10_S7_lS9_S7_lS8_T11_S7_li,@function
_ZL29rocblas_internal_gemmt_kernelIlLi16ELi32ELi8ELc84ELc78ELc85ELb0ELb0EffPKPKfPKPfEviT_T9_T10_S7_lS9_S7_lS8_T11_S7_li: ; @_ZL29rocblas_internal_gemmt_kernelIlLi16ELi32ELi8ELc84ELc78ELc85ELb0ELb0EffPKPKfPKPfEviT_T9_T10_S7_lS9_S7_lS8_T11_S7_li
; %bb.0:
	s_clause 0x2
	s_load_dword s24, s[4:5], 0x48
	s_load_dwordx2 s[16:17], s[4:5], 0x8
	s_load_dword s25, s[4:5], 0x10
	s_waitcnt lgkmcnt(0)
	v_cmp_neq_f32_e64 s0, s24, 1.0
	s_and_b32 vcc_lo, exec_lo, s0
	s_cbranch_vccnz .LBB453_2
; %bb.1:
	v_cmp_neq_f32_e64 s0, s25, 0
	s_cmp_lg_u64 s[16:17], 0
	s_cselect_b32 s1, -1, 0
	s_and_b32 s0, s1, s0
.LBB453_2:
	s_andn2_b32 vcc_lo, exec_lo, s0
	s_cbranch_vccnz .LBB453_28
; %bb.3:
	s_clause 0x1
	s_load_dwordx4 s[0:3], s[4:5], 0x50
	s_load_dword s26, s[4:5], 0x0
	s_mov_b32 s9, 0
	v_mov_b32_e32 v8, 0
	s_lshl_b64 s[22:23], s[8:9], 3
	v_mov_b32_e32 v4, 0
	v_mov_b32_e32 v7, 0
	;; [unrolled: 1-line block ×3, first 2 shown]
	s_waitcnt lgkmcnt(0)
	s_add_u32 s0, s0, s22
	s_addc_u32 s1, s1, s23
	s_load_dwordx2 s[20:21], s[4:5], 0x60
	s_load_dwordx2 s[18:19], s[0:1], 0x0
	v_cmp_lt_i64_e64 s0, s[16:17], 1
	v_cmp_eq_f32_e64 s1, s25, 0
	s_lshl_b32 s27, s6, 5
	s_lshl_b32 s28, s7, 5
	s_or_b32 s0, s1, s0
	s_and_b32 vcc_lo, exec_lo, s0
	s_cbranch_vccnz .LBB453_12
; %bb.4:
	s_clause 0x1
	s_load_dwordx8 s[8:15], s[4:5], 0x18
	s_load_dwordx4 s[4:7], s[4:5], 0x38
	v_lshl_add_u32 v2, v1, 4, v0
	v_and_b32_e32 v5, 7, v0
	v_lshlrev_b32_e32 v9, 2, v0
	v_lshl_add_u32 v10, v1, 5, 0x400
	v_mov_b32_e32 v3, 0
	v_lshrrev_b32_e32 v8, 3, v2
	v_and_b32_e32 v14, 31, v2
	v_mov_b32_e32 v6, 0
	v_mov_b32_e32 v7, 0
	;; [unrolled: 1-line block ×3, first 2 shown]
	v_add_nc_u32_e32 v18, s28, v8
	v_or_b32_e32 v16, s27, v14
	v_lshlrev_b32_e32 v20, 2, v14
	v_ashrrev_i32_e32 v11, 31, v18
	s_waitcnt lgkmcnt(0)
	s_add_u32 s0, s14, s22
	s_addc_u32 s1, s15, s23
	s_lshl_b64 s[6:7], s[6:7], 2
	s_load_dwordx2 s[0:1], s[0:1], 0x0
	v_mul_lo_u32 v17, s4, v11
	v_mul_lo_u32 v19, s5, v18
	v_mad_u64_u32 v[12:13], null, s4, v18, 0
	v_mul_lo_u32 v21, s11, v16
	v_mad_u64_u32 v[14:15], null, s10, v16, 0
	v_lshrrev_b32_e32 v11, 5, v2
	v_lshlrev_b32_e32 v2, 2, v5
	v_add3_u32 v13, v13, v17, v19
	v_lshl_or_b32 v2, v8, 5, v2
	v_mov_b32_e32 v8, 0
	s_waitcnt lgkmcnt(0)
	s_add_u32 s6, s0, s6
	s_addc_u32 s7, s1, s7
	s_add_u32 s0, s8, s22
	s_addc_u32 s1, s9, s23
	s_lshl_b64 s[4:5], s[12:13], 2
	s_load_dwordx2 s[0:1], s[0:1], 0x0
	s_waitcnt lgkmcnt(0)
	s_add_u32 s4, s0, s4
	s_addc_u32 s5, s1, s5
	s_ashr_i32 s0, s27, 31
	s_mul_i32 s1, s10, s0
	v_cmp_gt_i32_e64 s0, s26, v16
	v_add3_u32 v15, v15, s1, v21
	v_lshlrev_b64 v[16:17], 2, v[12:13]
	v_cmp_gt_i32_e64 s1, s26, v18
	v_lshl_or_b32 v12, v11, 7, v20
	v_add_nc_u32_e32 v13, 0x400, v2
	v_lshlrev_b64 v[18:19], 2, v[14:15]
	v_add_co_u32 v14, vcc_lo, s6, v16
	v_add_co_ci_u32_e64 v15, null, s7, v17, vcc_lo
	v_add_co_u32 v16, vcc_lo, s4, v18
	v_add_co_ci_u32_e64 v17, null, s5, v19, vcc_lo
	s_mov_b64 s[4:5], 0
	s_branch .LBB453_6
.LBB453_5:                              ;   in Loop: Header=BB453_6 Depth=1
	s_or_b32 exec_lo, exec_lo, s6
	s_waitcnt vmcnt(0) lgkmcnt(0)
	ds_write_b32 v13, v19
	s_waitcnt lgkmcnt(0)
	s_barrier
	buffer_gl0_inv
	ds_read_b128 v[18:21], v10
	ds_read2_b32 v[34:35], v9 offset1:16
	ds_read_b128 v[22:25], v10 offset:512
	ds_read2_b32 v[36:37], v9 offset0:32 offset1:48
	ds_read2_b32 v[38:39], v9 offset0:64 offset1:80
	;; [unrolled: 1-line block ×3, first 2 shown]
	ds_read_b128 v[26:29], v10 offset:16
	ds_read2_b32 v[42:43], v9 offset0:128 offset1:144
	ds_read_b128 v[30:33], v10 offset:528
	ds_read2_b32 v[44:45], v9 offset0:160 offset1:176
	s_add_u32 s4, s4, 8
	s_addc_u32 s5, s5, 0
	v_cmp_gt_i64_e64 s6, s[16:17], s[4:5]
	s_and_b32 vcc_lo, exec_lo, s6
	s_waitcnt lgkmcnt(8)
	v_fmac_f32_e32 v8, v34, v18
	v_fmac_f32_e32 v4, v35, v18
	s_waitcnt lgkmcnt(7)
	v_fmac_f32_e32 v7, v34, v22
	v_fmac_f32_e32 v6, v35, v22
	ds_read2_b32 v[34:35], v9 offset0:192 offset1:208
	s_waitcnt lgkmcnt(7)
	v_fmac_f32_e32 v8, v36, v19
	v_fmac_f32_e32 v4, v37, v19
	;; [unrolled: 1-line block ×4, first 2 shown]
	ds_read2_b32 v[18:19], v9 offset0:224 offset1:240
	s_waitcnt lgkmcnt(7)
	v_fmac_f32_e32 v8, v38, v20
	v_fmac_f32_e32 v4, v39, v20
	;; [unrolled: 1-line block ×4, first 2 shown]
	s_waitcnt lgkmcnt(0)
	v_fmac_f32_e32 v8, v40, v21
	v_fmac_f32_e32 v4, v41, v21
	;; [unrolled: 1-line block ×4, first 2 shown]
	s_barrier
	v_fmac_f32_e32 v8, v42, v26
	v_fmac_f32_e32 v4, v43, v26
	v_fmac_f32_e32 v7, v42, v30
	v_fmac_f32_e32 v6, v43, v30
	buffer_gl0_inv
	v_fmac_f32_e32 v8, v44, v27
	v_fmac_f32_e32 v4, v45, v27
	;; [unrolled: 1-line block ×12, first 2 shown]
	s_cbranch_vccz .LBB453_12
.LBB453_6:                              ; =>This Inner Loop Header: Depth=1
	v_mov_b32_e32 v18, 0
	s_and_saveexec_b32 s6, s0
	s_cbranch_execz .LBB453_10
; %bb.7:                                ;   in Loop: Header=BB453_6 Depth=1
	v_add_nc_u32_e32 v2, s4, v11
	v_mov_b32_e32 v18, 0
	s_mov_b32 s7, exec_lo
	v_cmpx_gt_u64_e64 s[16:17], v[2:3]
	s_cbranch_execz .LBB453_9
; %bb.8:                                ;   in Loop: Header=BB453_6 Depth=1
	v_lshlrev_b64 v[18:19], 2, v[2:3]
	v_add_co_u32 v18, vcc_lo, v16, v18
	v_add_co_ci_u32_e64 v19, null, v17, v19, vcc_lo
	flat_load_dword v18, v[18:19]
.LBB453_9:                              ;   in Loop: Header=BB453_6 Depth=1
	s_or_b32 exec_lo, exec_lo, s7
.LBB453_10:                             ;   in Loop: Header=BB453_6 Depth=1
	s_or_b32 exec_lo, exec_lo, s6
	v_add_nc_u32_e32 v2, s4, v5
	v_mov_b32_e32 v19, 0
	s_waitcnt vmcnt(0) lgkmcnt(0)
	ds_write_b32 v12, v18
	v_cmp_gt_u64_e32 vcc_lo, s[16:17], v[2:3]
	s_and_b32 s7, vcc_lo, s1
	s_and_saveexec_b32 s6, s7
	s_cbranch_execz .LBB453_5
; %bb.11:                               ;   in Loop: Header=BB453_6 Depth=1
	v_lshlrev_b64 v[18:19], 2, v[2:3]
	v_add_co_u32 v18, vcc_lo, v14, v18
	v_add_co_ci_u32_e64 v19, null, v15, v19, vcc_lo
	flat_load_dword v19, v[18:19]
	s_branch .LBB453_5
.LBB453_12:
	v_add_nc_u32_e32 v10, s28, v1
	v_add_nc_u32_e32 v0, s27, v0
	s_waitcnt lgkmcnt(0)
	s_lshl_b64 s[0:1], s[20:21], 2
	v_cmp_neq_f32_e64 s6, s24, 0
	s_add_u32 s4, s18, s0
	v_ashrrev_i32_e32 v3, 31, v10
	v_mul_lo_u32 v5, s3, v10
	v_mad_u64_u32 v[1:2], null, s2, v10, 0
	s_addc_u32 s5, s19, s1
	v_mul_lo_u32 v3, s2, v3
	v_cmp_gt_i32_e64 s0, s26, v10
	v_cmp_le_i32_e32 vcc_lo, v0, v10
	v_cndmask_b32_e64 v9, 0, 1, s6
	s_and_b32 s7, s0, vcc_lo
	v_add3_u32 v2, v2, v3, v5
	v_lshlrev_b64 v[2:3], 2, v[1:2]
	v_ashrrev_i32_e32 v1, 31, v0
	v_add_co_u32 v5, s1, s4, v2
	v_add_co_ci_u32_e64 v11, null, s5, v3, s1
	s_and_saveexec_b32 s1, s7
	s_cbranch_execz .LBB453_16
; %bb.13:
	v_lshlrev_b64 v[2:3], 2, v[0:1]
	v_mul_f32_e32 v8, s25, v8
	v_add_co_u32 v2, vcc_lo, v5, v2
	v_add_co_ci_u32_e64 v3, null, v11, v3, vcc_lo
	s_andn2_b32 vcc_lo, exec_lo, s6
	s_cbranch_vccnz .LBB453_15
; %bb.14:
	flat_load_dword v12, v[2:3]
	s_waitcnt vmcnt(0) lgkmcnt(0)
	v_fmac_f32_e32 v8, s24, v12
.LBB453_15:
	flat_store_dword v[2:3], v8
.LBB453_16:
	s_or_b32 exec_lo, exec_lo, s1
	v_add_nc_u32_e32 v2, 16, v0
	v_cmp_le_i32_e32 vcc_lo, v2, v10
	v_ashrrev_i32_e32 v3, 31, v2
	s_and_b32 s0, s0, vcc_lo
	s_and_saveexec_b32 s1, s0
	s_cbranch_execz .LBB453_20
; %bb.17:
	v_lshlrev_b64 v[12:13], 2, v[2:3]
	v_mul_f32_e32 v8, s25, v4
	v_cmp_ne_u32_e32 vcc_lo, 1, v9
	v_add_co_u32 v4, s0, v5, v12
	v_add_co_ci_u32_e64 v5, null, v11, v13, s0
	s_cbranch_vccnz .LBB453_19
; %bb.18:
	flat_load_dword v11, v[4:5]
	s_waitcnt vmcnt(0) lgkmcnt(0)
	v_fmac_f32_e32 v8, s24, v11
.LBB453_19:
	flat_store_dword v[4:5], v8
.LBB453_20:
	s_or_b32 exec_lo, exec_lo, s1
	v_add_nc_u32_e32 v8, 16, v10
	v_ashrrev_i32_e32 v10, 31, v8
	v_mul_lo_u32 v11, s3, v8
	v_mad_u64_u32 v[4:5], null, s2, v8, 0
	v_cmp_gt_i32_e64 s0, s26, v8
	v_mul_lo_u32 v10, s2, v10
	v_cmp_le_i32_e32 vcc_lo, v0, v8
	v_add3_u32 v5, v5, v10, v11
	v_lshlrev_b64 v[4:5], 2, v[4:5]
	v_add_co_u32 v4, s1, s4, v4
	v_add_co_ci_u32_e64 v5, null, s5, v5, s1
	s_and_b32 s1, s0, vcc_lo
	s_and_saveexec_b32 s2, s1
	s_cbranch_execz .LBB453_24
; %bb.21:
	v_lshlrev_b64 v[0:1], 2, v[0:1]
	v_cmp_ne_u32_e32 vcc_lo, 1, v9
	v_mul_f32_e32 v7, s25, v7
	v_add_co_u32 v0, s1, v4, v0
	v_add_co_ci_u32_e64 v1, null, v5, v1, s1
	s_cbranch_vccnz .LBB453_23
; %bb.22:
	flat_load_dword v10, v[0:1]
	s_waitcnt vmcnt(0) lgkmcnt(0)
	v_fmac_f32_e32 v7, s24, v10
.LBB453_23:
	flat_store_dword v[0:1], v7
.LBB453_24:
	s_or_b32 exec_lo, exec_lo, s2
	v_cmp_le_i32_e32 vcc_lo, v2, v8
	s_and_b32 s0, s0, vcc_lo
	s_and_saveexec_b32 s1, s0
	s_cbranch_execz .LBB453_28
; %bb.25:
	v_lshlrev_b64 v[0:1], 2, v[2:3]
	v_cmp_ne_u32_e32 vcc_lo, 1, v9
	v_mul_f32_e32 v2, s25, v6
	v_add_co_u32 v0, s0, v4, v0
	v_add_co_ci_u32_e64 v1, null, v5, v1, s0
	s_cbranch_vccnz .LBB453_27
; %bb.26:
	flat_load_dword v3, v[0:1]
	s_waitcnt vmcnt(0) lgkmcnt(0)
	v_fmac_f32_e32 v2, s24, v3
.LBB453_27:
	flat_store_dword v[0:1], v2
.LBB453_28:
	s_endpgm
	.section	.rodata,"a",@progbits
	.p2align	6, 0x0
	.amdhsa_kernel _ZL29rocblas_internal_gemmt_kernelIlLi16ELi32ELi8ELc84ELc78ELc85ELb0ELb0EffPKPKfPKPfEviT_T9_T10_S7_lS9_S7_lS8_T11_S7_li
		.amdhsa_group_segment_fixed_size 2048
		.amdhsa_private_segment_fixed_size 0
		.amdhsa_kernarg_size 108
		.amdhsa_user_sgpr_count 6
		.amdhsa_user_sgpr_private_segment_buffer 1
		.amdhsa_user_sgpr_dispatch_ptr 0
		.amdhsa_user_sgpr_queue_ptr 0
		.amdhsa_user_sgpr_kernarg_segment_ptr 1
		.amdhsa_user_sgpr_dispatch_id 0
		.amdhsa_user_sgpr_flat_scratch_init 0
		.amdhsa_user_sgpr_private_segment_size 0
		.amdhsa_wavefront_size32 1
		.amdhsa_uses_dynamic_stack 0
		.amdhsa_system_sgpr_private_segment_wavefront_offset 0
		.amdhsa_system_sgpr_workgroup_id_x 1
		.amdhsa_system_sgpr_workgroup_id_y 1
		.amdhsa_system_sgpr_workgroup_id_z 1
		.amdhsa_system_sgpr_workgroup_info 0
		.amdhsa_system_vgpr_workitem_id 1
		.amdhsa_next_free_vgpr 46
		.amdhsa_next_free_sgpr 29
		.amdhsa_reserve_vcc 1
		.amdhsa_reserve_flat_scratch 0
		.amdhsa_float_round_mode_32 0
		.amdhsa_float_round_mode_16_64 0
		.amdhsa_float_denorm_mode_32 3
		.amdhsa_float_denorm_mode_16_64 3
		.amdhsa_dx10_clamp 1
		.amdhsa_ieee_mode 1
		.amdhsa_fp16_overflow 0
		.amdhsa_workgroup_processor_mode 1
		.amdhsa_memory_ordered 1
		.amdhsa_forward_progress 1
		.amdhsa_shared_vgpr_count 0
		.amdhsa_exception_fp_ieee_invalid_op 0
		.amdhsa_exception_fp_denorm_src 0
		.amdhsa_exception_fp_ieee_div_zero 0
		.amdhsa_exception_fp_ieee_overflow 0
		.amdhsa_exception_fp_ieee_underflow 0
		.amdhsa_exception_fp_ieee_inexact 0
		.amdhsa_exception_int_div_zero 0
	.end_amdhsa_kernel
	.section	.text._ZL29rocblas_internal_gemmt_kernelIlLi16ELi32ELi8ELc84ELc78ELc85ELb0ELb0EffPKPKfPKPfEviT_T9_T10_S7_lS9_S7_lS8_T11_S7_li,"axG",@progbits,_ZL29rocblas_internal_gemmt_kernelIlLi16ELi32ELi8ELc84ELc78ELc85ELb0ELb0EffPKPKfPKPfEviT_T9_T10_S7_lS9_S7_lS8_T11_S7_li,comdat
.Lfunc_end453:
	.size	_ZL29rocblas_internal_gemmt_kernelIlLi16ELi32ELi8ELc84ELc78ELc85ELb0ELb0EffPKPKfPKPfEviT_T9_T10_S7_lS9_S7_lS8_T11_S7_li, .Lfunc_end453-_ZL29rocblas_internal_gemmt_kernelIlLi16ELi32ELi8ELc84ELc78ELc85ELb0ELb0EffPKPKfPKPfEviT_T9_T10_S7_lS9_S7_lS8_T11_S7_li
                                        ; -- End function
	.set _ZL29rocblas_internal_gemmt_kernelIlLi16ELi32ELi8ELc84ELc78ELc85ELb0ELb0EffPKPKfPKPfEviT_T9_T10_S7_lS9_S7_lS8_T11_S7_li.num_vgpr, 46
	.set _ZL29rocblas_internal_gemmt_kernelIlLi16ELi32ELi8ELc84ELc78ELc85ELb0ELb0EffPKPKfPKPfEviT_T9_T10_S7_lS9_S7_lS8_T11_S7_li.num_agpr, 0
	.set _ZL29rocblas_internal_gemmt_kernelIlLi16ELi32ELi8ELc84ELc78ELc85ELb0ELb0EffPKPKfPKPfEviT_T9_T10_S7_lS9_S7_lS8_T11_S7_li.numbered_sgpr, 29
	.set _ZL29rocblas_internal_gemmt_kernelIlLi16ELi32ELi8ELc84ELc78ELc85ELb0ELb0EffPKPKfPKPfEviT_T9_T10_S7_lS9_S7_lS8_T11_S7_li.num_named_barrier, 0
	.set _ZL29rocblas_internal_gemmt_kernelIlLi16ELi32ELi8ELc84ELc78ELc85ELb0ELb0EffPKPKfPKPfEviT_T9_T10_S7_lS9_S7_lS8_T11_S7_li.private_seg_size, 0
	.set _ZL29rocblas_internal_gemmt_kernelIlLi16ELi32ELi8ELc84ELc78ELc85ELb0ELb0EffPKPKfPKPfEviT_T9_T10_S7_lS9_S7_lS8_T11_S7_li.uses_vcc, 1
	.set _ZL29rocblas_internal_gemmt_kernelIlLi16ELi32ELi8ELc84ELc78ELc85ELb0ELb0EffPKPKfPKPfEviT_T9_T10_S7_lS9_S7_lS8_T11_S7_li.uses_flat_scratch, 0
	.set _ZL29rocblas_internal_gemmt_kernelIlLi16ELi32ELi8ELc84ELc78ELc85ELb0ELb0EffPKPKfPKPfEviT_T9_T10_S7_lS9_S7_lS8_T11_S7_li.has_dyn_sized_stack, 0
	.set _ZL29rocblas_internal_gemmt_kernelIlLi16ELi32ELi8ELc84ELc78ELc85ELb0ELb0EffPKPKfPKPfEviT_T9_T10_S7_lS9_S7_lS8_T11_S7_li.has_recursion, 0
	.set _ZL29rocblas_internal_gemmt_kernelIlLi16ELi32ELi8ELc84ELc78ELc85ELb0ELb0EffPKPKfPKPfEviT_T9_T10_S7_lS9_S7_lS8_T11_S7_li.has_indirect_call, 0
	.section	.AMDGPU.csdata,"",@progbits
; Kernel info:
; codeLenInByte = 1484
; TotalNumSgprs: 31
; NumVgprs: 46
; ScratchSize: 0
; MemoryBound: 0
; FloatMode: 240
; IeeeMode: 1
; LDSByteSize: 2048 bytes/workgroup (compile time only)
; SGPRBlocks: 0
; VGPRBlocks: 5
; NumSGPRsForWavesPerEU: 31
; NumVGPRsForWavesPerEU: 46
; Occupancy: 16
; WaveLimiterHint : 1
; COMPUTE_PGM_RSRC2:SCRATCH_EN: 0
; COMPUTE_PGM_RSRC2:USER_SGPR: 6
; COMPUTE_PGM_RSRC2:TRAP_HANDLER: 0
; COMPUTE_PGM_RSRC2:TGID_X_EN: 1
; COMPUTE_PGM_RSRC2:TGID_Y_EN: 1
; COMPUTE_PGM_RSRC2:TGID_Z_EN: 1
; COMPUTE_PGM_RSRC2:TIDIG_COMP_CNT: 1
	.section	.text._ZL29rocblas_internal_gemmt_kernelIlLi16ELi32ELi8ELc84ELc84ELc85ELb0ELb0EffPKPKfPKPfEviT_T9_T10_S7_lS9_S7_lS8_T11_S7_li,"axG",@progbits,_ZL29rocblas_internal_gemmt_kernelIlLi16ELi32ELi8ELc84ELc84ELc85ELb0ELb0EffPKPKfPKPfEviT_T9_T10_S7_lS9_S7_lS8_T11_S7_li,comdat
	.globl	_ZL29rocblas_internal_gemmt_kernelIlLi16ELi32ELi8ELc84ELc84ELc85ELb0ELb0EffPKPKfPKPfEviT_T9_T10_S7_lS9_S7_lS8_T11_S7_li ; -- Begin function _ZL29rocblas_internal_gemmt_kernelIlLi16ELi32ELi8ELc84ELc84ELc85ELb0ELb0EffPKPKfPKPfEviT_T9_T10_S7_lS9_S7_lS8_T11_S7_li
	.p2align	8
	.type	_ZL29rocblas_internal_gemmt_kernelIlLi16ELi32ELi8ELc84ELc84ELc85ELb0ELb0EffPKPKfPKPfEviT_T9_T10_S7_lS9_S7_lS8_T11_S7_li,@function
_ZL29rocblas_internal_gemmt_kernelIlLi16ELi32ELi8ELc84ELc84ELc85ELb0ELb0EffPKPKfPKPfEviT_T9_T10_S7_lS9_S7_lS8_T11_S7_li: ; @_ZL29rocblas_internal_gemmt_kernelIlLi16ELi32ELi8ELc84ELc84ELc85ELb0ELb0EffPKPKfPKPfEviT_T9_T10_S7_lS9_S7_lS8_T11_S7_li
; %bb.0:
	s_clause 0x2
	s_load_dword s24, s[4:5], 0x48
	s_load_dwordx2 s[16:17], s[4:5], 0x8
	s_load_dword s25, s[4:5], 0x10
	s_waitcnt lgkmcnt(0)
	v_cmp_neq_f32_e64 s0, s24, 1.0
	s_and_b32 vcc_lo, exec_lo, s0
	s_cbranch_vccnz .LBB454_2
; %bb.1:
	v_cmp_neq_f32_e64 s0, s25, 0
	s_cmp_lg_u64 s[16:17], 0
	s_cselect_b32 s1, -1, 0
	s_and_b32 s0, s1, s0
.LBB454_2:
	s_andn2_b32 vcc_lo, exec_lo, s0
	s_cbranch_vccnz .LBB454_28
; %bb.3:
	s_clause 0x1
	s_load_dwordx4 s[0:3], s[4:5], 0x50
	s_load_dword s26, s[4:5], 0x0
	s_mov_b32 s9, 0
	v_mov_b32_e32 v5, 0
	s_lshl_b64 s[22:23], s[8:9], 3
	v_mov_b32_e32 v4, 0
	v_mov_b32_e32 v7, 0
	;; [unrolled: 1-line block ×3, first 2 shown]
	s_waitcnt lgkmcnt(0)
	s_add_u32 s0, s0, s22
	s_addc_u32 s1, s1, s23
	s_load_dwordx2 s[20:21], s[4:5], 0x60
	s_load_dwordx2 s[18:19], s[0:1], 0x0
	v_cmp_lt_i64_e64 s0, s[16:17], 1
	v_cmp_eq_f32_e64 s1, s25, 0
	s_lshl_b32 s27, s6, 5
	s_lshl_b32 s28, s7, 5
	s_or_b32 s0, s1, s0
	s_and_b32 vcc_lo, exec_lo, s0
	s_cbranch_vccnz .LBB454_12
; %bb.4:
	s_clause 0x1
	s_load_dwordx8 s[8:15], s[4:5], 0x18
	s_load_dwordx4 s[4:7], s[4:5], 0x38
	v_lshl_add_u32 v2, v1, 4, v0
	v_and_b32_e32 v8, 7, v0
	v_lshlrev_b32_e32 v9, 2, v0
	v_lshl_add_u32 v10, v1, 5, 0x400
	v_mov_b32_e32 v3, 0
	v_and_b32_e32 v5, 31, v2
	v_lshrrev_b32_e32 v12, 3, v2
	v_lshrrev_b32_e32 v11, 5, v2
	v_lshlrev_b32_e32 v2, 2, v8
	v_mov_b32_e32 v6, 0
	v_or_b32_e32 v17, s27, v5
	v_add_nc_u32_e32 v13, s28, v12
	v_lshlrev_b32_e32 v5, 2, v5
	v_lshl_or_b32 v2, v12, 5, v2
	v_mov_b32_e32 v7, 0
	v_mov_b32_e32 v4, 0
	v_ashrrev_i32_e32 v14, 31, v13
	v_lshl_or_b32 v12, v11, 7, v5
	s_waitcnt lgkmcnt(0)
	s_add_u32 s0, s14, s22
	s_addc_u32 s1, s15, s23
	s_lshl_b64 s[6:7], s[6:7], 2
	s_load_dwordx2 s[0:1], s[0:1], 0x0
	v_mul_lo_u32 v18, s11, v17
	v_mad_u64_u32 v[15:16], null, s10, v17, 0
	v_mov_b32_e32 v5, 0
	s_waitcnt lgkmcnt(0)
	s_add_u32 s14, s0, s6
	s_addc_u32 s15, s1, s7
	s_add_u32 s0, s8, s22
	s_addc_u32 s1, s9, s23
	s_lshl_b64 s[6:7], s[12:13], 2
	s_load_dwordx2 s[0:1], s[0:1], 0x0
	s_waitcnt lgkmcnt(0)
	s_add_u32 s6, s0, s6
	s_addc_u32 s7, s1, s7
	s_ashr_i32 s0, s27, 31
	s_mul_i32 s1, s10, s0
	v_cmp_gt_i32_e64 s0, s26, v17
	v_add3_u32 v16, v16, s1, v18
	v_lshlrev_b64 v[17:18], 2, v[13:14]
	v_cmp_gt_i32_e64 s1, s26, v13
	v_add_nc_u32_e32 v13, 0x400, v2
	v_lshlrev_b64 v[19:20], 2, v[15:16]
	v_add_co_u32 v14, vcc_lo, s14, v17
	v_add_co_ci_u32_e64 v15, null, s15, v18, vcc_lo
	v_add_co_u32 v16, vcc_lo, s6, v19
	v_add_co_ci_u32_e64 v17, null, s7, v20, vcc_lo
	s_mov_b64 s[6:7], 0
	s_branch .LBB454_6
.LBB454_5:                              ;   in Loop: Header=BB454_6 Depth=1
	s_or_b32 exec_lo, exec_lo, s8
	s_waitcnt vmcnt(0) lgkmcnt(0)
	ds_write_b32 v13, v19
	s_waitcnt lgkmcnt(0)
	s_barrier
	buffer_gl0_inv
	ds_read_b128 v[18:21], v10
	ds_read2_b32 v[34:35], v9 offset1:16
	ds_read_b128 v[22:25], v10 offset:512
	ds_read2_b32 v[36:37], v9 offset0:32 offset1:48
	ds_read2_b32 v[38:39], v9 offset0:64 offset1:80
	ds_read2_b32 v[40:41], v9 offset0:96 offset1:112
	ds_read_b128 v[26:29], v10 offset:16
	ds_read2_b32 v[42:43], v9 offset0:128 offset1:144
	ds_read_b128 v[30:33], v10 offset:528
	ds_read2_b32 v[44:45], v9 offset0:160 offset1:176
	s_add_u32 s6, s6, 8
	s_addc_u32 s7, s7, 0
	v_cmp_gt_i64_e64 s8, s[16:17], s[6:7]
	s_and_b32 vcc_lo, exec_lo, s8
	s_waitcnt lgkmcnt(8)
	v_fmac_f32_e32 v5, v34, v18
	v_fmac_f32_e32 v4, v35, v18
	s_waitcnt lgkmcnt(7)
	v_fmac_f32_e32 v7, v34, v22
	v_fmac_f32_e32 v6, v35, v22
	ds_read2_b32 v[34:35], v9 offset0:192 offset1:208
	s_waitcnt lgkmcnt(7)
	v_fmac_f32_e32 v5, v36, v19
	v_fmac_f32_e32 v4, v37, v19
	;; [unrolled: 1-line block ×4, first 2 shown]
	ds_read2_b32 v[18:19], v9 offset0:224 offset1:240
	s_waitcnt lgkmcnt(7)
	v_fmac_f32_e32 v5, v38, v20
	v_fmac_f32_e32 v4, v39, v20
	;; [unrolled: 1-line block ×4, first 2 shown]
	s_waitcnt lgkmcnt(0)
	v_fmac_f32_e32 v5, v40, v21
	v_fmac_f32_e32 v4, v41, v21
	;; [unrolled: 1-line block ×4, first 2 shown]
	s_barrier
	v_fmac_f32_e32 v5, v42, v26
	v_fmac_f32_e32 v4, v43, v26
	v_fmac_f32_e32 v7, v42, v30
	v_fmac_f32_e32 v6, v43, v30
	buffer_gl0_inv
	v_fmac_f32_e32 v5, v44, v27
	v_fmac_f32_e32 v4, v45, v27
	;; [unrolled: 1-line block ×12, first 2 shown]
	s_cbranch_vccz .LBB454_12
.LBB454_6:                              ; =>This Inner Loop Header: Depth=1
	v_mov_b32_e32 v18, 0
	s_and_saveexec_b32 s8, s0
	s_cbranch_execz .LBB454_10
; %bb.7:                                ;   in Loop: Header=BB454_6 Depth=1
	v_add_nc_u32_e32 v2, s6, v11
	v_mov_b32_e32 v18, 0
	s_mov_b32 s9, exec_lo
	v_cmpx_gt_u64_e64 s[16:17], v[2:3]
	s_cbranch_execz .LBB454_9
; %bb.8:                                ;   in Loop: Header=BB454_6 Depth=1
	v_lshlrev_b64 v[18:19], 2, v[2:3]
	v_add_co_u32 v18, vcc_lo, v16, v18
	v_add_co_ci_u32_e64 v19, null, v17, v19, vcc_lo
	flat_load_dword v18, v[18:19]
.LBB454_9:                              ;   in Loop: Header=BB454_6 Depth=1
	s_or_b32 exec_lo, exec_lo, s9
.LBB454_10:                             ;   in Loop: Header=BB454_6 Depth=1
	s_or_b32 exec_lo, exec_lo, s8
	v_add_nc_u32_e32 v2, s6, v8
	v_mov_b32_e32 v19, 0
	s_waitcnt vmcnt(0) lgkmcnt(0)
	ds_write_b32 v12, v18
	v_cmp_gt_u64_e32 vcc_lo, s[16:17], v[2:3]
	s_and_b32 s9, vcc_lo, s1
	s_and_saveexec_b32 s8, s9
	s_cbranch_execz .LBB454_5
; %bb.11:                               ;   in Loop: Header=BB454_6 Depth=1
	v_mad_u64_u32 v[18:19], null, s4, v2, 0
	v_mad_u64_u32 v[19:20], null, s5, v2, v[19:20]
	v_lshlrev_b64 v[18:19], 2, v[18:19]
	v_add_co_u32 v18, vcc_lo, v14, v18
	v_add_co_ci_u32_e64 v19, null, v15, v19, vcc_lo
	flat_load_dword v19, v[18:19]
	s_branch .LBB454_5
.LBB454_12:
	v_add_nc_u32_e32 v9, s28, v1
	v_add_nc_u32_e32 v0, s27, v0
	s_waitcnt lgkmcnt(0)
	s_lshl_b64 s[0:1], s[20:21], 2
	v_cmp_neq_f32_e64 s6, s24, 0
	s_add_u32 s4, s18, s0
	v_ashrrev_i32_e32 v3, 31, v9
	v_mul_lo_u32 v8, s3, v9
	v_mad_u64_u32 v[1:2], null, s2, v9, 0
	s_addc_u32 s5, s19, s1
	v_mul_lo_u32 v3, s2, v3
	v_cmp_gt_i32_e64 s0, s26, v9
	v_cmp_le_i32_e32 vcc_lo, v0, v9
	s_and_b32 s7, s0, vcc_lo
	v_add3_u32 v2, v2, v3, v8
	v_cndmask_b32_e64 v8, 0, 1, s6
	v_lshlrev_b64 v[2:3], 2, v[1:2]
	v_ashrrev_i32_e32 v1, 31, v0
	v_add_co_u32 v10, s1, s4, v2
	v_add_co_ci_u32_e64 v11, null, s5, v3, s1
	s_and_saveexec_b32 s1, s7
	s_cbranch_execz .LBB454_16
; %bb.13:
	v_lshlrev_b64 v[2:3], 2, v[0:1]
	v_mul_f32_e32 v5, s25, v5
	v_add_co_u32 v2, vcc_lo, v10, v2
	v_add_co_ci_u32_e64 v3, null, v11, v3, vcc_lo
	s_andn2_b32 vcc_lo, exec_lo, s6
	s_cbranch_vccnz .LBB454_15
; %bb.14:
	flat_load_dword v12, v[2:3]
	s_waitcnt vmcnt(0) lgkmcnt(0)
	v_fmac_f32_e32 v5, s24, v12
.LBB454_15:
	flat_store_dword v[2:3], v5
.LBB454_16:
	s_or_b32 exec_lo, exec_lo, s1
	v_add_nc_u32_e32 v2, 16, v0
	v_cmp_le_i32_e32 vcc_lo, v2, v9
	v_ashrrev_i32_e32 v3, 31, v2
	s_and_b32 s0, s0, vcc_lo
	s_and_saveexec_b32 s1, s0
	s_cbranch_execz .LBB454_20
; %bb.17:
	v_lshlrev_b64 v[13:14], 2, v[2:3]
	v_mul_f32_e32 v12, s25, v4
	v_cmp_ne_u32_e32 vcc_lo, 1, v8
	v_add_co_u32 v4, s0, v10, v13
	v_add_co_ci_u32_e64 v5, null, v11, v14, s0
	s_cbranch_vccnz .LBB454_19
; %bb.18:
	flat_load_dword v10, v[4:5]
	s_waitcnt vmcnt(0) lgkmcnt(0)
	v_fmac_f32_e32 v12, s24, v10
.LBB454_19:
	flat_store_dword v[4:5], v12
.LBB454_20:
	s_or_b32 exec_lo, exec_lo, s1
	v_add_nc_u32_e32 v9, 16, v9
	v_ashrrev_i32_e32 v10, 31, v9
	v_mul_lo_u32 v11, s3, v9
	v_mad_u64_u32 v[4:5], null, s2, v9, 0
	v_cmp_gt_i32_e64 s0, s26, v9
	v_mul_lo_u32 v10, s2, v10
	v_cmp_le_i32_e32 vcc_lo, v0, v9
	v_add3_u32 v5, v5, v10, v11
	v_lshlrev_b64 v[4:5], 2, v[4:5]
	v_add_co_u32 v4, s1, s4, v4
	v_add_co_ci_u32_e64 v5, null, s5, v5, s1
	s_and_b32 s1, s0, vcc_lo
	s_and_saveexec_b32 s2, s1
	s_cbranch_execz .LBB454_24
; %bb.21:
	v_lshlrev_b64 v[0:1], 2, v[0:1]
	v_cmp_ne_u32_e32 vcc_lo, 1, v8
	v_mul_f32_e32 v7, s25, v7
	v_add_co_u32 v0, s1, v4, v0
	v_add_co_ci_u32_e64 v1, null, v5, v1, s1
	s_cbranch_vccnz .LBB454_23
; %bb.22:
	flat_load_dword v10, v[0:1]
	s_waitcnt vmcnt(0) lgkmcnt(0)
	v_fmac_f32_e32 v7, s24, v10
.LBB454_23:
	flat_store_dword v[0:1], v7
.LBB454_24:
	s_or_b32 exec_lo, exec_lo, s2
	v_cmp_le_i32_e32 vcc_lo, v2, v9
	s_and_b32 s0, s0, vcc_lo
	s_and_saveexec_b32 s1, s0
	s_cbranch_execz .LBB454_28
; %bb.25:
	v_lshlrev_b64 v[0:1], 2, v[2:3]
	v_cmp_ne_u32_e32 vcc_lo, 1, v8
	v_mul_f32_e32 v2, s25, v6
	v_add_co_u32 v0, s0, v4, v0
	v_add_co_ci_u32_e64 v1, null, v5, v1, s0
	s_cbranch_vccnz .LBB454_27
; %bb.26:
	flat_load_dword v3, v[0:1]
	s_waitcnt vmcnt(0) lgkmcnt(0)
	v_fmac_f32_e32 v2, s24, v3
.LBB454_27:
	flat_store_dword v[0:1], v2
.LBB454_28:
	s_endpgm
	.section	.rodata,"a",@progbits
	.p2align	6, 0x0
	.amdhsa_kernel _ZL29rocblas_internal_gemmt_kernelIlLi16ELi32ELi8ELc84ELc84ELc85ELb0ELb0EffPKPKfPKPfEviT_T9_T10_S7_lS9_S7_lS8_T11_S7_li
		.amdhsa_group_segment_fixed_size 2048
		.amdhsa_private_segment_fixed_size 0
		.amdhsa_kernarg_size 108
		.amdhsa_user_sgpr_count 6
		.amdhsa_user_sgpr_private_segment_buffer 1
		.amdhsa_user_sgpr_dispatch_ptr 0
		.amdhsa_user_sgpr_queue_ptr 0
		.amdhsa_user_sgpr_kernarg_segment_ptr 1
		.amdhsa_user_sgpr_dispatch_id 0
		.amdhsa_user_sgpr_flat_scratch_init 0
		.amdhsa_user_sgpr_private_segment_size 0
		.amdhsa_wavefront_size32 1
		.amdhsa_uses_dynamic_stack 0
		.amdhsa_system_sgpr_private_segment_wavefront_offset 0
		.amdhsa_system_sgpr_workgroup_id_x 1
		.amdhsa_system_sgpr_workgroup_id_y 1
		.amdhsa_system_sgpr_workgroup_id_z 1
		.amdhsa_system_sgpr_workgroup_info 0
		.amdhsa_system_vgpr_workitem_id 1
		.amdhsa_next_free_vgpr 46
		.amdhsa_next_free_sgpr 29
		.amdhsa_reserve_vcc 1
		.amdhsa_reserve_flat_scratch 0
		.amdhsa_float_round_mode_32 0
		.amdhsa_float_round_mode_16_64 0
		.amdhsa_float_denorm_mode_32 3
		.amdhsa_float_denorm_mode_16_64 3
		.amdhsa_dx10_clamp 1
		.amdhsa_ieee_mode 1
		.amdhsa_fp16_overflow 0
		.amdhsa_workgroup_processor_mode 1
		.amdhsa_memory_ordered 1
		.amdhsa_forward_progress 1
		.amdhsa_shared_vgpr_count 0
		.amdhsa_exception_fp_ieee_invalid_op 0
		.amdhsa_exception_fp_denorm_src 0
		.amdhsa_exception_fp_ieee_div_zero 0
		.amdhsa_exception_fp_ieee_overflow 0
		.amdhsa_exception_fp_ieee_underflow 0
		.amdhsa_exception_fp_ieee_inexact 0
		.amdhsa_exception_int_div_zero 0
	.end_amdhsa_kernel
	.section	.text._ZL29rocblas_internal_gemmt_kernelIlLi16ELi32ELi8ELc84ELc84ELc85ELb0ELb0EffPKPKfPKPfEviT_T9_T10_S7_lS9_S7_lS8_T11_S7_li,"axG",@progbits,_ZL29rocblas_internal_gemmt_kernelIlLi16ELi32ELi8ELc84ELc84ELc85ELb0ELb0EffPKPKfPKPfEviT_T9_T10_S7_lS9_S7_lS8_T11_S7_li,comdat
.Lfunc_end454:
	.size	_ZL29rocblas_internal_gemmt_kernelIlLi16ELi32ELi8ELc84ELc84ELc85ELb0ELb0EffPKPKfPKPfEviT_T9_T10_S7_lS9_S7_lS8_T11_S7_li, .Lfunc_end454-_ZL29rocblas_internal_gemmt_kernelIlLi16ELi32ELi8ELc84ELc84ELc85ELb0ELb0EffPKPKfPKPfEviT_T9_T10_S7_lS9_S7_lS8_T11_S7_li
                                        ; -- End function
	.set _ZL29rocblas_internal_gemmt_kernelIlLi16ELi32ELi8ELc84ELc84ELc85ELb0ELb0EffPKPKfPKPfEviT_T9_T10_S7_lS9_S7_lS8_T11_S7_li.num_vgpr, 46
	.set _ZL29rocblas_internal_gemmt_kernelIlLi16ELi32ELi8ELc84ELc84ELc85ELb0ELb0EffPKPKfPKPfEviT_T9_T10_S7_lS9_S7_lS8_T11_S7_li.num_agpr, 0
	.set _ZL29rocblas_internal_gemmt_kernelIlLi16ELi32ELi8ELc84ELc84ELc85ELb0ELb0EffPKPKfPKPfEviT_T9_T10_S7_lS9_S7_lS8_T11_S7_li.numbered_sgpr, 29
	.set _ZL29rocblas_internal_gemmt_kernelIlLi16ELi32ELi8ELc84ELc84ELc85ELb0ELb0EffPKPKfPKPfEviT_T9_T10_S7_lS9_S7_lS8_T11_S7_li.num_named_barrier, 0
	.set _ZL29rocblas_internal_gemmt_kernelIlLi16ELi32ELi8ELc84ELc84ELc85ELb0ELb0EffPKPKfPKPfEviT_T9_T10_S7_lS9_S7_lS8_T11_S7_li.private_seg_size, 0
	.set _ZL29rocblas_internal_gemmt_kernelIlLi16ELi32ELi8ELc84ELc84ELc85ELb0ELb0EffPKPKfPKPfEviT_T9_T10_S7_lS9_S7_lS8_T11_S7_li.uses_vcc, 1
	.set _ZL29rocblas_internal_gemmt_kernelIlLi16ELi32ELi8ELc84ELc84ELc85ELb0ELb0EffPKPKfPKPfEviT_T9_T10_S7_lS9_S7_lS8_T11_S7_li.uses_flat_scratch, 0
	.set _ZL29rocblas_internal_gemmt_kernelIlLi16ELi32ELi8ELc84ELc84ELc85ELb0ELb0EffPKPKfPKPfEviT_T9_T10_S7_lS9_S7_lS8_T11_S7_li.has_dyn_sized_stack, 0
	.set _ZL29rocblas_internal_gemmt_kernelIlLi16ELi32ELi8ELc84ELc84ELc85ELb0ELb0EffPKPKfPKPfEviT_T9_T10_S7_lS9_S7_lS8_T11_S7_li.has_recursion, 0
	.set _ZL29rocblas_internal_gemmt_kernelIlLi16ELi32ELi8ELc84ELc84ELc85ELb0ELb0EffPKPKfPKPfEviT_T9_T10_S7_lS9_S7_lS8_T11_S7_li.has_indirect_call, 0
	.section	.AMDGPU.csdata,"",@progbits
; Kernel info:
; codeLenInByte = 1468
; TotalNumSgprs: 31
; NumVgprs: 46
; ScratchSize: 0
; MemoryBound: 0
; FloatMode: 240
; IeeeMode: 1
; LDSByteSize: 2048 bytes/workgroup (compile time only)
; SGPRBlocks: 0
; VGPRBlocks: 5
; NumSGPRsForWavesPerEU: 31
; NumVGPRsForWavesPerEU: 46
; Occupancy: 16
; WaveLimiterHint : 1
; COMPUTE_PGM_RSRC2:SCRATCH_EN: 0
; COMPUTE_PGM_RSRC2:USER_SGPR: 6
; COMPUTE_PGM_RSRC2:TRAP_HANDLER: 0
; COMPUTE_PGM_RSRC2:TGID_X_EN: 1
; COMPUTE_PGM_RSRC2:TGID_Y_EN: 1
; COMPUTE_PGM_RSRC2:TGID_Z_EN: 1
; COMPUTE_PGM_RSRC2:TIDIG_COMP_CNT: 1
	.section	.text._ZL29rocblas_internal_gemmt_kernelIlLi16ELi32ELi8ELc84ELc67ELc85ELb0ELb0EffPKPKfPKPfEviT_T9_T10_S7_lS9_S7_lS8_T11_S7_li,"axG",@progbits,_ZL29rocblas_internal_gemmt_kernelIlLi16ELi32ELi8ELc84ELc67ELc85ELb0ELb0EffPKPKfPKPfEviT_T9_T10_S7_lS9_S7_lS8_T11_S7_li,comdat
	.globl	_ZL29rocblas_internal_gemmt_kernelIlLi16ELi32ELi8ELc84ELc67ELc85ELb0ELb0EffPKPKfPKPfEviT_T9_T10_S7_lS9_S7_lS8_T11_S7_li ; -- Begin function _ZL29rocblas_internal_gemmt_kernelIlLi16ELi32ELi8ELc84ELc67ELc85ELb0ELb0EffPKPKfPKPfEviT_T9_T10_S7_lS9_S7_lS8_T11_S7_li
	.p2align	8
	.type	_ZL29rocblas_internal_gemmt_kernelIlLi16ELi32ELi8ELc84ELc67ELc85ELb0ELb0EffPKPKfPKPfEviT_T9_T10_S7_lS9_S7_lS8_T11_S7_li,@function
_ZL29rocblas_internal_gemmt_kernelIlLi16ELi32ELi8ELc84ELc67ELc85ELb0ELb0EffPKPKfPKPfEviT_T9_T10_S7_lS9_S7_lS8_T11_S7_li: ; @_ZL29rocblas_internal_gemmt_kernelIlLi16ELi32ELi8ELc84ELc67ELc85ELb0ELb0EffPKPKfPKPfEviT_T9_T10_S7_lS9_S7_lS8_T11_S7_li
; %bb.0:
	s_clause 0x2
	s_load_dword s24, s[4:5], 0x48
	s_load_dwordx2 s[16:17], s[4:5], 0x8
	s_load_dword s25, s[4:5], 0x10
	s_waitcnt lgkmcnt(0)
	v_cmp_neq_f32_e64 s0, s24, 1.0
	s_and_b32 vcc_lo, exec_lo, s0
	s_cbranch_vccnz .LBB455_2
; %bb.1:
	v_cmp_neq_f32_e64 s0, s25, 0
	s_cmp_lg_u64 s[16:17], 0
	s_cselect_b32 s1, -1, 0
	s_and_b32 s0, s1, s0
.LBB455_2:
	s_andn2_b32 vcc_lo, exec_lo, s0
	s_cbranch_vccnz .LBB455_28
; %bb.3:
	s_clause 0x1
	s_load_dwordx4 s[0:3], s[4:5], 0x50
	s_load_dword s26, s[4:5], 0x0
	s_mov_b32 s9, 0
	v_mov_b32_e32 v5, 0
	s_lshl_b64 s[22:23], s[8:9], 3
	v_mov_b32_e32 v4, 0
	v_mov_b32_e32 v7, 0
	;; [unrolled: 1-line block ×3, first 2 shown]
	s_waitcnt lgkmcnt(0)
	s_add_u32 s0, s0, s22
	s_addc_u32 s1, s1, s23
	s_load_dwordx2 s[20:21], s[4:5], 0x60
	s_load_dwordx2 s[18:19], s[0:1], 0x0
	v_cmp_lt_i64_e64 s0, s[16:17], 1
	v_cmp_eq_f32_e64 s1, s25, 0
	s_lshl_b32 s27, s6, 5
	s_lshl_b32 s28, s7, 5
	s_or_b32 s0, s1, s0
	s_and_b32 vcc_lo, exec_lo, s0
	s_cbranch_vccnz .LBB455_12
; %bb.4:
	s_clause 0x1
	s_load_dwordx8 s[8:15], s[4:5], 0x18
	s_load_dwordx4 s[4:7], s[4:5], 0x38
	v_lshl_add_u32 v2, v1, 4, v0
	v_and_b32_e32 v8, 7, v0
	v_lshlrev_b32_e32 v9, 2, v0
	v_lshl_add_u32 v10, v1, 5, 0x400
	v_mov_b32_e32 v3, 0
	v_and_b32_e32 v5, 31, v2
	v_lshrrev_b32_e32 v12, 3, v2
	v_lshrrev_b32_e32 v11, 5, v2
	v_lshlrev_b32_e32 v2, 2, v8
	v_mov_b32_e32 v6, 0
	v_or_b32_e32 v17, s27, v5
	v_add_nc_u32_e32 v13, s28, v12
	v_lshlrev_b32_e32 v5, 2, v5
	v_lshl_or_b32 v2, v12, 5, v2
	v_mov_b32_e32 v7, 0
	v_mov_b32_e32 v4, 0
	v_ashrrev_i32_e32 v14, 31, v13
	v_lshl_or_b32 v12, v11, 7, v5
	s_waitcnt lgkmcnt(0)
	s_add_u32 s0, s14, s22
	s_addc_u32 s1, s15, s23
	s_lshl_b64 s[6:7], s[6:7], 2
	s_load_dwordx2 s[0:1], s[0:1], 0x0
	v_mul_lo_u32 v18, s11, v17
	v_mad_u64_u32 v[15:16], null, s10, v17, 0
	v_mov_b32_e32 v5, 0
	s_waitcnt lgkmcnt(0)
	s_add_u32 s14, s0, s6
	s_addc_u32 s15, s1, s7
	s_add_u32 s0, s8, s22
	s_addc_u32 s1, s9, s23
	s_lshl_b64 s[6:7], s[12:13], 2
	s_load_dwordx2 s[0:1], s[0:1], 0x0
	s_waitcnt lgkmcnt(0)
	s_add_u32 s6, s0, s6
	s_addc_u32 s7, s1, s7
	s_ashr_i32 s0, s27, 31
	s_mul_i32 s1, s10, s0
	v_cmp_gt_i32_e64 s0, s26, v17
	v_add3_u32 v16, v16, s1, v18
	v_lshlrev_b64 v[17:18], 2, v[13:14]
	v_cmp_gt_i32_e64 s1, s26, v13
	v_add_nc_u32_e32 v13, 0x400, v2
	v_lshlrev_b64 v[19:20], 2, v[15:16]
	v_add_co_u32 v14, vcc_lo, s14, v17
	v_add_co_ci_u32_e64 v15, null, s15, v18, vcc_lo
	v_add_co_u32 v16, vcc_lo, s6, v19
	v_add_co_ci_u32_e64 v17, null, s7, v20, vcc_lo
	s_mov_b64 s[6:7], 0
	s_branch .LBB455_6
.LBB455_5:                              ;   in Loop: Header=BB455_6 Depth=1
	s_or_b32 exec_lo, exec_lo, s8
	s_waitcnt vmcnt(0) lgkmcnt(0)
	ds_write_b32 v13, v19
	s_waitcnt lgkmcnt(0)
	s_barrier
	buffer_gl0_inv
	ds_read_b128 v[18:21], v10
	ds_read2_b32 v[34:35], v9 offset1:16
	ds_read_b128 v[22:25], v10 offset:512
	ds_read2_b32 v[36:37], v9 offset0:32 offset1:48
	ds_read2_b32 v[38:39], v9 offset0:64 offset1:80
	;; [unrolled: 1-line block ×3, first 2 shown]
	ds_read_b128 v[26:29], v10 offset:16
	ds_read2_b32 v[42:43], v9 offset0:128 offset1:144
	ds_read_b128 v[30:33], v10 offset:528
	ds_read2_b32 v[44:45], v9 offset0:160 offset1:176
	s_add_u32 s6, s6, 8
	s_addc_u32 s7, s7, 0
	v_cmp_gt_i64_e64 s8, s[16:17], s[6:7]
	s_and_b32 vcc_lo, exec_lo, s8
	s_waitcnt lgkmcnt(8)
	v_fmac_f32_e32 v5, v34, v18
	v_fmac_f32_e32 v4, v35, v18
	s_waitcnt lgkmcnt(7)
	v_fmac_f32_e32 v7, v34, v22
	v_fmac_f32_e32 v6, v35, v22
	ds_read2_b32 v[34:35], v9 offset0:192 offset1:208
	s_waitcnt lgkmcnt(7)
	v_fmac_f32_e32 v5, v36, v19
	v_fmac_f32_e32 v4, v37, v19
	;; [unrolled: 1-line block ×4, first 2 shown]
	ds_read2_b32 v[18:19], v9 offset0:224 offset1:240
	s_waitcnt lgkmcnt(7)
	v_fmac_f32_e32 v5, v38, v20
	v_fmac_f32_e32 v4, v39, v20
	;; [unrolled: 1-line block ×4, first 2 shown]
	s_waitcnt lgkmcnt(0)
	v_fmac_f32_e32 v5, v40, v21
	v_fmac_f32_e32 v4, v41, v21
	;; [unrolled: 1-line block ×4, first 2 shown]
	s_barrier
	v_fmac_f32_e32 v5, v42, v26
	v_fmac_f32_e32 v4, v43, v26
	;; [unrolled: 1-line block ×4, first 2 shown]
	buffer_gl0_inv
	v_fmac_f32_e32 v5, v44, v27
	v_fmac_f32_e32 v4, v45, v27
	;; [unrolled: 1-line block ×12, first 2 shown]
	s_cbranch_vccz .LBB455_12
.LBB455_6:                              ; =>This Inner Loop Header: Depth=1
	v_mov_b32_e32 v18, 0
	s_and_saveexec_b32 s8, s0
	s_cbranch_execz .LBB455_10
; %bb.7:                                ;   in Loop: Header=BB455_6 Depth=1
	v_add_nc_u32_e32 v2, s6, v11
	v_mov_b32_e32 v18, 0
	s_mov_b32 s9, exec_lo
	v_cmpx_gt_u64_e64 s[16:17], v[2:3]
	s_cbranch_execz .LBB455_9
; %bb.8:                                ;   in Loop: Header=BB455_6 Depth=1
	v_lshlrev_b64 v[18:19], 2, v[2:3]
	v_add_co_u32 v18, vcc_lo, v16, v18
	v_add_co_ci_u32_e64 v19, null, v17, v19, vcc_lo
	flat_load_dword v18, v[18:19]
.LBB455_9:                              ;   in Loop: Header=BB455_6 Depth=1
	s_or_b32 exec_lo, exec_lo, s9
.LBB455_10:                             ;   in Loop: Header=BB455_6 Depth=1
	s_or_b32 exec_lo, exec_lo, s8
	v_add_nc_u32_e32 v2, s6, v8
	v_mov_b32_e32 v19, 0
	s_waitcnt vmcnt(0) lgkmcnt(0)
	ds_write_b32 v12, v18
	v_cmp_gt_u64_e32 vcc_lo, s[16:17], v[2:3]
	s_and_b32 s9, vcc_lo, s1
	s_and_saveexec_b32 s8, s9
	s_cbranch_execz .LBB455_5
; %bb.11:                               ;   in Loop: Header=BB455_6 Depth=1
	v_mad_u64_u32 v[18:19], null, s4, v2, 0
	v_mad_u64_u32 v[19:20], null, s5, v2, v[19:20]
	v_lshlrev_b64 v[18:19], 2, v[18:19]
	v_add_co_u32 v18, vcc_lo, v14, v18
	v_add_co_ci_u32_e64 v19, null, v15, v19, vcc_lo
	flat_load_dword v19, v[18:19]
	s_branch .LBB455_5
.LBB455_12:
	v_add_nc_u32_e32 v9, s28, v1
	v_add_nc_u32_e32 v0, s27, v0
	s_waitcnt lgkmcnt(0)
	s_lshl_b64 s[0:1], s[20:21], 2
	v_cmp_neq_f32_e64 s6, s24, 0
	s_add_u32 s4, s18, s0
	v_ashrrev_i32_e32 v3, 31, v9
	v_mul_lo_u32 v8, s3, v9
	v_mad_u64_u32 v[1:2], null, s2, v9, 0
	s_addc_u32 s5, s19, s1
	v_mul_lo_u32 v3, s2, v3
	v_cmp_gt_i32_e64 s0, s26, v9
	v_cmp_le_i32_e32 vcc_lo, v0, v9
	s_and_b32 s7, s0, vcc_lo
	v_add3_u32 v2, v2, v3, v8
	v_cndmask_b32_e64 v8, 0, 1, s6
	v_lshlrev_b64 v[2:3], 2, v[1:2]
	v_ashrrev_i32_e32 v1, 31, v0
	v_add_co_u32 v10, s1, s4, v2
	v_add_co_ci_u32_e64 v11, null, s5, v3, s1
	s_and_saveexec_b32 s1, s7
	s_cbranch_execz .LBB455_16
; %bb.13:
	v_lshlrev_b64 v[2:3], 2, v[0:1]
	v_mul_f32_e32 v5, s25, v5
	v_add_co_u32 v2, vcc_lo, v10, v2
	v_add_co_ci_u32_e64 v3, null, v11, v3, vcc_lo
	s_andn2_b32 vcc_lo, exec_lo, s6
	s_cbranch_vccnz .LBB455_15
; %bb.14:
	flat_load_dword v12, v[2:3]
	s_waitcnt vmcnt(0) lgkmcnt(0)
	v_fmac_f32_e32 v5, s24, v12
.LBB455_15:
	flat_store_dword v[2:3], v5
.LBB455_16:
	s_or_b32 exec_lo, exec_lo, s1
	v_add_nc_u32_e32 v2, 16, v0
	v_cmp_le_i32_e32 vcc_lo, v2, v9
	v_ashrrev_i32_e32 v3, 31, v2
	s_and_b32 s0, s0, vcc_lo
	s_and_saveexec_b32 s1, s0
	s_cbranch_execz .LBB455_20
; %bb.17:
	v_lshlrev_b64 v[13:14], 2, v[2:3]
	v_mul_f32_e32 v12, s25, v4
	v_cmp_ne_u32_e32 vcc_lo, 1, v8
	v_add_co_u32 v4, s0, v10, v13
	v_add_co_ci_u32_e64 v5, null, v11, v14, s0
	s_cbranch_vccnz .LBB455_19
; %bb.18:
	flat_load_dword v10, v[4:5]
	s_waitcnt vmcnt(0) lgkmcnt(0)
	v_fmac_f32_e32 v12, s24, v10
.LBB455_19:
	flat_store_dword v[4:5], v12
.LBB455_20:
	s_or_b32 exec_lo, exec_lo, s1
	v_add_nc_u32_e32 v9, 16, v9
	v_ashrrev_i32_e32 v10, 31, v9
	v_mul_lo_u32 v11, s3, v9
	v_mad_u64_u32 v[4:5], null, s2, v9, 0
	v_cmp_gt_i32_e64 s0, s26, v9
	v_mul_lo_u32 v10, s2, v10
	v_cmp_le_i32_e32 vcc_lo, v0, v9
	v_add3_u32 v5, v5, v10, v11
	v_lshlrev_b64 v[4:5], 2, v[4:5]
	v_add_co_u32 v4, s1, s4, v4
	v_add_co_ci_u32_e64 v5, null, s5, v5, s1
	s_and_b32 s1, s0, vcc_lo
	s_and_saveexec_b32 s2, s1
	s_cbranch_execz .LBB455_24
; %bb.21:
	v_lshlrev_b64 v[0:1], 2, v[0:1]
	v_cmp_ne_u32_e32 vcc_lo, 1, v8
	v_mul_f32_e32 v7, s25, v7
	v_add_co_u32 v0, s1, v4, v0
	v_add_co_ci_u32_e64 v1, null, v5, v1, s1
	s_cbranch_vccnz .LBB455_23
; %bb.22:
	flat_load_dword v10, v[0:1]
	s_waitcnt vmcnt(0) lgkmcnt(0)
	v_fmac_f32_e32 v7, s24, v10
.LBB455_23:
	flat_store_dword v[0:1], v7
.LBB455_24:
	s_or_b32 exec_lo, exec_lo, s2
	v_cmp_le_i32_e32 vcc_lo, v2, v9
	s_and_b32 s0, s0, vcc_lo
	s_and_saveexec_b32 s1, s0
	s_cbranch_execz .LBB455_28
; %bb.25:
	v_lshlrev_b64 v[0:1], 2, v[2:3]
	v_cmp_ne_u32_e32 vcc_lo, 1, v8
	v_mul_f32_e32 v2, s25, v6
	v_add_co_u32 v0, s0, v4, v0
	v_add_co_ci_u32_e64 v1, null, v5, v1, s0
	s_cbranch_vccnz .LBB455_27
; %bb.26:
	flat_load_dword v3, v[0:1]
	s_waitcnt vmcnt(0) lgkmcnt(0)
	v_fmac_f32_e32 v2, s24, v3
.LBB455_27:
	flat_store_dword v[0:1], v2
.LBB455_28:
	s_endpgm
	.section	.rodata,"a",@progbits
	.p2align	6, 0x0
	.amdhsa_kernel _ZL29rocblas_internal_gemmt_kernelIlLi16ELi32ELi8ELc84ELc67ELc85ELb0ELb0EffPKPKfPKPfEviT_T9_T10_S7_lS9_S7_lS8_T11_S7_li
		.amdhsa_group_segment_fixed_size 2048
		.amdhsa_private_segment_fixed_size 0
		.amdhsa_kernarg_size 108
		.amdhsa_user_sgpr_count 6
		.amdhsa_user_sgpr_private_segment_buffer 1
		.amdhsa_user_sgpr_dispatch_ptr 0
		.amdhsa_user_sgpr_queue_ptr 0
		.amdhsa_user_sgpr_kernarg_segment_ptr 1
		.amdhsa_user_sgpr_dispatch_id 0
		.amdhsa_user_sgpr_flat_scratch_init 0
		.amdhsa_user_sgpr_private_segment_size 0
		.amdhsa_wavefront_size32 1
		.amdhsa_uses_dynamic_stack 0
		.amdhsa_system_sgpr_private_segment_wavefront_offset 0
		.amdhsa_system_sgpr_workgroup_id_x 1
		.amdhsa_system_sgpr_workgroup_id_y 1
		.amdhsa_system_sgpr_workgroup_id_z 1
		.amdhsa_system_sgpr_workgroup_info 0
		.amdhsa_system_vgpr_workitem_id 1
		.amdhsa_next_free_vgpr 46
		.amdhsa_next_free_sgpr 29
		.amdhsa_reserve_vcc 1
		.amdhsa_reserve_flat_scratch 0
		.amdhsa_float_round_mode_32 0
		.amdhsa_float_round_mode_16_64 0
		.amdhsa_float_denorm_mode_32 3
		.amdhsa_float_denorm_mode_16_64 3
		.amdhsa_dx10_clamp 1
		.amdhsa_ieee_mode 1
		.amdhsa_fp16_overflow 0
		.amdhsa_workgroup_processor_mode 1
		.amdhsa_memory_ordered 1
		.amdhsa_forward_progress 1
		.amdhsa_shared_vgpr_count 0
		.amdhsa_exception_fp_ieee_invalid_op 0
		.amdhsa_exception_fp_denorm_src 0
		.amdhsa_exception_fp_ieee_div_zero 0
		.amdhsa_exception_fp_ieee_overflow 0
		.amdhsa_exception_fp_ieee_underflow 0
		.amdhsa_exception_fp_ieee_inexact 0
		.amdhsa_exception_int_div_zero 0
	.end_amdhsa_kernel
	.section	.text._ZL29rocblas_internal_gemmt_kernelIlLi16ELi32ELi8ELc84ELc67ELc85ELb0ELb0EffPKPKfPKPfEviT_T9_T10_S7_lS9_S7_lS8_T11_S7_li,"axG",@progbits,_ZL29rocblas_internal_gemmt_kernelIlLi16ELi32ELi8ELc84ELc67ELc85ELb0ELb0EffPKPKfPKPfEviT_T9_T10_S7_lS9_S7_lS8_T11_S7_li,comdat
.Lfunc_end455:
	.size	_ZL29rocblas_internal_gemmt_kernelIlLi16ELi32ELi8ELc84ELc67ELc85ELb0ELb0EffPKPKfPKPfEviT_T9_T10_S7_lS9_S7_lS8_T11_S7_li, .Lfunc_end455-_ZL29rocblas_internal_gemmt_kernelIlLi16ELi32ELi8ELc84ELc67ELc85ELb0ELb0EffPKPKfPKPfEviT_T9_T10_S7_lS9_S7_lS8_T11_S7_li
                                        ; -- End function
	.set _ZL29rocblas_internal_gemmt_kernelIlLi16ELi32ELi8ELc84ELc67ELc85ELb0ELb0EffPKPKfPKPfEviT_T9_T10_S7_lS9_S7_lS8_T11_S7_li.num_vgpr, 46
	.set _ZL29rocblas_internal_gemmt_kernelIlLi16ELi32ELi8ELc84ELc67ELc85ELb0ELb0EffPKPKfPKPfEviT_T9_T10_S7_lS9_S7_lS8_T11_S7_li.num_agpr, 0
	.set _ZL29rocblas_internal_gemmt_kernelIlLi16ELi32ELi8ELc84ELc67ELc85ELb0ELb0EffPKPKfPKPfEviT_T9_T10_S7_lS9_S7_lS8_T11_S7_li.numbered_sgpr, 29
	.set _ZL29rocblas_internal_gemmt_kernelIlLi16ELi32ELi8ELc84ELc67ELc85ELb0ELb0EffPKPKfPKPfEviT_T9_T10_S7_lS9_S7_lS8_T11_S7_li.num_named_barrier, 0
	.set _ZL29rocblas_internal_gemmt_kernelIlLi16ELi32ELi8ELc84ELc67ELc85ELb0ELb0EffPKPKfPKPfEviT_T9_T10_S7_lS9_S7_lS8_T11_S7_li.private_seg_size, 0
	.set _ZL29rocblas_internal_gemmt_kernelIlLi16ELi32ELi8ELc84ELc67ELc85ELb0ELb0EffPKPKfPKPfEviT_T9_T10_S7_lS9_S7_lS8_T11_S7_li.uses_vcc, 1
	.set _ZL29rocblas_internal_gemmt_kernelIlLi16ELi32ELi8ELc84ELc67ELc85ELb0ELb0EffPKPKfPKPfEviT_T9_T10_S7_lS9_S7_lS8_T11_S7_li.uses_flat_scratch, 0
	.set _ZL29rocblas_internal_gemmt_kernelIlLi16ELi32ELi8ELc84ELc67ELc85ELb0ELb0EffPKPKfPKPfEviT_T9_T10_S7_lS9_S7_lS8_T11_S7_li.has_dyn_sized_stack, 0
	.set _ZL29rocblas_internal_gemmt_kernelIlLi16ELi32ELi8ELc84ELc67ELc85ELb0ELb0EffPKPKfPKPfEviT_T9_T10_S7_lS9_S7_lS8_T11_S7_li.has_recursion, 0
	.set _ZL29rocblas_internal_gemmt_kernelIlLi16ELi32ELi8ELc84ELc67ELc85ELb0ELb0EffPKPKfPKPfEviT_T9_T10_S7_lS9_S7_lS8_T11_S7_li.has_indirect_call, 0
	.section	.AMDGPU.csdata,"",@progbits
; Kernel info:
; codeLenInByte = 1468
; TotalNumSgprs: 31
; NumVgprs: 46
; ScratchSize: 0
; MemoryBound: 0
; FloatMode: 240
; IeeeMode: 1
; LDSByteSize: 2048 bytes/workgroup (compile time only)
; SGPRBlocks: 0
; VGPRBlocks: 5
; NumSGPRsForWavesPerEU: 31
; NumVGPRsForWavesPerEU: 46
; Occupancy: 16
; WaveLimiterHint : 1
; COMPUTE_PGM_RSRC2:SCRATCH_EN: 0
; COMPUTE_PGM_RSRC2:USER_SGPR: 6
; COMPUTE_PGM_RSRC2:TRAP_HANDLER: 0
; COMPUTE_PGM_RSRC2:TGID_X_EN: 1
; COMPUTE_PGM_RSRC2:TGID_Y_EN: 1
; COMPUTE_PGM_RSRC2:TGID_Z_EN: 1
; COMPUTE_PGM_RSRC2:TIDIG_COMP_CNT: 1
	.section	.text._ZL29rocblas_internal_gemmt_kernelIlLi16ELi32ELi8ELc67ELc78ELc85ELb0ELb0EffPKPKfPKPfEviT_T9_T10_S7_lS9_S7_lS8_T11_S7_li,"axG",@progbits,_ZL29rocblas_internal_gemmt_kernelIlLi16ELi32ELi8ELc67ELc78ELc85ELb0ELb0EffPKPKfPKPfEviT_T9_T10_S7_lS9_S7_lS8_T11_S7_li,comdat
	.globl	_ZL29rocblas_internal_gemmt_kernelIlLi16ELi32ELi8ELc67ELc78ELc85ELb0ELb0EffPKPKfPKPfEviT_T9_T10_S7_lS9_S7_lS8_T11_S7_li ; -- Begin function _ZL29rocblas_internal_gemmt_kernelIlLi16ELi32ELi8ELc67ELc78ELc85ELb0ELb0EffPKPKfPKPfEviT_T9_T10_S7_lS9_S7_lS8_T11_S7_li
	.p2align	8
	.type	_ZL29rocblas_internal_gemmt_kernelIlLi16ELi32ELi8ELc67ELc78ELc85ELb0ELb0EffPKPKfPKPfEviT_T9_T10_S7_lS9_S7_lS8_T11_S7_li,@function
_ZL29rocblas_internal_gemmt_kernelIlLi16ELi32ELi8ELc67ELc78ELc85ELb0ELb0EffPKPKfPKPfEviT_T9_T10_S7_lS9_S7_lS8_T11_S7_li: ; @_ZL29rocblas_internal_gemmt_kernelIlLi16ELi32ELi8ELc67ELc78ELc85ELb0ELb0EffPKPKfPKPfEviT_T9_T10_S7_lS9_S7_lS8_T11_S7_li
; %bb.0:
	s_clause 0x2
	s_load_dword s24, s[4:5], 0x48
	s_load_dwordx2 s[16:17], s[4:5], 0x8
	s_load_dword s25, s[4:5], 0x10
	s_waitcnt lgkmcnt(0)
	v_cmp_neq_f32_e64 s0, s24, 1.0
	s_and_b32 vcc_lo, exec_lo, s0
	s_cbranch_vccnz .LBB456_2
; %bb.1:
	v_cmp_neq_f32_e64 s0, s25, 0
	s_cmp_lg_u64 s[16:17], 0
	s_cselect_b32 s1, -1, 0
	s_and_b32 s0, s1, s0
.LBB456_2:
	s_andn2_b32 vcc_lo, exec_lo, s0
	s_cbranch_vccnz .LBB456_28
; %bb.3:
	s_clause 0x1
	s_load_dwordx4 s[0:3], s[4:5], 0x50
	s_load_dword s26, s[4:5], 0x0
	s_mov_b32 s9, 0
	v_mov_b32_e32 v8, 0
	s_lshl_b64 s[22:23], s[8:9], 3
	v_mov_b32_e32 v4, 0
	v_mov_b32_e32 v7, 0
	;; [unrolled: 1-line block ×3, first 2 shown]
	s_waitcnt lgkmcnt(0)
	s_add_u32 s0, s0, s22
	s_addc_u32 s1, s1, s23
	s_load_dwordx2 s[20:21], s[4:5], 0x60
	s_load_dwordx2 s[18:19], s[0:1], 0x0
	v_cmp_lt_i64_e64 s0, s[16:17], 1
	v_cmp_eq_f32_e64 s1, s25, 0
	s_lshl_b32 s27, s6, 5
	s_lshl_b32 s28, s7, 5
	s_or_b32 s0, s1, s0
	s_and_b32 vcc_lo, exec_lo, s0
	s_cbranch_vccnz .LBB456_12
; %bb.4:
	s_clause 0x1
	s_load_dwordx8 s[8:15], s[4:5], 0x18
	s_load_dwordx4 s[4:7], s[4:5], 0x38
	v_lshl_add_u32 v2, v1, 4, v0
	v_and_b32_e32 v5, 7, v0
	v_lshlrev_b32_e32 v9, 2, v0
	v_lshl_add_u32 v10, v1, 5, 0x400
	v_mov_b32_e32 v3, 0
	v_lshrrev_b32_e32 v8, 3, v2
	v_and_b32_e32 v14, 31, v2
	v_mov_b32_e32 v6, 0
	v_mov_b32_e32 v7, 0
	;; [unrolled: 1-line block ×3, first 2 shown]
	v_add_nc_u32_e32 v18, s28, v8
	v_or_b32_e32 v16, s27, v14
	v_lshlrev_b32_e32 v20, 2, v14
	v_ashrrev_i32_e32 v11, 31, v18
	s_waitcnt lgkmcnt(0)
	s_add_u32 s0, s14, s22
	s_addc_u32 s1, s15, s23
	s_lshl_b64 s[6:7], s[6:7], 2
	s_load_dwordx2 s[0:1], s[0:1], 0x0
	v_mul_lo_u32 v17, s4, v11
	v_mul_lo_u32 v19, s5, v18
	v_mad_u64_u32 v[12:13], null, s4, v18, 0
	v_mul_lo_u32 v21, s11, v16
	v_mad_u64_u32 v[14:15], null, s10, v16, 0
	v_lshrrev_b32_e32 v11, 5, v2
	v_lshlrev_b32_e32 v2, 2, v5
	v_add3_u32 v13, v13, v17, v19
	v_lshl_or_b32 v2, v8, 5, v2
	v_mov_b32_e32 v8, 0
	s_waitcnt lgkmcnt(0)
	s_add_u32 s6, s0, s6
	s_addc_u32 s7, s1, s7
	s_add_u32 s0, s8, s22
	s_addc_u32 s1, s9, s23
	s_lshl_b64 s[4:5], s[12:13], 2
	s_load_dwordx2 s[0:1], s[0:1], 0x0
	s_waitcnt lgkmcnt(0)
	s_add_u32 s4, s0, s4
	s_addc_u32 s5, s1, s5
	s_ashr_i32 s0, s27, 31
	s_mul_i32 s1, s10, s0
	v_cmp_gt_i32_e64 s0, s26, v16
	v_add3_u32 v15, v15, s1, v21
	v_lshlrev_b64 v[16:17], 2, v[12:13]
	v_cmp_gt_i32_e64 s1, s26, v18
	v_lshl_or_b32 v12, v11, 7, v20
	v_add_nc_u32_e32 v13, 0x400, v2
	v_lshlrev_b64 v[18:19], 2, v[14:15]
	v_add_co_u32 v14, vcc_lo, s6, v16
	v_add_co_ci_u32_e64 v15, null, s7, v17, vcc_lo
	v_add_co_u32 v16, vcc_lo, s4, v18
	v_add_co_ci_u32_e64 v17, null, s5, v19, vcc_lo
	s_mov_b64 s[4:5], 0
	s_branch .LBB456_6
.LBB456_5:                              ;   in Loop: Header=BB456_6 Depth=1
	s_or_b32 exec_lo, exec_lo, s6
	s_waitcnt vmcnt(0) lgkmcnt(0)
	ds_write_b32 v13, v19
	s_waitcnt lgkmcnt(0)
	s_barrier
	buffer_gl0_inv
	ds_read_b128 v[18:21], v10
	ds_read2_b32 v[34:35], v9 offset1:16
	ds_read_b128 v[22:25], v10 offset:512
	ds_read2_b32 v[36:37], v9 offset0:32 offset1:48
	ds_read2_b32 v[38:39], v9 offset0:64 offset1:80
	;; [unrolled: 1-line block ×3, first 2 shown]
	ds_read_b128 v[26:29], v10 offset:16
	ds_read2_b32 v[42:43], v9 offset0:128 offset1:144
	ds_read_b128 v[30:33], v10 offset:528
	ds_read2_b32 v[44:45], v9 offset0:160 offset1:176
	s_add_u32 s4, s4, 8
	s_addc_u32 s5, s5, 0
	v_cmp_gt_i64_e64 s6, s[16:17], s[4:5]
	s_and_b32 vcc_lo, exec_lo, s6
	s_waitcnt lgkmcnt(8)
	v_fmac_f32_e32 v8, v34, v18
	v_fmac_f32_e32 v4, v35, v18
	s_waitcnt lgkmcnt(7)
	v_fmac_f32_e32 v7, v34, v22
	v_fmac_f32_e32 v6, v35, v22
	ds_read2_b32 v[34:35], v9 offset0:192 offset1:208
	s_waitcnt lgkmcnt(7)
	v_fmac_f32_e32 v8, v36, v19
	v_fmac_f32_e32 v4, v37, v19
	;; [unrolled: 1-line block ×4, first 2 shown]
	ds_read2_b32 v[18:19], v9 offset0:224 offset1:240
	s_waitcnt lgkmcnt(7)
	v_fmac_f32_e32 v8, v38, v20
	v_fmac_f32_e32 v4, v39, v20
	;; [unrolled: 1-line block ×4, first 2 shown]
	s_waitcnt lgkmcnt(0)
	v_fmac_f32_e32 v8, v40, v21
	v_fmac_f32_e32 v4, v41, v21
	;; [unrolled: 1-line block ×4, first 2 shown]
	s_barrier
	v_fmac_f32_e32 v8, v42, v26
	v_fmac_f32_e32 v4, v43, v26
	;; [unrolled: 1-line block ×4, first 2 shown]
	buffer_gl0_inv
	v_fmac_f32_e32 v8, v44, v27
	v_fmac_f32_e32 v4, v45, v27
	;; [unrolled: 1-line block ×12, first 2 shown]
	s_cbranch_vccz .LBB456_12
.LBB456_6:                              ; =>This Inner Loop Header: Depth=1
	v_mov_b32_e32 v18, 0
	s_and_saveexec_b32 s6, s0
	s_cbranch_execz .LBB456_10
; %bb.7:                                ;   in Loop: Header=BB456_6 Depth=1
	v_add_nc_u32_e32 v2, s4, v11
	v_mov_b32_e32 v18, 0
	s_mov_b32 s7, exec_lo
	v_cmpx_gt_u64_e64 s[16:17], v[2:3]
	s_cbranch_execz .LBB456_9
; %bb.8:                                ;   in Loop: Header=BB456_6 Depth=1
	v_lshlrev_b64 v[18:19], 2, v[2:3]
	v_add_co_u32 v18, vcc_lo, v16, v18
	v_add_co_ci_u32_e64 v19, null, v17, v19, vcc_lo
	flat_load_dword v18, v[18:19]
.LBB456_9:                              ;   in Loop: Header=BB456_6 Depth=1
	s_or_b32 exec_lo, exec_lo, s7
.LBB456_10:                             ;   in Loop: Header=BB456_6 Depth=1
	s_or_b32 exec_lo, exec_lo, s6
	v_add_nc_u32_e32 v2, s4, v5
	v_mov_b32_e32 v19, 0
	s_waitcnt vmcnt(0) lgkmcnt(0)
	ds_write_b32 v12, v18
	v_cmp_gt_u64_e32 vcc_lo, s[16:17], v[2:3]
	s_and_b32 s7, vcc_lo, s1
	s_and_saveexec_b32 s6, s7
	s_cbranch_execz .LBB456_5
; %bb.11:                               ;   in Loop: Header=BB456_6 Depth=1
	v_lshlrev_b64 v[18:19], 2, v[2:3]
	v_add_co_u32 v18, vcc_lo, v14, v18
	v_add_co_ci_u32_e64 v19, null, v15, v19, vcc_lo
	flat_load_dword v19, v[18:19]
	s_branch .LBB456_5
.LBB456_12:
	v_add_nc_u32_e32 v10, s28, v1
	v_add_nc_u32_e32 v0, s27, v0
	s_waitcnt lgkmcnt(0)
	s_lshl_b64 s[0:1], s[20:21], 2
	v_cmp_neq_f32_e64 s6, s24, 0
	s_add_u32 s4, s18, s0
	v_ashrrev_i32_e32 v3, 31, v10
	v_mul_lo_u32 v5, s3, v10
	v_mad_u64_u32 v[1:2], null, s2, v10, 0
	s_addc_u32 s5, s19, s1
	v_mul_lo_u32 v3, s2, v3
	v_cmp_gt_i32_e64 s0, s26, v10
	v_cmp_le_i32_e32 vcc_lo, v0, v10
	v_cndmask_b32_e64 v9, 0, 1, s6
	s_and_b32 s7, s0, vcc_lo
	v_add3_u32 v2, v2, v3, v5
	v_lshlrev_b64 v[2:3], 2, v[1:2]
	v_ashrrev_i32_e32 v1, 31, v0
	v_add_co_u32 v5, s1, s4, v2
	v_add_co_ci_u32_e64 v11, null, s5, v3, s1
	s_and_saveexec_b32 s1, s7
	s_cbranch_execz .LBB456_16
; %bb.13:
	v_lshlrev_b64 v[2:3], 2, v[0:1]
	v_mul_f32_e32 v8, s25, v8
	v_add_co_u32 v2, vcc_lo, v5, v2
	v_add_co_ci_u32_e64 v3, null, v11, v3, vcc_lo
	s_andn2_b32 vcc_lo, exec_lo, s6
	s_cbranch_vccnz .LBB456_15
; %bb.14:
	flat_load_dword v12, v[2:3]
	s_waitcnt vmcnt(0) lgkmcnt(0)
	v_fmac_f32_e32 v8, s24, v12
.LBB456_15:
	flat_store_dword v[2:3], v8
.LBB456_16:
	s_or_b32 exec_lo, exec_lo, s1
	v_add_nc_u32_e32 v2, 16, v0
	v_cmp_le_i32_e32 vcc_lo, v2, v10
	v_ashrrev_i32_e32 v3, 31, v2
	s_and_b32 s0, s0, vcc_lo
	s_and_saveexec_b32 s1, s0
	s_cbranch_execz .LBB456_20
; %bb.17:
	v_lshlrev_b64 v[12:13], 2, v[2:3]
	v_mul_f32_e32 v8, s25, v4
	v_cmp_ne_u32_e32 vcc_lo, 1, v9
	v_add_co_u32 v4, s0, v5, v12
	v_add_co_ci_u32_e64 v5, null, v11, v13, s0
	s_cbranch_vccnz .LBB456_19
; %bb.18:
	flat_load_dword v11, v[4:5]
	s_waitcnt vmcnt(0) lgkmcnt(0)
	v_fmac_f32_e32 v8, s24, v11
.LBB456_19:
	flat_store_dword v[4:5], v8
.LBB456_20:
	s_or_b32 exec_lo, exec_lo, s1
	v_add_nc_u32_e32 v8, 16, v10
	v_ashrrev_i32_e32 v10, 31, v8
	v_mul_lo_u32 v11, s3, v8
	v_mad_u64_u32 v[4:5], null, s2, v8, 0
	v_cmp_gt_i32_e64 s0, s26, v8
	v_mul_lo_u32 v10, s2, v10
	v_cmp_le_i32_e32 vcc_lo, v0, v8
	v_add3_u32 v5, v5, v10, v11
	v_lshlrev_b64 v[4:5], 2, v[4:5]
	v_add_co_u32 v4, s1, s4, v4
	v_add_co_ci_u32_e64 v5, null, s5, v5, s1
	s_and_b32 s1, s0, vcc_lo
	s_and_saveexec_b32 s2, s1
	s_cbranch_execz .LBB456_24
; %bb.21:
	v_lshlrev_b64 v[0:1], 2, v[0:1]
	v_cmp_ne_u32_e32 vcc_lo, 1, v9
	v_mul_f32_e32 v7, s25, v7
	v_add_co_u32 v0, s1, v4, v0
	v_add_co_ci_u32_e64 v1, null, v5, v1, s1
	s_cbranch_vccnz .LBB456_23
; %bb.22:
	flat_load_dword v10, v[0:1]
	s_waitcnt vmcnt(0) lgkmcnt(0)
	v_fmac_f32_e32 v7, s24, v10
.LBB456_23:
	flat_store_dword v[0:1], v7
.LBB456_24:
	s_or_b32 exec_lo, exec_lo, s2
	v_cmp_le_i32_e32 vcc_lo, v2, v8
	s_and_b32 s0, s0, vcc_lo
	s_and_saveexec_b32 s1, s0
	s_cbranch_execz .LBB456_28
; %bb.25:
	v_lshlrev_b64 v[0:1], 2, v[2:3]
	v_cmp_ne_u32_e32 vcc_lo, 1, v9
	v_mul_f32_e32 v2, s25, v6
	v_add_co_u32 v0, s0, v4, v0
	v_add_co_ci_u32_e64 v1, null, v5, v1, s0
	s_cbranch_vccnz .LBB456_27
; %bb.26:
	flat_load_dword v3, v[0:1]
	s_waitcnt vmcnt(0) lgkmcnt(0)
	v_fmac_f32_e32 v2, s24, v3
.LBB456_27:
	flat_store_dword v[0:1], v2
.LBB456_28:
	s_endpgm
	.section	.rodata,"a",@progbits
	.p2align	6, 0x0
	.amdhsa_kernel _ZL29rocblas_internal_gemmt_kernelIlLi16ELi32ELi8ELc67ELc78ELc85ELb0ELb0EffPKPKfPKPfEviT_T9_T10_S7_lS9_S7_lS8_T11_S7_li
		.amdhsa_group_segment_fixed_size 2048
		.amdhsa_private_segment_fixed_size 0
		.amdhsa_kernarg_size 108
		.amdhsa_user_sgpr_count 6
		.amdhsa_user_sgpr_private_segment_buffer 1
		.amdhsa_user_sgpr_dispatch_ptr 0
		.amdhsa_user_sgpr_queue_ptr 0
		.amdhsa_user_sgpr_kernarg_segment_ptr 1
		.amdhsa_user_sgpr_dispatch_id 0
		.amdhsa_user_sgpr_flat_scratch_init 0
		.amdhsa_user_sgpr_private_segment_size 0
		.amdhsa_wavefront_size32 1
		.amdhsa_uses_dynamic_stack 0
		.amdhsa_system_sgpr_private_segment_wavefront_offset 0
		.amdhsa_system_sgpr_workgroup_id_x 1
		.amdhsa_system_sgpr_workgroup_id_y 1
		.amdhsa_system_sgpr_workgroup_id_z 1
		.amdhsa_system_sgpr_workgroup_info 0
		.amdhsa_system_vgpr_workitem_id 1
		.amdhsa_next_free_vgpr 46
		.amdhsa_next_free_sgpr 29
		.amdhsa_reserve_vcc 1
		.amdhsa_reserve_flat_scratch 0
		.amdhsa_float_round_mode_32 0
		.amdhsa_float_round_mode_16_64 0
		.amdhsa_float_denorm_mode_32 3
		.amdhsa_float_denorm_mode_16_64 3
		.amdhsa_dx10_clamp 1
		.amdhsa_ieee_mode 1
		.amdhsa_fp16_overflow 0
		.amdhsa_workgroup_processor_mode 1
		.amdhsa_memory_ordered 1
		.amdhsa_forward_progress 1
		.amdhsa_shared_vgpr_count 0
		.amdhsa_exception_fp_ieee_invalid_op 0
		.amdhsa_exception_fp_denorm_src 0
		.amdhsa_exception_fp_ieee_div_zero 0
		.amdhsa_exception_fp_ieee_overflow 0
		.amdhsa_exception_fp_ieee_underflow 0
		.amdhsa_exception_fp_ieee_inexact 0
		.amdhsa_exception_int_div_zero 0
	.end_amdhsa_kernel
	.section	.text._ZL29rocblas_internal_gemmt_kernelIlLi16ELi32ELi8ELc67ELc78ELc85ELb0ELb0EffPKPKfPKPfEviT_T9_T10_S7_lS9_S7_lS8_T11_S7_li,"axG",@progbits,_ZL29rocblas_internal_gemmt_kernelIlLi16ELi32ELi8ELc67ELc78ELc85ELb0ELb0EffPKPKfPKPfEviT_T9_T10_S7_lS9_S7_lS8_T11_S7_li,comdat
.Lfunc_end456:
	.size	_ZL29rocblas_internal_gemmt_kernelIlLi16ELi32ELi8ELc67ELc78ELc85ELb0ELb0EffPKPKfPKPfEviT_T9_T10_S7_lS9_S7_lS8_T11_S7_li, .Lfunc_end456-_ZL29rocblas_internal_gemmt_kernelIlLi16ELi32ELi8ELc67ELc78ELc85ELb0ELb0EffPKPKfPKPfEviT_T9_T10_S7_lS9_S7_lS8_T11_S7_li
                                        ; -- End function
	.set _ZL29rocblas_internal_gemmt_kernelIlLi16ELi32ELi8ELc67ELc78ELc85ELb0ELb0EffPKPKfPKPfEviT_T9_T10_S7_lS9_S7_lS8_T11_S7_li.num_vgpr, 46
	.set _ZL29rocblas_internal_gemmt_kernelIlLi16ELi32ELi8ELc67ELc78ELc85ELb0ELb0EffPKPKfPKPfEviT_T9_T10_S7_lS9_S7_lS8_T11_S7_li.num_agpr, 0
	.set _ZL29rocblas_internal_gemmt_kernelIlLi16ELi32ELi8ELc67ELc78ELc85ELb0ELb0EffPKPKfPKPfEviT_T9_T10_S7_lS9_S7_lS8_T11_S7_li.numbered_sgpr, 29
	.set _ZL29rocblas_internal_gemmt_kernelIlLi16ELi32ELi8ELc67ELc78ELc85ELb0ELb0EffPKPKfPKPfEviT_T9_T10_S7_lS9_S7_lS8_T11_S7_li.num_named_barrier, 0
	.set _ZL29rocblas_internal_gemmt_kernelIlLi16ELi32ELi8ELc67ELc78ELc85ELb0ELb0EffPKPKfPKPfEviT_T9_T10_S7_lS9_S7_lS8_T11_S7_li.private_seg_size, 0
	.set _ZL29rocblas_internal_gemmt_kernelIlLi16ELi32ELi8ELc67ELc78ELc85ELb0ELb0EffPKPKfPKPfEviT_T9_T10_S7_lS9_S7_lS8_T11_S7_li.uses_vcc, 1
	.set _ZL29rocblas_internal_gemmt_kernelIlLi16ELi32ELi8ELc67ELc78ELc85ELb0ELb0EffPKPKfPKPfEviT_T9_T10_S7_lS9_S7_lS8_T11_S7_li.uses_flat_scratch, 0
	.set _ZL29rocblas_internal_gemmt_kernelIlLi16ELi32ELi8ELc67ELc78ELc85ELb0ELb0EffPKPKfPKPfEviT_T9_T10_S7_lS9_S7_lS8_T11_S7_li.has_dyn_sized_stack, 0
	.set _ZL29rocblas_internal_gemmt_kernelIlLi16ELi32ELi8ELc67ELc78ELc85ELb0ELb0EffPKPKfPKPfEviT_T9_T10_S7_lS9_S7_lS8_T11_S7_li.has_recursion, 0
	.set _ZL29rocblas_internal_gemmt_kernelIlLi16ELi32ELi8ELc67ELc78ELc85ELb0ELb0EffPKPKfPKPfEviT_T9_T10_S7_lS9_S7_lS8_T11_S7_li.has_indirect_call, 0
	.section	.AMDGPU.csdata,"",@progbits
; Kernel info:
; codeLenInByte = 1484
; TotalNumSgprs: 31
; NumVgprs: 46
; ScratchSize: 0
; MemoryBound: 0
; FloatMode: 240
; IeeeMode: 1
; LDSByteSize: 2048 bytes/workgroup (compile time only)
; SGPRBlocks: 0
; VGPRBlocks: 5
; NumSGPRsForWavesPerEU: 31
; NumVGPRsForWavesPerEU: 46
; Occupancy: 16
; WaveLimiterHint : 1
; COMPUTE_PGM_RSRC2:SCRATCH_EN: 0
; COMPUTE_PGM_RSRC2:USER_SGPR: 6
; COMPUTE_PGM_RSRC2:TRAP_HANDLER: 0
; COMPUTE_PGM_RSRC2:TGID_X_EN: 1
; COMPUTE_PGM_RSRC2:TGID_Y_EN: 1
; COMPUTE_PGM_RSRC2:TGID_Z_EN: 1
; COMPUTE_PGM_RSRC2:TIDIG_COMP_CNT: 1
	.section	.text._ZL29rocblas_internal_gemmt_kernelIlLi16ELi32ELi8ELc67ELc84ELc85ELb0ELb0EffPKPKfPKPfEviT_T9_T10_S7_lS9_S7_lS8_T11_S7_li,"axG",@progbits,_ZL29rocblas_internal_gemmt_kernelIlLi16ELi32ELi8ELc67ELc84ELc85ELb0ELb0EffPKPKfPKPfEviT_T9_T10_S7_lS9_S7_lS8_T11_S7_li,comdat
	.globl	_ZL29rocblas_internal_gemmt_kernelIlLi16ELi32ELi8ELc67ELc84ELc85ELb0ELb0EffPKPKfPKPfEviT_T9_T10_S7_lS9_S7_lS8_T11_S7_li ; -- Begin function _ZL29rocblas_internal_gemmt_kernelIlLi16ELi32ELi8ELc67ELc84ELc85ELb0ELb0EffPKPKfPKPfEviT_T9_T10_S7_lS9_S7_lS8_T11_S7_li
	.p2align	8
	.type	_ZL29rocblas_internal_gemmt_kernelIlLi16ELi32ELi8ELc67ELc84ELc85ELb0ELb0EffPKPKfPKPfEviT_T9_T10_S7_lS9_S7_lS8_T11_S7_li,@function
_ZL29rocblas_internal_gemmt_kernelIlLi16ELi32ELi8ELc67ELc84ELc85ELb0ELb0EffPKPKfPKPfEviT_T9_T10_S7_lS9_S7_lS8_T11_S7_li: ; @_ZL29rocblas_internal_gemmt_kernelIlLi16ELi32ELi8ELc67ELc84ELc85ELb0ELb0EffPKPKfPKPfEviT_T9_T10_S7_lS9_S7_lS8_T11_S7_li
; %bb.0:
	s_clause 0x2
	s_load_dword s24, s[4:5], 0x48
	s_load_dwordx2 s[16:17], s[4:5], 0x8
	s_load_dword s25, s[4:5], 0x10
	s_waitcnt lgkmcnt(0)
	v_cmp_neq_f32_e64 s0, s24, 1.0
	s_and_b32 vcc_lo, exec_lo, s0
	s_cbranch_vccnz .LBB457_2
; %bb.1:
	v_cmp_neq_f32_e64 s0, s25, 0
	s_cmp_lg_u64 s[16:17], 0
	s_cselect_b32 s1, -1, 0
	s_and_b32 s0, s1, s0
.LBB457_2:
	s_andn2_b32 vcc_lo, exec_lo, s0
	s_cbranch_vccnz .LBB457_28
; %bb.3:
	s_clause 0x1
	s_load_dwordx4 s[0:3], s[4:5], 0x50
	s_load_dword s26, s[4:5], 0x0
	s_mov_b32 s9, 0
	v_mov_b32_e32 v5, 0
	s_lshl_b64 s[22:23], s[8:9], 3
	v_mov_b32_e32 v4, 0
	v_mov_b32_e32 v7, 0
	;; [unrolled: 1-line block ×3, first 2 shown]
	s_waitcnt lgkmcnt(0)
	s_add_u32 s0, s0, s22
	s_addc_u32 s1, s1, s23
	s_load_dwordx2 s[20:21], s[4:5], 0x60
	s_load_dwordx2 s[18:19], s[0:1], 0x0
	v_cmp_lt_i64_e64 s0, s[16:17], 1
	v_cmp_eq_f32_e64 s1, s25, 0
	s_lshl_b32 s27, s6, 5
	s_lshl_b32 s28, s7, 5
	s_or_b32 s0, s1, s0
	s_and_b32 vcc_lo, exec_lo, s0
	s_cbranch_vccnz .LBB457_12
; %bb.4:
	s_clause 0x1
	s_load_dwordx8 s[8:15], s[4:5], 0x18
	s_load_dwordx4 s[4:7], s[4:5], 0x38
	v_lshl_add_u32 v2, v1, 4, v0
	v_and_b32_e32 v8, 7, v0
	v_lshlrev_b32_e32 v9, 2, v0
	v_lshl_add_u32 v10, v1, 5, 0x400
	v_mov_b32_e32 v3, 0
	v_and_b32_e32 v5, 31, v2
	v_lshrrev_b32_e32 v12, 3, v2
	v_lshrrev_b32_e32 v11, 5, v2
	v_lshlrev_b32_e32 v2, 2, v8
	v_mov_b32_e32 v6, 0
	v_or_b32_e32 v17, s27, v5
	v_add_nc_u32_e32 v13, s28, v12
	v_lshlrev_b32_e32 v5, 2, v5
	v_lshl_or_b32 v2, v12, 5, v2
	v_mov_b32_e32 v7, 0
	v_mov_b32_e32 v4, 0
	v_ashrrev_i32_e32 v14, 31, v13
	v_lshl_or_b32 v12, v11, 7, v5
	s_waitcnt lgkmcnt(0)
	s_add_u32 s0, s14, s22
	s_addc_u32 s1, s15, s23
	s_lshl_b64 s[6:7], s[6:7], 2
	s_load_dwordx2 s[0:1], s[0:1], 0x0
	v_mul_lo_u32 v18, s11, v17
	v_mad_u64_u32 v[15:16], null, s10, v17, 0
	v_mov_b32_e32 v5, 0
	s_waitcnt lgkmcnt(0)
	s_add_u32 s14, s0, s6
	s_addc_u32 s15, s1, s7
	s_add_u32 s0, s8, s22
	s_addc_u32 s1, s9, s23
	s_lshl_b64 s[6:7], s[12:13], 2
	s_load_dwordx2 s[0:1], s[0:1], 0x0
	s_waitcnt lgkmcnt(0)
	s_add_u32 s6, s0, s6
	s_addc_u32 s7, s1, s7
	s_ashr_i32 s0, s27, 31
	s_mul_i32 s1, s10, s0
	v_cmp_gt_i32_e64 s0, s26, v17
	v_add3_u32 v16, v16, s1, v18
	v_lshlrev_b64 v[17:18], 2, v[13:14]
	v_cmp_gt_i32_e64 s1, s26, v13
	v_add_nc_u32_e32 v13, 0x400, v2
	v_lshlrev_b64 v[19:20], 2, v[15:16]
	v_add_co_u32 v14, vcc_lo, s14, v17
	v_add_co_ci_u32_e64 v15, null, s15, v18, vcc_lo
	v_add_co_u32 v16, vcc_lo, s6, v19
	v_add_co_ci_u32_e64 v17, null, s7, v20, vcc_lo
	s_mov_b64 s[6:7], 0
	s_branch .LBB457_6
.LBB457_5:                              ;   in Loop: Header=BB457_6 Depth=1
	s_or_b32 exec_lo, exec_lo, s8
	s_waitcnt vmcnt(0) lgkmcnt(0)
	ds_write_b32 v13, v19
	s_waitcnt lgkmcnt(0)
	s_barrier
	buffer_gl0_inv
	ds_read_b128 v[18:21], v10
	ds_read2_b32 v[34:35], v9 offset1:16
	ds_read_b128 v[22:25], v10 offset:512
	ds_read2_b32 v[36:37], v9 offset0:32 offset1:48
	ds_read2_b32 v[38:39], v9 offset0:64 offset1:80
	;; [unrolled: 1-line block ×3, first 2 shown]
	ds_read_b128 v[26:29], v10 offset:16
	ds_read2_b32 v[42:43], v9 offset0:128 offset1:144
	ds_read_b128 v[30:33], v10 offset:528
	ds_read2_b32 v[44:45], v9 offset0:160 offset1:176
	s_add_u32 s6, s6, 8
	s_addc_u32 s7, s7, 0
	v_cmp_gt_i64_e64 s8, s[16:17], s[6:7]
	s_and_b32 vcc_lo, exec_lo, s8
	s_waitcnt lgkmcnt(8)
	v_fmac_f32_e32 v5, v34, v18
	v_fmac_f32_e32 v4, v35, v18
	s_waitcnt lgkmcnt(7)
	v_fmac_f32_e32 v7, v34, v22
	v_fmac_f32_e32 v6, v35, v22
	ds_read2_b32 v[34:35], v9 offset0:192 offset1:208
	s_waitcnt lgkmcnt(7)
	v_fmac_f32_e32 v5, v36, v19
	v_fmac_f32_e32 v4, v37, v19
	;; [unrolled: 1-line block ×4, first 2 shown]
	ds_read2_b32 v[18:19], v9 offset0:224 offset1:240
	s_waitcnt lgkmcnt(7)
	v_fmac_f32_e32 v5, v38, v20
	v_fmac_f32_e32 v4, v39, v20
	;; [unrolled: 1-line block ×4, first 2 shown]
	s_waitcnt lgkmcnt(0)
	v_fmac_f32_e32 v5, v40, v21
	v_fmac_f32_e32 v4, v41, v21
	;; [unrolled: 1-line block ×4, first 2 shown]
	s_barrier
	v_fmac_f32_e32 v5, v42, v26
	v_fmac_f32_e32 v4, v43, v26
	;; [unrolled: 1-line block ×4, first 2 shown]
	buffer_gl0_inv
	v_fmac_f32_e32 v5, v44, v27
	v_fmac_f32_e32 v4, v45, v27
	;; [unrolled: 1-line block ×12, first 2 shown]
	s_cbranch_vccz .LBB457_12
.LBB457_6:                              ; =>This Inner Loop Header: Depth=1
	v_mov_b32_e32 v18, 0
	s_and_saveexec_b32 s8, s0
	s_cbranch_execz .LBB457_10
; %bb.7:                                ;   in Loop: Header=BB457_6 Depth=1
	v_add_nc_u32_e32 v2, s6, v11
	v_mov_b32_e32 v18, 0
	s_mov_b32 s9, exec_lo
	v_cmpx_gt_u64_e64 s[16:17], v[2:3]
	s_cbranch_execz .LBB457_9
; %bb.8:                                ;   in Loop: Header=BB457_6 Depth=1
	v_lshlrev_b64 v[18:19], 2, v[2:3]
	v_add_co_u32 v18, vcc_lo, v16, v18
	v_add_co_ci_u32_e64 v19, null, v17, v19, vcc_lo
	flat_load_dword v18, v[18:19]
.LBB457_9:                              ;   in Loop: Header=BB457_6 Depth=1
	s_or_b32 exec_lo, exec_lo, s9
.LBB457_10:                             ;   in Loop: Header=BB457_6 Depth=1
	s_or_b32 exec_lo, exec_lo, s8
	v_add_nc_u32_e32 v2, s6, v8
	v_mov_b32_e32 v19, 0
	s_waitcnt vmcnt(0) lgkmcnt(0)
	ds_write_b32 v12, v18
	v_cmp_gt_u64_e32 vcc_lo, s[16:17], v[2:3]
	s_and_b32 s9, vcc_lo, s1
	s_and_saveexec_b32 s8, s9
	s_cbranch_execz .LBB457_5
; %bb.11:                               ;   in Loop: Header=BB457_6 Depth=1
	v_mad_u64_u32 v[18:19], null, s4, v2, 0
	v_mad_u64_u32 v[19:20], null, s5, v2, v[19:20]
	v_lshlrev_b64 v[18:19], 2, v[18:19]
	v_add_co_u32 v18, vcc_lo, v14, v18
	v_add_co_ci_u32_e64 v19, null, v15, v19, vcc_lo
	flat_load_dword v19, v[18:19]
	s_branch .LBB457_5
.LBB457_12:
	v_add_nc_u32_e32 v9, s28, v1
	v_add_nc_u32_e32 v0, s27, v0
	s_waitcnt lgkmcnt(0)
	s_lshl_b64 s[0:1], s[20:21], 2
	v_cmp_neq_f32_e64 s6, s24, 0
	s_add_u32 s4, s18, s0
	v_ashrrev_i32_e32 v3, 31, v9
	v_mul_lo_u32 v8, s3, v9
	v_mad_u64_u32 v[1:2], null, s2, v9, 0
	s_addc_u32 s5, s19, s1
	v_mul_lo_u32 v3, s2, v3
	v_cmp_gt_i32_e64 s0, s26, v9
	v_cmp_le_i32_e32 vcc_lo, v0, v9
	s_and_b32 s7, s0, vcc_lo
	v_add3_u32 v2, v2, v3, v8
	v_cndmask_b32_e64 v8, 0, 1, s6
	v_lshlrev_b64 v[2:3], 2, v[1:2]
	v_ashrrev_i32_e32 v1, 31, v0
	v_add_co_u32 v10, s1, s4, v2
	v_add_co_ci_u32_e64 v11, null, s5, v3, s1
	s_and_saveexec_b32 s1, s7
	s_cbranch_execz .LBB457_16
; %bb.13:
	v_lshlrev_b64 v[2:3], 2, v[0:1]
	v_mul_f32_e32 v5, s25, v5
	v_add_co_u32 v2, vcc_lo, v10, v2
	v_add_co_ci_u32_e64 v3, null, v11, v3, vcc_lo
	s_andn2_b32 vcc_lo, exec_lo, s6
	s_cbranch_vccnz .LBB457_15
; %bb.14:
	flat_load_dword v12, v[2:3]
	s_waitcnt vmcnt(0) lgkmcnt(0)
	v_fmac_f32_e32 v5, s24, v12
.LBB457_15:
	flat_store_dword v[2:3], v5
.LBB457_16:
	s_or_b32 exec_lo, exec_lo, s1
	v_add_nc_u32_e32 v2, 16, v0
	v_cmp_le_i32_e32 vcc_lo, v2, v9
	v_ashrrev_i32_e32 v3, 31, v2
	s_and_b32 s0, s0, vcc_lo
	s_and_saveexec_b32 s1, s0
	s_cbranch_execz .LBB457_20
; %bb.17:
	v_lshlrev_b64 v[13:14], 2, v[2:3]
	v_mul_f32_e32 v12, s25, v4
	v_cmp_ne_u32_e32 vcc_lo, 1, v8
	v_add_co_u32 v4, s0, v10, v13
	v_add_co_ci_u32_e64 v5, null, v11, v14, s0
	s_cbranch_vccnz .LBB457_19
; %bb.18:
	flat_load_dword v10, v[4:5]
	s_waitcnt vmcnt(0) lgkmcnt(0)
	v_fmac_f32_e32 v12, s24, v10
.LBB457_19:
	flat_store_dword v[4:5], v12
.LBB457_20:
	s_or_b32 exec_lo, exec_lo, s1
	v_add_nc_u32_e32 v9, 16, v9
	v_ashrrev_i32_e32 v10, 31, v9
	v_mul_lo_u32 v11, s3, v9
	v_mad_u64_u32 v[4:5], null, s2, v9, 0
	v_cmp_gt_i32_e64 s0, s26, v9
	v_mul_lo_u32 v10, s2, v10
	v_cmp_le_i32_e32 vcc_lo, v0, v9
	v_add3_u32 v5, v5, v10, v11
	v_lshlrev_b64 v[4:5], 2, v[4:5]
	v_add_co_u32 v4, s1, s4, v4
	v_add_co_ci_u32_e64 v5, null, s5, v5, s1
	s_and_b32 s1, s0, vcc_lo
	s_and_saveexec_b32 s2, s1
	s_cbranch_execz .LBB457_24
; %bb.21:
	v_lshlrev_b64 v[0:1], 2, v[0:1]
	v_cmp_ne_u32_e32 vcc_lo, 1, v8
	v_mul_f32_e32 v7, s25, v7
	v_add_co_u32 v0, s1, v4, v0
	v_add_co_ci_u32_e64 v1, null, v5, v1, s1
	s_cbranch_vccnz .LBB457_23
; %bb.22:
	flat_load_dword v10, v[0:1]
	s_waitcnt vmcnt(0) lgkmcnt(0)
	v_fmac_f32_e32 v7, s24, v10
.LBB457_23:
	flat_store_dword v[0:1], v7
.LBB457_24:
	s_or_b32 exec_lo, exec_lo, s2
	v_cmp_le_i32_e32 vcc_lo, v2, v9
	s_and_b32 s0, s0, vcc_lo
	s_and_saveexec_b32 s1, s0
	s_cbranch_execz .LBB457_28
; %bb.25:
	v_lshlrev_b64 v[0:1], 2, v[2:3]
	v_cmp_ne_u32_e32 vcc_lo, 1, v8
	v_mul_f32_e32 v2, s25, v6
	v_add_co_u32 v0, s0, v4, v0
	v_add_co_ci_u32_e64 v1, null, v5, v1, s0
	s_cbranch_vccnz .LBB457_27
; %bb.26:
	flat_load_dword v3, v[0:1]
	s_waitcnt vmcnt(0) lgkmcnt(0)
	v_fmac_f32_e32 v2, s24, v3
.LBB457_27:
	flat_store_dword v[0:1], v2
.LBB457_28:
	s_endpgm
	.section	.rodata,"a",@progbits
	.p2align	6, 0x0
	.amdhsa_kernel _ZL29rocblas_internal_gemmt_kernelIlLi16ELi32ELi8ELc67ELc84ELc85ELb0ELb0EffPKPKfPKPfEviT_T9_T10_S7_lS9_S7_lS8_T11_S7_li
		.amdhsa_group_segment_fixed_size 2048
		.amdhsa_private_segment_fixed_size 0
		.amdhsa_kernarg_size 108
		.amdhsa_user_sgpr_count 6
		.amdhsa_user_sgpr_private_segment_buffer 1
		.amdhsa_user_sgpr_dispatch_ptr 0
		.amdhsa_user_sgpr_queue_ptr 0
		.amdhsa_user_sgpr_kernarg_segment_ptr 1
		.amdhsa_user_sgpr_dispatch_id 0
		.amdhsa_user_sgpr_flat_scratch_init 0
		.amdhsa_user_sgpr_private_segment_size 0
		.amdhsa_wavefront_size32 1
		.amdhsa_uses_dynamic_stack 0
		.amdhsa_system_sgpr_private_segment_wavefront_offset 0
		.amdhsa_system_sgpr_workgroup_id_x 1
		.amdhsa_system_sgpr_workgroup_id_y 1
		.amdhsa_system_sgpr_workgroup_id_z 1
		.amdhsa_system_sgpr_workgroup_info 0
		.amdhsa_system_vgpr_workitem_id 1
		.amdhsa_next_free_vgpr 46
		.amdhsa_next_free_sgpr 29
		.amdhsa_reserve_vcc 1
		.amdhsa_reserve_flat_scratch 0
		.amdhsa_float_round_mode_32 0
		.amdhsa_float_round_mode_16_64 0
		.amdhsa_float_denorm_mode_32 3
		.amdhsa_float_denorm_mode_16_64 3
		.amdhsa_dx10_clamp 1
		.amdhsa_ieee_mode 1
		.amdhsa_fp16_overflow 0
		.amdhsa_workgroup_processor_mode 1
		.amdhsa_memory_ordered 1
		.amdhsa_forward_progress 1
		.amdhsa_shared_vgpr_count 0
		.amdhsa_exception_fp_ieee_invalid_op 0
		.amdhsa_exception_fp_denorm_src 0
		.amdhsa_exception_fp_ieee_div_zero 0
		.amdhsa_exception_fp_ieee_overflow 0
		.amdhsa_exception_fp_ieee_underflow 0
		.amdhsa_exception_fp_ieee_inexact 0
		.amdhsa_exception_int_div_zero 0
	.end_amdhsa_kernel
	.section	.text._ZL29rocblas_internal_gemmt_kernelIlLi16ELi32ELi8ELc67ELc84ELc85ELb0ELb0EffPKPKfPKPfEviT_T9_T10_S7_lS9_S7_lS8_T11_S7_li,"axG",@progbits,_ZL29rocblas_internal_gemmt_kernelIlLi16ELi32ELi8ELc67ELc84ELc85ELb0ELb0EffPKPKfPKPfEviT_T9_T10_S7_lS9_S7_lS8_T11_S7_li,comdat
.Lfunc_end457:
	.size	_ZL29rocblas_internal_gemmt_kernelIlLi16ELi32ELi8ELc67ELc84ELc85ELb0ELb0EffPKPKfPKPfEviT_T9_T10_S7_lS9_S7_lS8_T11_S7_li, .Lfunc_end457-_ZL29rocblas_internal_gemmt_kernelIlLi16ELi32ELi8ELc67ELc84ELc85ELb0ELb0EffPKPKfPKPfEviT_T9_T10_S7_lS9_S7_lS8_T11_S7_li
                                        ; -- End function
	.set _ZL29rocblas_internal_gemmt_kernelIlLi16ELi32ELi8ELc67ELc84ELc85ELb0ELb0EffPKPKfPKPfEviT_T9_T10_S7_lS9_S7_lS8_T11_S7_li.num_vgpr, 46
	.set _ZL29rocblas_internal_gemmt_kernelIlLi16ELi32ELi8ELc67ELc84ELc85ELb0ELb0EffPKPKfPKPfEviT_T9_T10_S7_lS9_S7_lS8_T11_S7_li.num_agpr, 0
	.set _ZL29rocblas_internal_gemmt_kernelIlLi16ELi32ELi8ELc67ELc84ELc85ELb0ELb0EffPKPKfPKPfEviT_T9_T10_S7_lS9_S7_lS8_T11_S7_li.numbered_sgpr, 29
	.set _ZL29rocblas_internal_gemmt_kernelIlLi16ELi32ELi8ELc67ELc84ELc85ELb0ELb0EffPKPKfPKPfEviT_T9_T10_S7_lS9_S7_lS8_T11_S7_li.num_named_barrier, 0
	.set _ZL29rocblas_internal_gemmt_kernelIlLi16ELi32ELi8ELc67ELc84ELc85ELb0ELb0EffPKPKfPKPfEviT_T9_T10_S7_lS9_S7_lS8_T11_S7_li.private_seg_size, 0
	.set _ZL29rocblas_internal_gemmt_kernelIlLi16ELi32ELi8ELc67ELc84ELc85ELb0ELb0EffPKPKfPKPfEviT_T9_T10_S7_lS9_S7_lS8_T11_S7_li.uses_vcc, 1
	.set _ZL29rocblas_internal_gemmt_kernelIlLi16ELi32ELi8ELc67ELc84ELc85ELb0ELb0EffPKPKfPKPfEviT_T9_T10_S7_lS9_S7_lS8_T11_S7_li.uses_flat_scratch, 0
	.set _ZL29rocblas_internal_gemmt_kernelIlLi16ELi32ELi8ELc67ELc84ELc85ELb0ELb0EffPKPKfPKPfEviT_T9_T10_S7_lS9_S7_lS8_T11_S7_li.has_dyn_sized_stack, 0
	.set _ZL29rocblas_internal_gemmt_kernelIlLi16ELi32ELi8ELc67ELc84ELc85ELb0ELb0EffPKPKfPKPfEviT_T9_T10_S7_lS9_S7_lS8_T11_S7_li.has_recursion, 0
	.set _ZL29rocblas_internal_gemmt_kernelIlLi16ELi32ELi8ELc67ELc84ELc85ELb0ELb0EffPKPKfPKPfEviT_T9_T10_S7_lS9_S7_lS8_T11_S7_li.has_indirect_call, 0
	.section	.AMDGPU.csdata,"",@progbits
; Kernel info:
; codeLenInByte = 1468
; TotalNumSgprs: 31
; NumVgprs: 46
; ScratchSize: 0
; MemoryBound: 0
; FloatMode: 240
; IeeeMode: 1
; LDSByteSize: 2048 bytes/workgroup (compile time only)
; SGPRBlocks: 0
; VGPRBlocks: 5
; NumSGPRsForWavesPerEU: 31
; NumVGPRsForWavesPerEU: 46
; Occupancy: 16
; WaveLimiterHint : 1
; COMPUTE_PGM_RSRC2:SCRATCH_EN: 0
; COMPUTE_PGM_RSRC2:USER_SGPR: 6
; COMPUTE_PGM_RSRC2:TRAP_HANDLER: 0
; COMPUTE_PGM_RSRC2:TGID_X_EN: 1
; COMPUTE_PGM_RSRC2:TGID_Y_EN: 1
; COMPUTE_PGM_RSRC2:TGID_Z_EN: 1
; COMPUTE_PGM_RSRC2:TIDIG_COMP_CNT: 1
	.section	.text._ZL29rocblas_internal_gemmt_kernelIlLi16ELi32ELi8ELc67ELc67ELc85ELb0ELb0EffPKPKfPKPfEviT_T9_T10_S7_lS9_S7_lS8_T11_S7_li,"axG",@progbits,_ZL29rocblas_internal_gemmt_kernelIlLi16ELi32ELi8ELc67ELc67ELc85ELb0ELb0EffPKPKfPKPfEviT_T9_T10_S7_lS9_S7_lS8_T11_S7_li,comdat
	.globl	_ZL29rocblas_internal_gemmt_kernelIlLi16ELi32ELi8ELc67ELc67ELc85ELb0ELb0EffPKPKfPKPfEviT_T9_T10_S7_lS9_S7_lS8_T11_S7_li ; -- Begin function _ZL29rocblas_internal_gemmt_kernelIlLi16ELi32ELi8ELc67ELc67ELc85ELb0ELb0EffPKPKfPKPfEviT_T9_T10_S7_lS9_S7_lS8_T11_S7_li
	.p2align	8
	.type	_ZL29rocblas_internal_gemmt_kernelIlLi16ELi32ELi8ELc67ELc67ELc85ELb0ELb0EffPKPKfPKPfEviT_T9_T10_S7_lS9_S7_lS8_T11_S7_li,@function
_ZL29rocblas_internal_gemmt_kernelIlLi16ELi32ELi8ELc67ELc67ELc85ELb0ELb0EffPKPKfPKPfEviT_T9_T10_S7_lS9_S7_lS8_T11_S7_li: ; @_ZL29rocblas_internal_gemmt_kernelIlLi16ELi32ELi8ELc67ELc67ELc85ELb0ELb0EffPKPKfPKPfEviT_T9_T10_S7_lS9_S7_lS8_T11_S7_li
; %bb.0:
	s_clause 0x2
	s_load_dword s24, s[4:5], 0x48
	s_load_dwordx2 s[16:17], s[4:5], 0x8
	s_load_dword s25, s[4:5], 0x10
	s_waitcnt lgkmcnt(0)
	v_cmp_neq_f32_e64 s0, s24, 1.0
	s_and_b32 vcc_lo, exec_lo, s0
	s_cbranch_vccnz .LBB458_2
; %bb.1:
	v_cmp_neq_f32_e64 s0, s25, 0
	s_cmp_lg_u64 s[16:17], 0
	s_cselect_b32 s1, -1, 0
	s_and_b32 s0, s1, s0
.LBB458_2:
	s_andn2_b32 vcc_lo, exec_lo, s0
	s_cbranch_vccnz .LBB458_28
; %bb.3:
	s_clause 0x1
	s_load_dwordx4 s[0:3], s[4:5], 0x50
	s_load_dword s26, s[4:5], 0x0
	s_mov_b32 s9, 0
	v_mov_b32_e32 v5, 0
	s_lshl_b64 s[22:23], s[8:9], 3
	v_mov_b32_e32 v4, 0
	v_mov_b32_e32 v7, 0
	;; [unrolled: 1-line block ×3, first 2 shown]
	s_waitcnt lgkmcnt(0)
	s_add_u32 s0, s0, s22
	s_addc_u32 s1, s1, s23
	s_load_dwordx2 s[20:21], s[4:5], 0x60
	s_load_dwordx2 s[18:19], s[0:1], 0x0
	v_cmp_lt_i64_e64 s0, s[16:17], 1
	v_cmp_eq_f32_e64 s1, s25, 0
	s_lshl_b32 s27, s6, 5
	s_lshl_b32 s28, s7, 5
	s_or_b32 s0, s1, s0
	s_and_b32 vcc_lo, exec_lo, s0
	s_cbranch_vccnz .LBB458_12
; %bb.4:
	s_clause 0x1
	s_load_dwordx8 s[8:15], s[4:5], 0x18
	s_load_dwordx4 s[4:7], s[4:5], 0x38
	v_lshl_add_u32 v2, v1, 4, v0
	v_and_b32_e32 v8, 7, v0
	v_lshlrev_b32_e32 v9, 2, v0
	v_lshl_add_u32 v10, v1, 5, 0x400
	v_mov_b32_e32 v3, 0
	v_and_b32_e32 v5, 31, v2
	v_lshrrev_b32_e32 v12, 3, v2
	v_lshrrev_b32_e32 v11, 5, v2
	v_lshlrev_b32_e32 v2, 2, v8
	v_mov_b32_e32 v6, 0
	v_or_b32_e32 v17, s27, v5
	v_add_nc_u32_e32 v13, s28, v12
	v_lshlrev_b32_e32 v5, 2, v5
	v_lshl_or_b32 v2, v12, 5, v2
	v_mov_b32_e32 v7, 0
	v_mov_b32_e32 v4, 0
	v_ashrrev_i32_e32 v14, 31, v13
	v_lshl_or_b32 v12, v11, 7, v5
	s_waitcnt lgkmcnt(0)
	s_add_u32 s0, s14, s22
	s_addc_u32 s1, s15, s23
	s_lshl_b64 s[6:7], s[6:7], 2
	s_load_dwordx2 s[0:1], s[0:1], 0x0
	v_mul_lo_u32 v18, s11, v17
	v_mad_u64_u32 v[15:16], null, s10, v17, 0
	v_mov_b32_e32 v5, 0
	s_waitcnt lgkmcnt(0)
	s_add_u32 s14, s0, s6
	s_addc_u32 s15, s1, s7
	s_add_u32 s0, s8, s22
	s_addc_u32 s1, s9, s23
	s_lshl_b64 s[6:7], s[12:13], 2
	s_load_dwordx2 s[0:1], s[0:1], 0x0
	s_waitcnt lgkmcnt(0)
	s_add_u32 s6, s0, s6
	s_addc_u32 s7, s1, s7
	s_ashr_i32 s0, s27, 31
	s_mul_i32 s1, s10, s0
	v_cmp_gt_i32_e64 s0, s26, v17
	v_add3_u32 v16, v16, s1, v18
	v_lshlrev_b64 v[17:18], 2, v[13:14]
	v_cmp_gt_i32_e64 s1, s26, v13
	v_add_nc_u32_e32 v13, 0x400, v2
	v_lshlrev_b64 v[19:20], 2, v[15:16]
	v_add_co_u32 v14, vcc_lo, s14, v17
	v_add_co_ci_u32_e64 v15, null, s15, v18, vcc_lo
	v_add_co_u32 v16, vcc_lo, s6, v19
	v_add_co_ci_u32_e64 v17, null, s7, v20, vcc_lo
	s_mov_b64 s[6:7], 0
	s_branch .LBB458_6
.LBB458_5:                              ;   in Loop: Header=BB458_6 Depth=1
	s_or_b32 exec_lo, exec_lo, s8
	s_waitcnt vmcnt(0) lgkmcnt(0)
	ds_write_b32 v13, v19
	s_waitcnt lgkmcnt(0)
	s_barrier
	buffer_gl0_inv
	ds_read_b128 v[18:21], v10
	ds_read2_b32 v[34:35], v9 offset1:16
	ds_read_b128 v[22:25], v10 offset:512
	ds_read2_b32 v[36:37], v9 offset0:32 offset1:48
	ds_read2_b32 v[38:39], v9 offset0:64 offset1:80
	;; [unrolled: 1-line block ×3, first 2 shown]
	ds_read_b128 v[26:29], v10 offset:16
	ds_read2_b32 v[42:43], v9 offset0:128 offset1:144
	ds_read_b128 v[30:33], v10 offset:528
	ds_read2_b32 v[44:45], v9 offset0:160 offset1:176
	s_add_u32 s6, s6, 8
	s_addc_u32 s7, s7, 0
	v_cmp_gt_i64_e64 s8, s[16:17], s[6:7]
	s_and_b32 vcc_lo, exec_lo, s8
	s_waitcnt lgkmcnt(8)
	v_fmac_f32_e32 v5, v34, v18
	v_fmac_f32_e32 v4, v35, v18
	s_waitcnt lgkmcnt(7)
	v_fmac_f32_e32 v7, v34, v22
	v_fmac_f32_e32 v6, v35, v22
	ds_read2_b32 v[34:35], v9 offset0:192 offset1:208
	s_waitcnt lgkmcnt(7)
	v_fmac_f32_e32 v5, v36, v19
	v_fmac_f32_e32 v4, v37, v19
	;; [unrolled: 1-line block ×4, first 2 shown]
	ds_read2_b32 v[18:19], v9 offset0:224 offset1:240
	s_waitcnt lgkmcnt(7)
	v_fmac_f32_e32 v5, v38, v20
	v_fmac_f32_e32 v4, v39, v20
	;; [unrolled: 1-line block ×4, first 2 shown]
	s_waitcnt lgkmcnt(0)
	v_fmac_f32_e32 v5, v40, v21
	v_fmac_f32_e32 v4, v41, v21
	v_fmac_f32_e32 v7, v40, v25
	v_fmac_f32_e32 v6, v41, v25
	s_barrier
	v_fmac_f32_e32 v5, v42, v26
	v_fmac_f32_e32 v4, v43, v26
	;; [unrolled: 1-line block ×4, first 2 shown]
	buffer_gl0_inv
	v_fmac_f32_e32 v5, v44, v27
	v_fmac_f32_e32 v4, v45, v27
	;; [unrolled: 1-line block ×12, first 2 shown]
	s_cbranch_vccz .LBB458_12
.LBB458_6:                              ; =>This Inner Loop Header: Depth=1
	v_mov_b32_e32 v18, 0
	s_and_saveexec_b32 s8, s0
	s_cbranch_execz .LBB458_10
; %bb.7:                                ;   in Loop: Header=BB458_6 Depth=1
	v_add_nc_u32_e32 v2, s6, v11
	v_mov_b32_e32 v18, 0
	s_mov_b32 s9, exec_lo
	v_cmpx_gt_u64_e64 s[16:17], v[2:3]
	s_cbranch_execz .LBB458_9
; %bb.8:                                ;   in Loop: Header=BB458_6 Depth=1
	v_lshlrev_b64 v[18:19], 2, v[2:3]
	v_add_co_u32 v18, vcc_lo, v16, v18
	v_add_co_ci_u32_e64 v19, null, v17, v19, vcc_lo
	flat_load_dword v18, v[18:19]
.LBB458_9:                              ;   in Loop: Header=BB458_6 Depth=1
	s_or_b32 exec_lo, exec_lo, s9
.LBB458_10:                             ;   in Loop: Header=BB458_6 Depth=1
	s_or_b32 exec_lo, exec_lo, s8
	v_add_nc_u32_e32 v2, s6, v8
	v_mov_b32_e32 v19, 0
	s_waitcnt vmcnt(0) lgkmcnt(0)
	ds_write_b32 v12, v18
	v_cmp_gt_u64_e32 vcc_lo, s[16:17], v[2:3]
	s_and_b32 s9, vcc_lo, s1
	s_and_saveexec_b32 s8, s9
	s_cbranch_execz .LBB458_5
; %bb.11:                               ;   in Loop: Header=BB458_6 Depth=1
	v_mad_u64_u32 v[18:19], null, s4, v2, 0
	v_mad_u64_u32 v[19:20], null, s5, v2, v[19:20]
	v_lshlrev_b64 v[18:19], 2, v[18:19]
	v_add_co_u32 v18, vcc_lo, v14, v18
	v_add_co_ci_u32_e64 v19, null, v15, v19, vcc_lo
	flat_load_dword v19, v[18:19]
	s_branch .LBB458_5
.LBB458_12:
	v_add_nc_u32_e32 v9, s28, v1
	v_add_nc_u32_e32 v0, s27, v0
	s_waitcnt lgkmcnt(0)
	s_lshl_b64 s[0:1], s[20:21], 2
	v_cmp_neq_f32_e64 s6, s24, 0
	s_add_u32 s4, s18, s0
	v_ashrrev_i32_e32 v3, 31, v9
	v_mul_lo_u32 v8, s3, v9
	v_mad_u64_u32 v[1:2], null, s2, v9, 0
	s_addc_u32 s5, s19, s1
	v_mul_lo_u32 v3, s2, v3
	v_cmp_gt_i32_e64 s0, s26, v9
	v_cmp_le_i32_e32 vcc_lo, v0, v9
	s_and_b32 s7, s0, vcc_lo
	v_add3_u32 v2, v2, v3, v8
	v_cndmask_b32_e64 v8, 0, 1, s6
	v_lshlrev_b64 v[2:3], 2, v[1:2]
	v_ashrrev_i32_e32 v1, 31, v0
	v_add_co_u32 v10, s1, s4, v2
	v_add_co_ci_u32_e64 v11, null, s5, v3, s1
	s_and_saveexec_b32 s1, s7
	s_cbranch_execz .LBB458_16
; %bb.13:
	v_lshlrev_b64 v[2:3], 2, v[0:1]
	v_mul_f32_e32 v5, s25, v5
	v_add_co_u32 v2, vcc_lo, v10, v2
	v_add_co_ci_u32_e64 v3, null, v11, v3, vcc_lo
	s_andn2_b32 vcc_lo, exec_lo, s6
	s_cbranch_vccnz .LBB458_15
; %bb.14:
	flat_load_dword v12, v[2:3]
	s_waitcnt vmcnt(0) lgkmcnt(0)
	v_fmac_f32_e32 v5, s24, v12
.LBB458_15:
	flat_store_dword v[2:3], v5
.LBB458_16:
	s_or_b32 exec_lo, exec_lo, s1
	v_add_nc_u32_e32 v2, 16, v0
	v_cmp_le_i32_e32 vcc_lo, v2, v9
	v_ashrrev_i32_e32 v3, 31, v2
	s_and_b32 s0, s0, vcc_lo
	s_and_saveexec_b32 s1, s0
	s_cbranch_execz .LBB458_20
; %bb.17:
	v_lshlrev_b64 v[13:14], 2, v[2:3]
	v_mul_f32_e32 v12, s25, v4
	v_cmp_ne_u32_e32 vcc_lo, 1, v8
	v_add_co_u32 v4, s0, v10, v13
	v_add_co_ci_u32_e64 v5, null, v11, v14, s0
	s_cbranch_vccnz .LBB458_19
; %bb.18:
	flat_load_dword v10, v[4:5]
	s_waitcnt vmcnt(0) lgkmcnt(0)
	v_fmac_f32_e32 v12, s24, v10
.LBB458_19:
	flat_store_dword v[4:5], v12
.LBB458_20:
	s_or_b32 exec_lo, exec_lo, s1
	v_add_nc_u32_e32 v9, 16, v9
	v_ashrrev_i32_e32 v10, 31, v9
	v_mul_lo_u32 v11, s3, v9
	v_mad_u64_u32 v[4:5], null, s2, v9, 0
	v_cmp_gt_i32_e64 s0, s26, v9
	v_mul_lo_u32 v10, s2, v10
	v_cmp_le_i32_e32 vcc_lo, v0, v9
	v_add3_u32 v5, v5, v10, v11
	v_lshlrev_b64 v[4:5], 2, v[4:5]
	v_add_co_u32 v4, s1, s4, v4
	v_add_co_ci_u32_e64 v5, null, s5, v5, s1
	s_and_b32 s1, s0, vcc_lo
	s_and_saveexec_b32 s2, s1
	s_cbranch_execz .LBB458_24
; %bb.21:
	v_lshlrev_b64 v[0:1], 2, v[0:1]
	v_cmp_ne_u32_e32 vcc_lo, 1, v8
	v_mul_f32_e32 v7, s25, v7
	v_add_co_u32 v0, s1, v4, v0
	v_add_co_ci_u32_e64 v1, null, v5, v1, s1
	s_cbranch_vccnz .LBB458_23
; %bb.22:
	flat_load_dword v10, v[0:1]
	s_waitcnt vmcnt(0) lgkmcnt(0)
	v_fmac_f32_e32 v7, s24, v10
.LBB458_23:
	flat_store_dword v[0:1], v7
.LBB458_24:
	s_or_b32 exec_lo, exec_lo, s2
	v_cmp_le_i32_e32 vcc_lo, v2, v9
	s_and_b32 s0, s0, vcc_lo
	s_and_saveexec_b32 s1, s0
	s_cbranch_execz .LBB458_28
; %bb.25:
	v_lshlrev_b64 v[0:1], 2, v[2:3]
	v_cmp_ne_u32_e32 vcc_lo, 1, v8
	v_mul_f32_e32 v2, s25, v6
	v_add_co_u32 v0, s0, v4, v0
	v_add_co_ci_u32_e64 v1, null, v5, v1, s0
	s_cbranch_vccnz .LBB458_27
; %bb.26:
	flat_load_dword v3, v[0:1]
	s_waitcnt vmcnt(0) lgkmcnt(0)
	v_fmac_f32_e32 v2, s24, v3
.LBB458_27:
	flat_store_dword v[0:1], v2
.LBB458_28:
	s_endpgm
	.section	.rodata,"a",@progbits
	.p2align	6, 0x0
	.amdhsa_kernel _ZL29rocblas_internal_gemmt_kernelIlLi16ELi32ELi8ELc67ELc67ELc85ELb0ELb0EffPKPKfPKPfEviT_T9_T10_S7_lS9_S7_lS8_T11_S7_li
		.amdhsa_group_segment_fixed_size 2048
		.amdhsa_private_segment_fixed_size 0
		.amdhsa_kernarg_size 108
		.amdhsa_user_sgpr_count 6
		.amdhsa_user_sgpr_private_segment_buffer 1
		.amdhsa_user_sgpr_dispatch_ptr 0
		.amdhsa_user_sgpr_queue_ptr 0
		.amdhsa_user_sgpr_kernarg_segment_ptr 1
		.amdhsa_user_sgpr_dispatch_id 0
		.amdhsa_user_sgpr_flat_scratch_init 0
		.amdhsa_user_sgpr_private_segment_size 0
		.amdhsa_wavefront_size32 1
		.amdhsa_uses_dynamic_stack 0
		.amdhsa_system_sgpr_private_segment_wavefront_offset 0
		.amdhsa_system_sgpr_workgroup_id_x 1
		.amdhsa_system_sgpr_workgroup_id_y 1
		.amdhsa_system_sgpr_workgroup_id_z 1
		.amdhsa_system_sgpr_workgroup_info 0
		.amdhsa_system_vgpr_workitem_id 1
		.amdhsa_next_free_vgpr 46
		.amdhsa_next_free_sgpr 29
		.amdhsa_reserve_vcc 1
		.amdhsa_reserve_flat_scratch 0
		.amdhsa_float_round_mode_32 0
		.amdhsa_float_round_mode_16_64 0
		.amdhsa_float_denorm_mode_32 3
		.amdhsa_float_denorm_mode_16_64 3
		.amdhsa_dx10_clamp 1
		.amdhsa_ieee_mode 1
		.amdhsa_fp16_overflow 0
		.amdhsa_workgroup_processor_mode 1
		.amdhsa_memory_ordered 1
		.amdhsa_forward_progress 1
		.amdhsa_shared_vgpr_count 0
		.amdhsa_exception_fp_ieee_invalid_op 0
		.amdhsa_exception_fp_denorm_src 0
		.amdhsa_exception_fp_ieee_div_zero 0
		.amdhsa_exception_fp_ieee_overflow 0
		.amdhsa_exception_fp_ieee_underflow 0
		.amdhsa_exception_fp_ieee_inexact 0
		.amdhsa_exception_int_div_zero 0
	.end_amdhsa_kernel
	.section	.text._ZL29rocblas_internal_gemmt_kernelIlLi16ELi32ELi8ELc67ELc67ELc85ELb0ELb0EffPKPKfPKPfEviT_T9_T10_S7_lS9_S7_lS8_T11_S7_li,"axG",@progbits,_ZL29rocblas_internal_gemmt_kernelIlLi16ELi32ELi8ELc67ELc67ELc85ELb0ELb0EffPKPKfPKPfEviT_T9_T10_S7_lS9_S7_lS8_T11_S7_li,comdat
.Lfunc_end458:
	.size	_ZL29rocblas_internal_gemmt_kernelIlLi16ELi32ELi8ELc67ELc67ELc85ELb0ELb0EffPKPKfPKPfEviT_T9_T10_S7_lS9_S7_lS8_T11_S7_li, .Lfunc_end458-_ZL29rocblas_internal_gemmt_kernelIlLi16ELi32ELi8ELc67ELc67ELc85ELb0ELb0EffPKPKfPKPfEviT_T9_T10_S7_lS9_S7_lS8_T11_S7_li
                                        ; -- End function
	.set _ZL29rocblas_internal_gemmt_kernelIlLi16ELi32ELi8ELc67ELc67ELc85ELb0ELb0EffPKPKfPKPfEviT_T9_T10_S7_lS9_S7_lS8_T11_S7_li.num_vgpr, 46
	.set _ZL29rocblas_internal_gemmt_kernelIlLi16ELi32ELi8ELc67ELc67ELc85ELb0ELb0EffPKPKfPKPfEviT_T9_T10_S7_lS9_S7_lS8_T11_S7_li.num_agpr, 0
	.set _ZL29rocblas_internal_gemmt_kernelIlLi16ELi32ELi8ELc67ELc67ELc85ELb0ELb0EffPKPKfPKPfEviT_T9_T10_S7_lS9_S7_lS8_T11_S7_li.numbered_sgpr, 29
	.set _ZL29rocblas_internal_gemmt_kernelIlLi16ELi32ELi8ELc67ELc67ELc85ELb0ELb0EffPKPKfPKPfEviT_T9_T10_S7_lS9_S7_lS8_T11_S7_li.num_named_barrier, 0
	.set _ZL29rocblas_internal_gemmt_kernelIlLi16ELi32ELi8ELc67ELc67ELc85ELb0ELb0EffPKPKfPKPfEviT_T9_T10_S7_lS9_S7_lS8_T11_S7_li.private_seg_size, 0
	.set _ZL29rocblas_internal_gemmt_kernelIlLi16ELi32ELi8ELc67ELc67ELc85ELb0ELb0EffPKPKfPKPfEviT_T9_T10_S7_lS9_S7_lS8_T11_S7_li.uses_vcc, 1
	.set _ZL29rocblas_internal_gemmt_kernelIlLi16ELi32ELi8ELc67ELc67ELc85ELb0ELb0EffPKPKfPKPfEviT_T9_T10_S7_lS9_S7_lS8_T11_S7_li.uses_flat_scratch, 0
	.set _ZL29rocblas_internal_gemmt_kernelIlLi16ELi32ELi8ELc67ELc67ELc85ELb0ELb0EffPKPKfPKPfEviT_T9_T10_S7_lS9_S7_lS8_T11_S7_li.has_dyn_sized_stack, 0
	.set _ZL29rocblas_internal_gemmt_kernelIlLi16ELi32ELi8ELc67ELc67ELc85ELb0ELb0EffPKPKfPKPfEviT_T9_T10_S7_lS9_S7_lS8_T11_S7_li.has_recursion, 0
	.set _ZL29rocblas_internal_gemmt_kernelIlLi16ELi32ELi8ELc67ELc67ELc85ELb0ELb0EffPKPKfPKPfEviT_T9_T10_S7_lS9_S7_lS8_T11_S7_li.has_indirect_call, 0
	.section	.AMDGPU.csdata,"",@progbits
; Kernel info:
; codeLenInByte = 1468
; TotalNumSgprs: 31
; NumVgprs: 46
; ScratchSize: 0
; MemoryBound: 0
; FloatMode: 240
; IeeeMode: 1
; LDSByteSize: 2048 bytes/workgroup (compile time only)
; SGPRBlocks: 0
; VGPRBlocks: 5
; NumSGPRsForWavesPerEU: 31
; NumVGPRsForWavesPerEU: 46
; Occupancy: 16
; WaveLimiterHint : 1
; COMPUTE_PGM_RSRC2:SCRATCH_EN: 0
; COMPUTE_PGM_RSRC2:USER_SGPR: 6
; COMPUTE_PGM_RSRC2:TRAP_HANDLER: 0
; COMPUTE_PGM_RSRC2:TGID_X_EN: 1
; COMPUTE_PGM_RSRC2:TGID_Y_EN: 1
; COMPUTE_PGM_RSRC2:TGID_Z_EN: 1
; COMPUTE_PGM_RSRC2:TIDIG_COMP_CNT: 1
	.section	.text._ZL29rocblas_internal_gemmt_kernelIlLi16ELi32ELi8ELc78ELc78ELc76ELb0ELb0EffPKPKfPKPfEviT_T9_T10_S7_lS9_S7_lS8_T11_S7_li,"axG",@progbits,_ZL29rocblas_internal_gemmt_kernelIlLi16ELi32ELi8ELc78ELc78ELc76ELb0ELb0EffPKPKfPKPfEviT_T9_T10_S7_lS9_S7_lS8_T11_S7_li,comdat
	.globl	_ZL29rocblas_internal_gemmt_kernelIlLi16ELi32ELi8ELc78ELc78ELc76ELb0ELb0EffPKPKfPKPfEviT_T9_T10_S7_lS9_S7_lS8_T11_S7_li ; -- Begin function _ZL29rocblas_internal_gemmt_kernelIlLi16ELi32ELi8ELc78ELc78ELc76ELb0ELb0EffPKPKfPKPfEviT_T9_T10_S7_lS9_S7_lS8_T11_S7_li
	.p2align	8
	.type	_ZL29rocblas_internal_gemmt_kernelIlLi16ELi32ELi8ELc78ELc78ELc76ELb0ELb0EffPKPKfPKPfEviT_T9_T10_S7_lS9_S7_lS8_T11_S7_li,@function
_ZL29rocblas_internal_gemmt_kernelIlLi16ELi32ELi8ELc78ELc78ELc76ELb0ELb0EffPKPKfPKPfEviT_T9_T10_S7_lS9_S7_lS8_T11_S7_li: ; @_ZL29rocblas_internal_gemmt_kernelIlLi16ELi32ELi8ELc78ELc78ELc76ELb0ELb0EffPKPKfPKPfEviT_T9_T10_S7_lS9_S7_lS8_T11_S7_li
; %bb.0:
	s_clause 0x2
	s_load_dword s26, s[4:5], 0x48
	s_load_dwordx2 s[20:21], s[4:5], 0x8
	s_load_dword s27, s[4:5], 0x10
	s_waitcnt lgkmcnt(0)
	v_cmp_neq_f32_e64 s0, s26, 1.0
	s_and_b32 vcc_lo, exec_lo, s0
	s_cbranch_vccnz .LBB459_2
; %bb.1:
	v_cmp_neq_f32_e64 s0, s27, 0
	s_cmp_lg_u64 s[20:21], 0
	s_cselect_b32 s1, -1, 0
	s_and_b32 s0, s1, s0
.LBB459_2:
	s_andn2_b32 vcc_lo, exec_lo, s0
	s_cbranch_vccnz .LBB459_28
; %bb.3:
	s_clause 0x1
	s_load_dwordx4 s[16:19], s[4:5], 0x50
	s_load_dword s28, s[4:5], 0x0
	s_mov_b32 s9, 0
	v_mov_b32_e32 v8, 0
	s_lshl_b64 s[24:25], s[8:9], 3
	v_mov_b32_e32 v4, 0
	v_mov_b32_e32 v7, 0
	;; [unrolled: 1-line block ×3, first 2 shown]
	s_waitcnt lgkmcnt(0)
	s_add_u32 s0, s16, s24
	s_addc_u32 s1, s17, s25
	s_load_dwordx2 s[22:23], s[4:5], 0x60
	s_load_dwordx2 s[16:17], s[0:1], 0x0
	v_cmp_lt_i64_e64 s0, s[20:21], 1
	v_cmp_eq_f32_e64 s1, s27, 0
	s_lshl_b32 s6, s6, 5
	s_lshl_b32 s7, s7, 5
	s_or_b32 s0, s1, s0
	s_and_b32 vcc_lo, exec_lo, s0
	s_cbranch_vccnz .LBB459_12
; %bb.4:
	s_clause 0x1
	s_load_dwordx8 s[8:15], s[4:5], 0x18
	s_load_dwordx4 s[0:3], s[4:5], 0x38
	v_lshl_add_u32 v2, v1, 4, v0
	v_and_b32_e32 v5, 7, v0
	v_lshlrev_b32_e32 v9, 2, v0
	v_lshl_add_u32 v10, v1, 5, 0x400
	v_mov_b32_e32 v3, 0
	v_lshrrev_b32_e32 v8, 3, v2
	v_and_b32_e32 v12, 31, v2
	v_lshlrev_b32_e32 v18, 2, v5
	v_lshrrev_b32_e32 v11, 5, v2
	v_mov_b32_e32 v6, 0
	v_add_nc_u32_e32 v19, s7, v8
	v_or_b32_e32 v15, s6, v12
	v_lshl_or_b32 v8, v8, 5, v18
	v_lshlrev_b32_e32 v2, 2, v12
	v_mov_b32_e32 v7, 0
	v_ashrrev_i32_e32 v4, 31, v19
	v_lshl_or_b32 v12, v11, 7, v2
	s_waitcnt lgkmcnt(0)
	s_add_u32 s4, s14, s24
	s_addc_u32 s5, s15, s25
	s_lshl_b64 s[2:3], s[2:3], 2
	s_load_dwordx2 s[4:5], s[4:5], 0x0
	v_mul_lo_u32 v16, s0, v4
	v_mad_u64_u32 v[13:14], null, s0, v19, 0
	v_mul_lo_u32 v17, s1, v19
	v_mov_b32_e32 v4, 0
	v_add3_u32 v14, v14, v16, v17
	v_ashrrev_i32_e32 v16, 31, v15
	v_lshlrev_b64 v[17:18], 2, v[13:14]
	v_add_nc_u32_e32 v13, 0x400, v8
	v_mov_b32_e32 v8, 0
	s_waitcnt lgkmcnt(0)
	s_add_u32 s14, s4, s2
	s_addc_u32 s15, s5, s3
	s_add_u32 s0, s8, s24
	s_addc_u32 s1, s9, s25
	s_lshl_b64 s[4:5], s[12:13], 2
	s_load_dwordx2 s[2:3], s[0:1], 0x0
	v_cmp_gt_i32_e64 s1, s28, v19
	v_lshlrev_b64 v[19:20], 2, v[15:16]
	v_add_co_u32 v14, vcc_lo, s14, v17
	v_cmp_gt_i32_e64 s0, s28, v15
	v_add_co_ci_u32_e64 v15, null, s15, v18, vcc_lo
	s_waitcnt lgkmcnt(0)
	s_add_u32 s2, s2, s4
	s_addc_u32 s3, s3, s5
	v_add_co_u32 v16, vcc_lo, s2, v19
	v_add_co_ci_u32_e64 v17, null, s3, v20, vcc_lo
	s_mov_b64 s[2:3], 0
	s_branch .LBB459_6
.LBB459_5:                              ;   in Loop: Header=BB459_6 Depth=1
	s_or_b32 exec_lo, exec_lo, s4
	s_waitcnt vmcnt(0) lgkmcnt(0)
	ds_write_b32 v13, v19
	s_waitcnt lgkmcnt(0)
	s_barrier
	buffer_gl0_inv
	ds_read_b128 v[18:21], v10
	ds_read2_b32 v[34:35], v9 offset1:16
	ds_read_b128 v[22:25], v10 offset:512
	ds_read2_b32 v[36:37], v9 offset0:32 offset1:48
	ds_read2_b32 v[38:39], v9 offset0:64 offset1:80
	;; [unrolled: 1-line block ×3, first 2 shown]
	ds_read_b128 v[26:29], v10 offset:16
	ds_read2_b32 v[42:43], v9 offset0:128 offset1:144
	ds_read_b128 v[30:33], v10 offset:528
	ds_read2_b32 v[44:45], v9 offset0:160 offset1:176
	s_add_u32 s2, s2, 8
	s_addc_u32 s3, s3, 0
	v_cmp_gt_i64_e64 s4, s[20:21], s[2:3]
	s_and_b32 vcc_lo, exec_lo, s4
	s_waitcnt lgkmcnt(8)
	v_fmac_f32_e32 v8, v34, v18
	v_fmac_f32_e32 v4, v35, v18
	s_waitcnt lgkmcnt(7)
	v_fmac_f32_e32 v7, v34, v22
	v_fmac_f32_e32 v6, v35, v22
	ds_read2_b32 v[34:35], v9 offset0:192 offset1:208
	s_waitcnt lgkmcnt(7)
	v_fmac_f32_e32 v8, v36, v19
	v_fmac_f32_e32 v4, v37, v19
	;; [unrolled: 1-line block ×4, first 2 shown]
	ds_read2_b32 v[18:19], v9 offset0:224 offset1:240
	s_waitcnt lgkmcnt(7)
	v_fmac_f32_e32 v8, v38, v20
	v_fmac_f32_e32 v4, v39, v20
	;; [unrolled: 1-line block ×4, first 2 shown]
	s_waitcnt lgkmcnt(0)
	v_fmac_f32_e32 v8, v40, v21
	v_fmac_f32_e32 v4, v41, v21
	;; [unrolled: 1-line block ×4, first 2 shown]
	s_barrier
	v_fmac_f32_e32 v8, v42, v26
	v_fmac_f32_e32 v4, v43, v26
	;; [unrolled: 1-line block ×4, first 2 shown]
	buffer_gl0_inv
	v_fmac_f32_e32 v8, v44, v27
	v_fmac_f32_e32 v4, v45, v27
	;; [unrolled: 1-line block ×12, first 2 shown]
	s_cbranch_vccz .LBB459_12
.LBB459_6:                              ; =>This Inner Loop Header: Depth=1
	v_mov_b32_e32 v18, 0
	s_and_saveexec_b32 s4, s0
	s_cbranch_execz .LBB459_10
; %bb.7:                                ;   in Loop: Header=BB459_6 Depth=1
	v_add_nc_u32_e32 v2, s2, v11
	v_mov_b32_e32 v18, 0
	s_mov_b32 s5, exec_lo
	v_cmpx_gt_u64_e64 s[20:21], v[2:3]
	s_cbranch_execz .LBB459_9
; %bb.8:                                ;   in Loop: Header=BB459_6 Depth=1
	v_mad_u64_u32 v[18:19], null, s10, v2, 0
	v_mad_u64_u32 v[19:20], null, s11, v2, v[19:20]
	v_lshlrev_b64 v[18:19], 2, v[18:19]
	v_add_co_u32 v18, vcc_lo, v16, v18
	v_add_co_ci_u32_e64 v19, null, v17, v19, vcc_lo
	flat_load_dword v18, v[18:19]
.LBB459_9:                              ;   in Loop: Header=BB459_6 Depth=1
	s_or_b32 exec_lo, exec_lo, s5
.LBB459_10:                             ;   in Loop: Header=BB459_6 Depth=1
	s_or_b32 exec_lo, exec_lo, s4
	v_add_nc_u32_e32 v2, s2, v5
	v_mov_b32_e32 v19, 0
	s_waitcnt vmcnt(0) lgkmcnt(0)
	ds_write_b32 v12, v18
	v_cmp_gt_u64_e32 vcc_lo, s[20:21], v[2:3]
	s_and_b32 s5, vcc_lo, s1
	s_and_saveexec_b32 s4, s5
	s_cbranch_execz .LBB459_5
; %bb.11:                               ;   in Loop: Header=BB459_6 Depth=1
	v_lshlrev_b64 v[18:19], 2, v[2:3]
	v_add_co_u32 v18, vcc_lo, v14, v18
	v_add_co_ci_u32_e64 v19, null, v15, v19, vcc_lo
	flat_load_dword v19, v[18:19]
	s_branch .LBB459_5
.LBB459_12:
	v_add_nc_u32_e32 v10, s7, v1
	v_add_nc_u32_e32 v0, s6, v0
	s_waitcnt lgkmcnt(0)
	s_lshl_b64 s[0:1], s[22:23], 2
	v_cmp_neq_f32_e64 s2, s26, 0
	s_add_u32 s3, s16, s0
	v_ashrrev_i32_e32 v3, 31, v10
	v_mul_lo_u32 v5, s19, v10
	v_mad_u64_u32 v[1:2], null, s18, v10, 0
	s_addc_u32 s4, s17, s1
	v_mul_lo_u32 v3, s18, v3
	v_cmp_le_i32_e32 vcc_lo, v10, v0
	v_cmp_gt_i32_e64 s0, s28, v0
	v_cndmask_b32_e64 v9, 0, 1, s2
	s_and_b32 s5, vcc_lo, s0
	v_add3_u32 v2, v2, v3, v5
	v_lshlrev_b64 v[2:3], 2, v[1:2]
	v_ashrrev_i32_e32 v1, 31, v0
	v_add_co_u32 v5, s1, s3, v2
	v_add_co_ci_u32_e64 v11, null, s4, v3, s1
	s_and_saveexec_b32 s1, s5
	s_cbranch_execz .LBB459_16
; %bb.13:
	v_lshlrev_b64 v[2:3], 2, v[0:1]
	v_mul_f32_e32 v8, s27, v8
	v_add_co_u32 v2, vcc_lo, v5, v2
	v_add_co_ci_u32_e64 v3, null, v11, v3, vcc_lo
	s_andn2_b32 vcc_lo, exec_lo, s2
	s_cbranch_vccnz .LBB459_15
; %bb.14:
	flat_load_dword v12, v[2:3]
	s_waitcnt vmcnt(0) lgkmcnt(0)
	v_fmac_f32_e32 v8, s26, v12
.LBB459_15:
	flat_store_dword v[2:3], v8
.LBB459_16:
	s_or_b32 exec_lo, exec_lo, s1
	v_add_nc_u32_e32 v2, 16, v0
	v_cmp_le_i32_e32 vcc_lo, v10, v2
	v_cmp_gt_i32_e64 s1, s28, v2
	v_ashrrev_i32_e32 v3, 31, v2
	s_and_b32 s2, vcc_lo, s1
	s_and_saveexec_b32 s5, s2
	s_cbranch_execz .LBB459_20
; %bb.17:
	v_lshlrev_b64 v[12:13], 2, v[2:3]
	v_mul_f32_e32 v8, s27, v4
	v_cmp_ne_u32_e32 vcc_lo, 1, v9
	v_add_co_u32 v4, s2, v5, v12
	v_add_co_ci_u32_e64 v5, null, v11, v13, s2
	s_cbranch_vccnz .LBB459_19
; %bb.18:
	flat_load_dword v11, v[4:5]
	s_waitcnt vmcnt(0) lgkmcnt(0)
	v_fmac_f32_e32 v8, s26, v11
.LBB459_19:
	flat_store_dword v[4:5], v8
.LBB459_20:
	s_or_b32 exec_lo, exec_lo, s5
	v_add_nc_u32_e32 v8, 16, v10
	v_ashrrev_i32_e32 v10, 31, v8
	v_mul_lo_u32 v11, s19, v8
	v_mad_u64_u32 v[4:5], null, s18, v8, 0
	v_cmp_le_i32_e32 vcc_lo, v8, v0
	v_mul_lo_u32 v10, s18, v10
	s_and_b32 s0, vcc_lo, s0
	v_add3_u32 v5, v5, v10, v11
	v_lshlrev_b64 v[4:5], 2, v[4:5]
	v_add_co_u32 v4, s2, s3, v4
	v_add_co_ci_u32_e64 v5, null, s4, v5, s2
	s_and_saveexec_b32 s2, s0
	s_cbranch_execz .LBB459_24
; %bb.21:
	v_lshlrev_b64 v[0:1], 2, v[0:1]
	v_cmp_ne_u32_e32 vcc_lo, 1, v9
	v_mul_f32_e32 v7, s27, v7
	v_add_co_u32 v0, s0, v4, v0
	v_add_co_ci_u32_e64 v1, null, v5, v1, s0
	s_cbranch_vccnz .LBB459_23
; %bb.22:
	flat_load_dword v10, v[0:1]
	s_waitcnt vmcnt(0) lgkmcnt(0)
	v_fmac_f32_e32 v7, s26, v10
.LBB459_23:
	flat_store_dword v[0:1], v7
.LBB459_24:
	s_or_b32 exec_lo, exec_lo, s2
	v_cmp_le_i32_e32 vcc_lo, v8, v2
	s_and_b32 s0, vcc_lo, s1
	s_and_saveexec_b32 s1, s0
	s_cbranch_execz .LBB459_28
; %bb.25:
	v_lshlrev_b64 v[0:1], 2, v[2:3]
	v_cmp_ne_u32_e32 vcc_lo, 1, v9
	v_mul_f32_e32 v2, s27, v6
	v_add_co_u32 v0, s0, v4, v0
	v_add_co_ci_u32_e64 v1, null, v5, v1, s0
	s_cbranch_vccnz .LBB459_27
; %bb.26:
	flat_load_dword v3, v[0:1]
	s_waitcnt vmcnt(0) lgkmcnt(0)
	v_fmac_f32_e32 v2, s26, v3
.LBB459_27:
	flat_store_dword v[0:1], v2
.LBB459_28:
	s_endpgm
	.section	.rodata,"a",@progbits
	.p2align	6, 0x0
	.amdhsa_kernel _ZL29rocblas_internal_gemmt_kernelIlLi16ELi32ELi8ELc78ELc78ELc76ELb0ELb0EffPKPKfPKPfEviT_T9_T10_S7_lS9_S7_lS8_T11_S7_li
		.amdhsa_group_segment_fixed_size 2048
		.amdhsa_private_segment_fixed_size 0
		.amdhsa_kernarg_size 108
		.amdhsa_user_sgpr_count 6
		.amdhsa_user_sgpr_private_segment_buffer 1
		.amdhsa_user_sgpr_dispatch_ptr 0
		.amdhsa_user_sgpr_queue_ptr 0
		.amdhsa_user_sgpr_kernarg_segment_ptr 1
		.amdhsa_user_sgpr_dispatch_id 0
		.amdhsa_user_sgpr_flat_scratch_init 0
		.amdhsa_user_sgpr_private_segment_size 0
		.amdhsa_wavefront_size32 1
		.amdhsa_uses_dynamic_stack 0
		.amdhsa_system_sgpr_private_segment_wavefront_offset 0
		.amdhsa_system_sgpr_workgroup_id_x 1
		.amdhsa_system_sgpr_workgroup_id_y 1
		.amdhsa_system_sgpr_workgroup_id_z 1
		.amdhsa_system_sgpr_workgroup_info 0
		.amdhsa_system_vgpr_workitem_id 1
		.amdhsa_next_free_vgpr 46
		.amdhsa_next_free_sgpr 29
		.amdhsa_reserve_vcc 1
		.amdhsa_reserve_flat_scratch 0
		.amdhsa_float_round_mode_32 0
		.amdhsa_float_round_mode_16_64 0
		.amdhsa_float_denorm_mode_32 3
		.amdhsa_float_denorm_mode_16_64 3
		.amdhsa_dx10_clamp 1
		.amdhsa_ieee_mode 1
		.amdhsa_fp16_overflow 0
		.amdhsa_workgroup_processor_mode 1
		.amdhsa_memory_ordered 1
		.amdhsa_forward_progress 1
		.amdhsa_shared_vgpr_count 0
		.amdhsa_exception_fp_ieee_invalid_op 0
		.amdhsa_exception_fp_denorm_src 0
		.amdhsa_exception_fp_ieee_div_zero 0
		.amdhsa_exception_fp_ieee_overflow 0
		.amdhsa_exception_fp_ieee_underflow 0
		.amdhsa_exception_fp_ieee_inexact 0
		.amdhsa_exception_int_div_zero 0
	.end_amdhsa_kernel
	.section	.text._ZL29rocblas_internal_gemmt_kernelIlLi16ELi32ELi8ELc78ELc78ELc76ELb0ELb0EffPKPKfPKPfEviT_T9_T10_S7_lS9_S7_lS8_T11_S7_li,"axG",@progbits,_ZL29rocblas_internal_gemmt_kernelIlLi16ELi32ELi8ELc78ELc78ELc76ELb0ELb0EffPKPKfPKPfEviT_T9_T10_S7_lS9_S7_lS8_T11_S7_li,comdat
.Lfunc_end459:
	.size	_ZL29rocblas_internal_gemmt_kernelIlLi16ELi32ELi8ELc78ELc78ELc76ELb0ELb0EffPKPKfPKPfEviT_T9_T10_S7_lS9_S7_lS8_T11_S7_li, .Lfunc_end459-_ZL29rocblas_internal_gemmt_kernelIlLi16ELi32ELi8ELc78ELc78ELc76ELb0ELb0EffPKPKfPKPfEviT_T9_T10_S7_lS9_S7_lS8_T11_S7_li
                                        ; -- End function
	.set _ZL29rocblas_internal_gemmt_kernelIlLi16ELi32ELi8ELc78ELc78ELc76ELb0ELb0EffPKPKfPKPfEviT_T9_T10_S7_lS9_S7_lS8_T11_S7_li.num_vgpr, 46
	.set _ZL29rocblas_internal_gemmt_kernelIlLi16ELi32ELi8ELc78ELc78ELc76ELb0ELb0EffPKPKfPKPfEviT_T9_T10_S7_lS9_S7_lS8_T11_S7_li.num_agpr, 0
	.set _ZL29rocblas_internal_gemmt_kernelIlLi16ELi32ELi8ELc78ELc78ELc76ELb0ELb0EffPKPKfPKPfEviT_T9_T10_S7_lS9_S7_lS8_T11_S7_li.numbered_sgpr, 29
	.set _ZL29rocblas_internal_gemmt_kernelIlLi16ELi32ELi8ELc78ELc78ELc76ELb0ELb0EffPKPKfPKPfEviT_T9_T10_S7_lS9_S7_lS8_T11_S7_li.num_named_barrier, 0
	.set _ZL29rocblas_internal_gemmt_kernelIlLi16ELi32ELi8ELc78ELc78ELc76ELb0ELb0EffPKPKfPKPfEviT_T9_T10_S7_lS9_S7_lS8_T11_S7_li.private_seg_size, 0
	.set _ZL29rocblas_internal_gemmt_kernelIlLi16ELi32ELi8ELc78ELc78ELc76ELb0ELb0EffPKPKfPKPfEviT_T9_T10_S7_lS9_S7_lS8_T11_S7_li.uses_vcc, 1
	.set _ZL29rocblas_internal_gemmt_kernelIlLi16ELi32ELi8ELc78ELc78ELc76ELb0ELb0EffPKPKfPKPfEviT_T9_T10_S7_lS9_S7_lS8_T11_S7_li.uses_flat_scratch, 0
	.set _ZL29rocblas_internal_gemmt_kernelIlLi16ELi32ELi8ELc78ELc78ELc76ELb0ELb0EffPKPKfPKPfEviT_T9_T10_S7_lS9_S7_lS8_T11_S7_li.has_dyn_sized_stack, 0
	.set _ZL29rocblas_internal_gemmt_kernelIlLi16ELi32ELi8ELc78ELc78ELc76ELb0ELb0EffPKPKfPKPfEviT_T9_T10_S7_lS9_S7_lS8_T11_S7_li.has_recursion, 0
	.set _ZL29rocblas_internal_gemmt_kernelIlLi16ELi32ELi8ELc78ELc78ELc76ELb0ELb0EffPKPKfPKPfEviT_T9_T10_S7_lS9_S7_lS8_T11_S7_li.has_indirect_call, 0
	.section	.AMDGPU.csdata,"",@progbits
; Kernel info:
; codeLenInByte = 1472
; TotalNumSgprs: 31
; NumVgprs: 46
; ScratchSize: 0
; MemoryBound: 0
; FloatMode: 240
; IeeeMode: 1
; LDSByteSize: 2048 bytes/workgroup (compile time only)
; SGPRBlocks: 0
; VGPRBlocks: 5
; NumSGPRsForWavesPerEU: 31
; NumVGPRsForWavesPerEU: 46
; Occupancy: 16
; WaveLimiterHint : 1
; COMPUTE_PGM_RSRC2:SCRATCH_EN: 0
; COMPUTE_PGM_RSRC2:USER_SGPR: 6
; COMPUTE_PGM_RSRC2:TRAP_HANDLER: 0
; COMPUTE_PGM_RSRC2:TGID_X_EN: 1
; COMPUTE_PGM_RSRC2:TGID_Y_EN: 1
; COMPUTE_PGM_RSRC2:TGID_Z_EN: 1
; COMPUTE_PGM_RSRC2:TIDIG_COMP_CNT: 1
	.section	.text._ZL29rocblas_internal_gemmt_kernelIlLi16ELi32ELi8ELc78ELc84ELc76ELb0ELb0EffPKPKfPKPfEviT_T9_T10_S7_lS9_S7_lS8_T11_S7_li,"axG",@progbits,_ZL29rocblas_internal_gemmt_kernelIlLi16ELi32ELi8ELc78ELc84ELc76ELb0ELb0EffPKPKfPKPfEviT_T9_T10_S7_lS9_S7_lS8_T11_S7_li,comdat
	.globl	_ZL29rocblas_internal_gemmt_kernelIlLi16ELi32ELi8ELc78ELc84ELc76ELb0ELb0EffPKPKfPKPfEviT_T9_T10_S7_lS9_S7_lS8_T11_S7_li ; -- Begin function _ZL29rocblas_internal_gemmt_kernelIlLi16ELi32ELi8ELc78ELc84ELc76ELb0ELb0EffPKPKfPKPfEviT_T9_T10_S7_lS9_S7_lS8_T11_S7_li
	.p2align	8
	.type	_ZL29rocblas_internal_gemmt_kernelIlLi16ELi32ELi8ELc78ELc84ELc76ELb0ELb0EffPKPKfPKPfEviT_T9_T10_S7_lS9_S7_lS8_T11_S7_li,@function
_ZL29rocblas_internal_gemmt_kernelIlLi16ELi32ELi8ELc78ELc84ELc76ELb0ELb0EffPKPKfPKPfEviT_T9_T10_S7_lS9_S7_lS8_T11_S7_li: ; @_ZL29rocblas_internal_gemmt_kernelIlLi16ELi32ELi8ELc78ELc84ELc76ELb0ELb0EffPKPKfPKPfEviT_T9_T10_S7_lS9_S7_lS8_T11_S7_li
; %bb.0:
	s_clause 0x2
	s_load_dword s22, s[4:5], 0x48
	s_load_dwordx2 s[2:3], s[4:5], 0x8
	s_load_dword s23, s[4:5], 0x10
	s_waitcnt lgkmcnt(0)
	v_cmp_neq_f32_e64 s0, s22, 1.0
	s_and_b32 vcc_lo, exec_lo, s0
	s_cbranch_vccnz .LBB460_2
; %bb.1:
	v_cmp_neq_f32_e64 s0, s23, 0
	s_cmp_lg_u64 s[2:3], 0
	s_cselect_b32 s1, -1, 0
	s_and_b32 s0, s1, s0
.LBB460_2:
	s_andn2_b32 vcc_lo, exec_lo, s0
	s_cbranch_vccnz .LBB460_28
; %bb.3:
	s_clause 0x1
	s_load_dwordx4 s[16:19], s[4:5], 0x50
	s_load_dword s24, s[4:5], 0x0
	s_mov_b32 s9, 0
	v_mov_b32_e32 v8, 0
	s_lshl_b64 s[0:1], s[8:9], 3
	v_mov_b32_e32 v4, 0
	v_mov_b32_e32 v7, 0
	;; [unrolled: 1-line block ×3, first 2 shown]
	s_waitcnt lgkmcnt(0)
	s_add_u32 s8, s16, s0
	s_addc_u32 s9, s17, s1
	s_load_dwordx2 s[20:21], s[4:5], 0x60
	s_load_dwordx2 s[16:17], s[8:9], 0x0
	v_cmp_lt_i64_e64 s8, s[2:3], 1
	v_cmp_eq_f32_e64 s9, s23, 0
	s_lshl_b32 s25, s6, 5
	s_lshl_b32 s26, s7, 5
	s_or_b32 s6, s9, s8
	s_and_b32 vcc_lo, exec_lo, s6
	s_cbranch_vccnz .LBB460_12
; %bb.4:
	s_clause 0x1
	s_load_dwordx8 s[8:15], s[4:5], 0x18
	s_load_dwordx4 s[4:7], s[4:5], 0x38
	v_lshl_add_u32 v2, v1, 4, v0
	v_and_b32_e32 v5, 7, v0
	v_lshlrev_b32_e32 v9, 2, v0
	v_lshl_add_u32 v10, v1, 5, 0x400
	v_mov_b32_e32 v3, 0
	v_lshrrev_b32_e32 v8, 3, v2
	v_and_b32_e32 v12, 31, v2
	v_lshlrev_b32_e32 v16, 2, v5
	v_lshrrev_b32_e32 v11, 5, v2
	v_mov_b32_e32 v6, 0
	v_add_nc_u32_e32 v13, s26, v8
	v_or_b32_e32 v15, s25, v12
	v_lshl_or_b32 v8, v8, 5, v16
	v_lshlrev_b32_e32 v2, 2, v12
	v_mov_b32_e32 v7, 0
	v_ashrrev_i32_e32 v14, 31, v13
	v_ashrrev_i32_e32 v16, 31, v15
	v_mov_b32_e32 v4, 0
	s_waitcnt lgkmcnt(0)
	s_add_u32 s14, s14, s0
	s_addc_u32 s15, s15, s1
	s_lshl_b64 s[6:7], s[6:7], 2
	s_load_dwordx2 s[14:15], s[14:15], 0x0
	v_lshlrev_b64 v[17:18], 2, v[13:14]
	v_lshlrev_b64 v[19:20], 2, v[15:16]
	v_lshl_or_b32 v12, v11, 7, v2
	s_waitcnt lgkmcnt(0)
	s_add_u32 s14, s14, s6
	s_addc_u32 s15, s15, s7
	s_add_u32 s0, s8, s0
	s_addc_u32 s1, s9, s1
	s_lshl_b64 s[8:9], s[12:13], 2
	s_load_dwordx2 s[6:7], s[0:1], 0x0
	v_add_co_u32 v14, vcc_lo, s14, v17
	v_cmp_gt_i32_e64 s0, s24, v15
	v_add_co_ci_u32_e64 v15, null, s15, v18, vcc_lo
	v_cmp_gt_i32_e64 s1, s24, v13
	v_add_nc_u32_e32 v13, 0x400, v8
	v_mov_b32_e32 v8, 0
	s_waitcnt lgkmcnt(0)
	s_add_u32 s6, s6, s8
	s_addc_u32 s7, s7, s9
	v_add_co_u32 v16, vcc_lo, s6, v19
	v_add_co_ci_u32_e64 v17, null, s7, v20, vcc_lo
	s_mov_b64 s[6:7], 0
	s_branch .LBB460_6
.LBB460_5:                              ;   in Loop: Header=BB460_6 Depth=1
	s_or_b32 exec_lo, exec_lo, s8
	s_waitcnt vmcnt(0) lgkmcnt(0)
	ds_write_b32 v13, v19
	s_waitcnt lgkmcnt(0)
	s_barrier
	buffer_gl0_inv
	ds_read_b128 v[18:21], v10
	ds_read2_b32 v[34:35], v9 offset1:16
	ds_read_b128 v[22:25], v10 offset:512
	ds_read2_b32 v[36:37], v9 offset0:32 offset1:48
	ds_read2_b32 v[38:39], v9 offset0:64 offset1:80
	;; [unrolled: 1-line block ×3, first 2 shown]
	ds_read_b128 v[26:29], v10 offset:16
	ds_read2_b32 v[42:43], v9 offset0:128 offset1:144
	ds_read_b128 v[30:33], v10 offset:528
	ds_read2_b32 v[44:45], v9 offset0:160 offset1:176
	s_add_u32 s6, s6, 8
	s_addc_u32 s7, s7, 0
	v_cmp_gt_i64_e64 s8, s[2:3], s[6:7]
	s_and_b32 vcc_lo, exec_lo, s8
	s_waitcnt lgkmcnt(8)
	v_fmac_f32_e32 v8, v34, v18
	v_fmac_f32_e32 v4, v35, v18
	s_waitcnt lgkmcnt(7)
	v_fmac_f32_e32 v7, v34, v22
	v_fmac_f32_e32 v6, v35, v22
	ds_read2_b32 v[34:35], v9 offset0:192 offset1:208
	s_waitcnt lgkmcnt(7)
	v_fmac_f32_e32 v8, v36, v19
	v_fmac_f32_e32 v4, v37, v19
	v_fmac_f32_e32 v7, v36, v23
	v_fmac_f32_e32 v6, v37, v23
	ds_read2_b32 v[18:19], v9 offset0:224 offset1:240
	s_waitcnt lgkmcnt(7)
	v_fmac_f32_e32 v8, v38, v20
	v_fmac_f32_e32 v4, v39, v20
	;; [unrolled: 1-line block ×4, first 2 shown]
	s_waitcnt lgkmcnt(0)
	v_fmac_f32_e32 v8, v40, v21
	v_fmac_f32_e32 v4, v41, v21
	;; [unrolled: 1-line block ×4, first 2 shown]
	s_barrier
	v_fmac_f32_e32 v8, v42, v26
	v_fmac_f32_e32 v4, v43, v26
	;; [unrolled: 1-line block ×4, first 2 shown]
	buffer_gl0_inv
	v_fmac_f32_e32 v8, v44, v27
	v_fmac_f32_e32 v4, v45, v27
	v_fmac_f32_e32 v7, v44, v31
	v_fmac_f32_e32 v6, v45, v31
	v_fmac_f32_e32 v8, v34, v28
	v_fmac_f32_e32 v4, v35, v28
	v_fmac_f32_e32 v7, v34, v32
	v_fmac_f32_e32 v6, v35, v32
	v_fmac_f32_e32 v8, v18, v29
	v_fmac_f32_e32 v4, v19, v29
	v_fmac_f32_e32 v7, v18, v33
	v_fmac_f32_e32 v6, v19, v33
	s_cbranch_vccz .LBB460_12
.LBB460_6:                              ; =>This Inner Loop Header: Depth=1
	v_mov_b32_e32 v18, 0
	s_and_saveexec_b32 s8, s0
	s_cbranch_execz .LBB460_10
; %bb.7:                                ;   in Loop: Header=BB460_6 Depth=1
	v_add_nc_u32_e32 v2, s6, v11
	v_mov_b32_e32 v18, 0
	s_mov_b32 s9, exec_lo
	v_cmpx_gt_u64_e64 s[2:3], v[2:3]
	s_cbranch_execz .LBB460_9
; %bb.8:                                ;   in Loop: Header=BB460_6 Depth=1
	v_mad_u64_u32 v[18:19], null, s10, v2, 0
	v_mad_u64_u32 v[19:20], null, s11, v2, v[19:20]
	v_lshlrev_b64 v[18:19], 2, v[18:19]
	v_add_co_u32 v18, vcc_lo, v16, v18
	v_add_co_ci_u32_e64 v19, null, v17, v19, vcc_lo
	flat_load_dword v18, v[18:19]
.LBB460_9:                              ;   in Loop: Header=BB460_6 Depth=1
	s_or_b32 exec_lo, exec_lo, s9
.LBB460_10:                             ;   in Loop: Header=BB460_6 Depth=1
	s_or_b32 exec_lo, exec_lo, s8
	v_add_nc_u32_e32 v2, s6, v5
	v_mov_b32_e32 v19, 0
	s_waitcnt vmcnt(0) lgkmcnt(0)
	ds_write_b32 v12, v18
	v_cmp_gt_u64_e32 vcc_lo, s[2:3], v[2:3]
	s_and_b32 s9, vcc_lo, s1
	s_and_saveexec_b32 s8, s9
	s_cbranch_execz .LBB460_5
; %bb.11:                               ;   in Loop: Header=BB460_6 Depth=1
	v_mad_u64_u32 v[18:19], null, s4, v2, 0
	v_mad_u64_u32 v[19:20], null, s5, v2, v[19:20]
	v_lshlrev_b64 v[18:19], 2, v[18:19]
	v_add_co_u32 v18, vcc_lo, v14, v18
	v_add_co_ci_u32_e64 v19, null, v15, v19, vcc_lo
	flat_load_dword v19, v[18:19]
	s_branch .LBB460_5
.LBB460_12:
	v_add_nc_u32_e32 v10, s26, v1
	v_add_nc_u32_e32 v0, s25, v0
	s_waitcnt lgkmcnt(0)
	s_lshl_b64 s[0:1], s[20:21], 2
	v_cmp_neq_f32_e64 s2, s22, 0
	s_add_u32 s3, s16, s0
	v_ashrrev_i32_e32 v3, 31, v10
	v_mul_lo_u32 v5, s19, v10
	v_mad_u64_u32 v[1:2], null, s18, v10, 0
	s_addc_u32 s4, s17, s1
	v_mul_lo_u32 v3, s18, v3
	v_cmp_le_i32_e32 vcc_lo, v10, v0
	v_cmp_gt_i32_e64 s0, s24, v0
	v_cndmask_b32_e64 v9, 0, 1, s2
	s_and_b32 s5, vcc_lo, s0
	v_add3_u32 v2, v2, v3, v5
	v_lshlrev_b64 v[2:3], 2, v[1:2]
	v_ashrrev_i32_e32 v1, 31, v0
	v_add_co_u32 v5, s1, s3, v2
	v_add_co_ci_u32_e64 v11, null, s4, v3, s1
	s_and_saveexec_b32 s1, s5
	s_cbranch_execz .LBB460_16
; %bb.13:
	v_lshlrev_b64 v[2:3], 2, v[0:1]
	v_mul_f32_e32 v8, s23, v8
	v_add_co_u32 v2, vcc_lo, v5, v2
	v_add_co_ci_u32_e64 v3, null, v11, v3, vcc_lo
	s_andn2_b32 vcc_lo, exec_lo, s2
	s_cbranch_vccnz .LBB460_15
; %bb.14:
	flat_load_dword v12, v[2:3]
	s_waitcnt vmcnt(0) lgkmcnt(0)
	v_fmac_f32_e32 v8, s22, v12
.LBB460_15:
	flat_store_dword v[2:3], v8
.LBB460_16:
	s_or_b32 exec_lo, exec_lo, s1
	v_add_nc_u32_e32 v2, 16, v0
	v_cmp_le_i32_e32 vcc_lo, v10, v2
	v_cmp_gt_i32_e64 s1, s24, v2
	v_ashrrev_i32_e32 v3, 31, v2
	s_and_b32 s2, vcc_lo, s1
	s_and_saveexec_b32 s5, s2
	s_cbranch_execz .LBB460_20
; %bb.17:
	v_lshlrev_b64 v[12:13], 2, v[2:3]
	v_mul_f32_e32 v8, s23, v4
	v_cmp_ne_u32_e32 vcc_lo, 1, v9
	v_add_co_u32 v4, s2, v5, v12
	v_add_co_ci_u32_e64 v5, null, v11, v13, s2
	s_cbranch_vccnz .LBB460_19
; %bb.18:
	flat_load_dword v11, v[4:5]
	s_waitcnt vmcnt(0) lgkmcnt(0)
	v_fmac_f32_e32 v8, s22, v11
.LBB460_19:
	flat_store_dword v[4:5], v8
.LBB460_20:
	s_or_b32 exec_lo, exec_lo, s5
	v_add_nc_u32_e32 v8, 16, v10
	v_ashrrev_i32_e32 v10, 31, v8
	v_mul_lo_u32 v11, s19, v8
	v_mad_u64_u32 v[4:5], null, s18, v8, 0
	v_cmp_le_i32_e32 vcc_lo, v8, v0
	v_mul_lo_u32 v10, s18, v10
	s_and_b32 s0, vcc_lo, s0
	v_add3_u32 v5, v5, v10, v11
	v_lshlrev_b64 v[4:5], 2, v[4:5]
	v_add_co_u32 v4, s2, s3, v4
	v_add_co_ci_u32_e64 v5, null, s4, v5, s2
	s_and_saveexec_b32 s2, s0
	s_cbranch_execz .LBB460_24
; %bb.21:
	v_lshlrev_b64 v[0:1], 2, v[0:1]
	v_cmp_ne_u32_e32 vcc_lo, 1, v9
	v_mul_f32_e32 v7, s23, v7
	v_add_co_u32 v0, s0, v4, v0
	v_add_co_ci_u32_e64 v1, null, v5, v1, s0
	s_cbranch_vccnz .LBB460_23
; %bb.22:
	flat_load_dword v10, v[0:1]
	s_waitcnt vmcnt(0) lgkmcnt(0)
	v_fmac_f32_e32 v7, s22, v10
.LBB460_23:
	flat_store_dword v[0:1], v7
.LBB460_24:
	s_or_b32 exec_lo, exec_lo, s2
	v_cmp_le_i32_e32 vcc_lo, v8, v2
	s_and_b32 s0, vcc_lo, s1
	s_and_saveexec_b32 s1, s0
	s_cbranch_execz .LBB460_28
; %bb.25:
	v_lshlrev_b64 v[0:1], 2, v[2:3]
	v_cmp_ne_u32_e32 vcc_lo, 1, v9
	v_mul_f32_e32 v2, s23, v6
	v_add_co_u32 v0, s0, v4, v0
	v_add_co_ci_u32_e64 v1, null, v5, v1, s0
	s_cbranch_vccnz .LBB460_27
; %bb.26:
	flat_load_dword v3, v[0:1]
	s_waitcnt vmcnt(0) lgkmcnt(0)
	v_fmac_f32_e32 v2, s22, v3
.LBB460_27:
	flat_store_dword v[0:1], v2
.LBB460_28:
	s_endpgm
	.section	.rodata,"a",@progbits
	.p2align	6, 0x0
	.amdhsa_kernel _ZL29rocblas_internal_gemmt_kernelIlLi16ELi32ELi8ELc78ELc84ELc76ELb0ELb0EffPKPKfPKPfEviT_T9_T10_S7_lS9_S7_lS8_T11_S7_li
		.amdhsa_group_segment_fixed_size 2048
		.amdhsa_private_segment_fixed_size 0
		.amdhsa_kernarg_size 108
		.amdhsa_user_sgpr_count 6
		.amdhsa_user_sgpr_private_segment_buffer 1
		.amdhsa_user_sgpr_dispatch_ptr 0
		.amdhsa_user_sgpr_queue_ptr 0
		.amdhsa_user_sgpr_kernarg_segment_ptr 1
		.amdhsa_user_sgpr_dispatch_id 0
		.amdhsa_user_sgpr_flat_scratch_init 0
		.amdhsa_user_sgpr_private_segment_size 0
		.amdhsa_wavefront_size32 1
		.amdhsa_uses_dynamic_stack 0
		.amdhsa_system_sgpr_private_segment_wavefront_offset 0
		.amdhsa_system_sgpr_workgroup_id_x 1
		.amdhsa_system_sgpr_workgroup_id_y 1
		.amdhsa_system_sgpr_workgroup_id_z 1
		.amdhsa_system_sgpr_workgroup_info 0
		.amdhsa_system_vgpr_workitem_id 1
		.amdhsa_next_free_vgpr 46
		.amdhsa_next_free_sgpr 27
		.amdhsa_reserve_vcc 1
		.amdhsa_reserve_flat_scratch 0
		.amdhsa_float_round_mode_32 0
		.amdhsa_float_round_mode_16_64 0
		.amdhsa_float_denorm_mode_32 3
		.amdhsa_float_denorm_mode_16_64 3
		.amdhsa_dx10_clamp 1
		.amdhsa_ieee_mode 1
		.amdhsa_fp16_overflow 0
		.amdhsa_workgroup_processor_mode 1
		.amdhsa_memory_ordered 1
		.amdhsa_forward_progress 1
		.amdhsa_shared_vgpr_count 0
		.amdhsa_exception_fp_ieee_invalid_op 0
		.amdhsa_exception_fp_denorm_src 0
		.amdhsa_exception_fp_ieee_div_zero 0
		.amdhsa_exception_fp_ieee_overflow 0
		.amdhsa_exception_fp_ieee_underflow 0
		.amdhsa_exception_fp_ieee_inexact 0
		.amdhsa_exception_int_div_zero 0
	.end_amdhsa_kernel
	.section	.text._ZL29rocblas_internal_gemmt_kernelIlLi16ELi32ELi8ELc78ELc84ELc76ELb0ELb0EffPKPKfPKPfEviT_T9_T10_S7_lS9_S7_lS8_T11_S7_li,"axG",@progbits,_ZL29rocblas_internal_gemmt_kernelIlLi16ELi32ELi8ELc78ELc84ELc76ELb0ELb0EffPKPKfPKPfEviT_T9_T10_S7_lS9_S7_lS8_T11_S7_li,comdat
.Lfunc_end460:
	.size	_ZL29rocblas_internal_gemmt_kernelIlLi16ELi32ELi8ELc78ELc84ELc76ELb0ELb0EffPKPKfPKPfEviT_T9_T10_S7_lS9_S7_lS8_T11_S7_li, .Lfunc_end460-_ZL29rocblas_internal_gemmt_kernelIlLi16ELi32ELi8ELc78ELc84ELc76ELb0ELb0EffPKPKfPKPfEviT_T9_T10_S7_lS9_S7_lS8_T11_S7_li
                                        ; -- End function
	.set _ZL29rocblas_internal_gemmt_kernelIlLi16ELi32ELi8ELc78ELc84ELc76ELb0ELb0EffPKPKfPKPfEviT_T9_T10_S7_lS9_S7_lS8_T11_S7_li.num_vgpr, 46
	.set _ZL29rocblas_internal_gemmt_kernelIlLi16ELi32ELi8ELc78ELc84ELc76ELb0ELb0EffPKPKfPKPfEviT_T9_T10_S7_lS9_S7_lS8_T11_S7_li.num_agpr, 0
	.set _ZL29rocblas_internal_gemmt_kernelIlLi16ELi32ELi8ELc78ELc84ELc76ELb0ELb0EffPKPKfPKPfEviT_T9_T10_S7_lS9_S7_lS8_T11_S7_li.numbered_sgpr, 27
	.set _ZL29rocblas_internal_gemmt_kernelIlLi16ELi32ELi8ELc78ELc84ELc76ELb0ELb0EffPKPKfPKPfEviT_T9_T10_S7_lS9_S7_lS8_T11_S7_li.num_named_barrier, 0
	.set _ZL29rocblas_internal_gemmt_kernelIlLi16ELi32ELi8ELc78ELc84ELc76ELb0ELb0EffPKPKfPKPfEviT_T9_T10_S7_lS9_S7_lS8_T11_S7_li.private_seg_size, 0
	.set _ZL29rocblas_internal_gemmt_kernelIlLi16ELi32ELi8ELc78ELc84ELc76ELb0ELb0EffPKPKfPKPfEviT_T9_T10_S7_lS9_S7_lS8_T11_S7_li.uses_vcc, 1
	.set _ZL29rocblas_internal_gemmt_kernelIlLi16ELi32ELi8ELc78ELc84ELc76ELb0ELb0EffPKPKfPKPfEviT_T9_T10_S7_lS9_S7_lS8_T11_S7_li.uses_flat_scratch, 0
	.set _ZL29rocblas_internal_gemmt_kernelIlLi16ELi32ELi8ELc78ELc84ELc76ELb0ELb0EffPKPKfPKPfEviT_T9_T10_S7_lS9_S7_lS8_T11_S7_li.has_dyn_sized_stack, 0
	.set _ZL29rocblas_internal_gemmt_kernelIlLi16ELi32ELi8ELc78ELc84ELc76ELb0ELb0EffPKPKfPKPfEviT_T9_T10_S7_lS9_S7_lS8_T11_S7_li.has_recursion, 0
	.set _ZL29rocblas_internal_gemmt_kernelIlLi16ELi32ELi8ELc78ELc84ELc76ELb0ELb0EffPKPKfPKPfEviT_T9_T10_S7_lS9_S7_lS8_T11_S7_li.has_indirect_call, 0
	.section	.AMDGPU.csdata,"",@progbits
; Kernel info:
; codeLenInByte = 1456
; TotalNumSgprs: 29
; NumVgprs: 46
; ScratchSize: 0
; MemoryBound: 0
; FloatMode: 240
; IeeeMode: 1
; LDSByteSize: 2048 bytes/workgroup (compile time only)
; SGPRBlocks: 0
; VGPRBlocks: 5
; NumSGPRsForWavesPerEU: 29
; NumVGPRsForWavesPerEU: 46
; Occupancy: 16
; WaveLimiterHint : 1
; COMPUTE_PGM_RSRC2:SCRATCH_EN: 0
; COMPUTE_PGM_RSRC2:USER_SGPR: 6
; COMPUTE_PGM_RSRC2:TRAP_HANDLER: 0
; COMPUTE_PGM_RSRC2:TGID_X_EN: 1
; COMPUTE_PGM_RSRC2:TGID_Y_EN: 1
; COMPUTE_PGM_RSRC2:TGID_Z_EN: 1
; COMPUTE_PGM_RSRC2:TIDIG_COMP_CNT: 1
	.section	.text._ZL29rocblas_internal_gemmt_kernelIlLi16ELi32ELi8ELc78ELc67ELc76ELb0ELb0EffPKPKfPKPfEviT_T9_T10_S7_lS9_S7_lS8_T11_S7_li,"axG",@progbits,_ZL29rocblas_internal_gemmt_kernelIlLi16ELi32ELi8ELc78ELc67ELc76ELb0ELb0EffPKPKfPKPfEviT_T9_T10_S7_lS9_S7_lS8_T11_S7_li,comdat
	.globl	_ZL29rocblas_internal_gemmt_kernelIlLi16ELi32ELi8ELc78ELc67ELc76ELb0ELb0EffPKPKfPKPfEviT_T9_T10_S7_lS9_S7_lS8_T11_S7_li ; -- Begin function _ZL29rocblas_internal_gemmt_kernelIlLi16ELi32ELi8ELc78ELc67ELc76ELb0ELb0EffPKPKfPKPfEviT_T9_T10_S7_lS9_S7_lS8_T11_S7_li
	.p2align	8
	.type	_ZL29rocblas_internal_gemmt_kernelIlLi16ELi32ELi8ELc78ELc67ELc76ELb0ELb0EffPKPKfPKPfEviT_T9_T10_S7_lS9_S7_lS8_T11_S7_li,@function
_ZL29rocblas_internal_gemmt_kernelIlLi16ELi32ELi8ELc78ELc67ELc76ELb0ELb0EffPKPKfPKPfEviT_T9_T10_S7_lS9_S7_lS8_T11_S7_li: ; @_ZL29rocblas_internal_gemmt_kernelIlLi16ELi32ELi8ELc78ELc67ELc76ELb0ELb0EffPKPKfPKPfEviT_T9_T10_S7_lS9_S7_lS8_T11_S7_li
; %bb.0:
	s_clause 0x2
	s_load_dword s22, s[4:5], 0x48
	s_load_dwordx2 s[2:3], s[4:5], 0x8
	s_load_dword s23, s[4:5], 0x10
	s_waitcnt lgkmcnt(0)
	v_cmp_neq_f32_e64 s0, s22, 1.0
	s_and_b32 vcc_lo, exec_lo, s0
	s_cbranch_vccnz .LBB461_2
; %bb.1:
	v_cmp_neq_f32_e64 s0, s23, 0
	s_cmp_lg_u64 s[2:3], 0
	s_cselect_b32 s1, -1, 0
	s_and_b32 s0, s1, s0
.LBB461_2:
	s_andn2_b32 vcc_lo, exec_lo, s0
	s_cbranch_vccnz .LBB461_28
; %bb.3:
	s_clause 0x1
	s_load_dwordx4 s[16:19], s[4:5], 0x50
	s_load_dword s24, s[4:5], 0x0
	s_mov_b32 s9, 0
	v_mov_b32_e32 v8, 0
	s_lshl_b64 s[0:1], s[8:9], 3
	v_mov_b32_e32 v4, 0
	v_mov_b32_e32 v7, 0
	;; [unrolled: 1-line block ×3, first 2 shown]
	s_waitcnt lgkmcnt(0)
	s_add_u32 s8, s16, s0
	s_addc_u32 s9, s17, s1
	s_load_dwordx2 s[20:21], s[4:5], 0x60
	s_load_dwordx2 s[16:17], s[8:9], 0x0
	v_cmp_lt_i64_e64 s8, s[2:3], 1
	v_cmp_eq_f32_e64 s9, s23, 0
	s_lshl_b32 s25, s6, 5
	s_lshl_b32 s26, s7, 5
	s_or_b32 s6, s9, s8
	s_and_b32 vcc_lo, exec_lo, s6
	s_cbranch_vccnz .LBB461_12
; %bb.4:
	s_clause 0x1
	s_load_dwordx8 s[8:15], s[4:5], 0x18
	s_load_dwordx4 s[4:7], s[4:5], 0x38
	v_lshl_add_u32 v2, v1, 4, v0
	v_and_b32_e32 v5, 7, v0
	v_lshlrev_b32_e32 v9, 2, v0
	v_lshl_add_u32 v10, v1, 5, 0x400
	v_mov_b32_e32 v3, 0
	v_lshrrev_b32_e32 v8, 3, v2
	v_and_b32_e32 v12, 31, v2
	v_lshlrev_b32_e32 v16, 2, v5
	v_lshrrev_b32_e32 v11, 5, v2
	v_mov_b32_e32 v6, 0
	v_add_nc_u32_e32 v13, s26, v8
	v_or_b32_e32 v15, s25, v12
	v_lshl_or_b32 v8, v8, 5, v16
	v_lshlrev_b32_e32 v2, 2, v12
	v_mov_b32_e32 v7, 0
	v_ashrrev_i32_e32 v14, 31, v13
	v_ashrrev_i32_e32 v16, 31, v15
	v_mov_b32_e32 v4, 0
	s_waitcnt lgkmcnt(0)
	s_add_u32 s14, s14, s0
	s_addc_u32 s15, s15, s1
	s_lshl_b64 s[6:7], s[6:7], 2
	s_load_dwordx2 s[14:15], s[14:15], 0x0
	v_lshlrev_b64 v[17:18], 2, v[13:14]
	v_lshlrev_b64 v[19:20], 2, v[15:16]
	v_lshl_or_b32 v12, v11, 7, v2
	s_waitcnt lgkmcnt(0)
	s_add_u32 s14, s14, s6
	s_addc_u32 s15, s15, s7
	s_add_u32 s0, s8, s0
	s_addc_u32 s1, s9, s1
	s_lshl_b64 s[8:9], s[12:13], 2
	s_load_dwordx2 s[6:7], s[0:1], 0x0
	v_add_co_u32 v14, vcc_lo, s14, v17
	v_cmp_gt_i32_e64 s0, s24, v15
	v_add_co_ci_u32_e64 v15, null, s15, v18, vcc_lo
	v_cmp_gt_i32_e64 s1, s24, v13
	v_add_nc_u32_e32 v13, 0x400, v8
	v_mov_b32_e32 v8, 0
	s_waitcnt lgkmcnt(0)
	s_add_u32 s6, s6, s8
	s_addc_u32 s7, s7, s9
	v_add_co_u32 v16, vcc_lo, s6, v19
	v_add_co_ci_u32_e64 v17, null, s7, v20, vcc_lo
	s_mov_b64 s[6:7], 0
	s_branch .LBB461_6
.LBB461_5:                              ;   in Loop: Header=BB461_6 Depth=1
	s_or_b32 exec_lo, exec_lo, s8
	s_waitcnt vmcnt(0) lgkmcnt(0)
	ds_write_b32 v13, v19
	s_waitcnt lgkmcnt(0)
	s_barrier
	buffer_gl0_inv
	ds_read_b128 v[18:21], v10
	ds_read2_b32 v[34:35], v9 offset1:16
	ds_read_b128 v[22:25], v10 offset:512
	ds_read2_b32 v[36:37], v9 offset0:32 offset1:48
	ds_read2_b32 v[38:39], v9 offset0:64 offset1:80
	;; [unrolled: 1-line block ×3, first 2 shown]
	ds_read_b128 v[26:29], v10 offset:16
	ds_read2_b32 v[42:43], v9 offset0:128 offset1:144
	ds_read_b128 v[30:33], v10 offset:528
	ds_read2_b32 v[44:45], v9 offset0:160 offset1:176
	s_add_u32 s6, s6, 8
	s_addc_u32 s7, s7, 0
	v_cmp_gt_i64_e64 s8, s[2:3], s[6:7]
	s_and_b32 vcc_lo, exec_lo, s8
	s_waitcnt lgkmcnt(8)
	v_fmac_f32_e32 v8, v34, v18
	v_fmac_f32_e32 v4, v35, v18
	s_waitcnt lgkmcnt(7)
	v_fmac_f32_e32 v7, v34, v22
	v_fmac_f32_e32 v6, v35, v22
	ds_read2_b32 v[34:35], v9 offset0:192 offset1:208
	s_waitcnt lgkmcnt(7)
	v_fmac_f32_e32 v8, v36, v19
	v_fmac_f32_e32 v4, v37, v19
	;; [unrolled: 1-line block ×4, first 2 shown]
	ds_read2_b32 v[18:19], v9 offset0:224 offset1:240
	s_waitcnt lgkmcnt(7)
	v_fmac_f32_e32 v8, v38, v20
	v_fmac_f32_e32 v4, v39, v20
	;; [unrolled: 1-line block ×4, first 2 shown]
	s_waitcnt lgkmcnt(0)
	v_fmac_f32_e32 v8, v40, v21
	v_fmac_f32_e32 v4, v41, v21
	;; [unrolled: 1-line block ×4, first 2 shown]
	s_barrier
	v_fmac_f32_e32 v8, v42, v26
	v_fmac_f32_e32 v4, v43, v26
	;; [unrolled: 1-line block ×4, first 2 shown]
	buffer_gl0_inv
	v_fmac_f32_e32 v8, v44, v27
	v_fmac_f32_e32 v4, v45, v27
	;; [unrolled: 1-line block ×12, first 2 shown]
	s_cbranch_vccz .LBB461_12
.LBB461_6:                              ; =>This Inner Loop Header: Depth=1
	v_mov_b32_e32 v18, 0
	s_and_saveexec_b32 s8, s0
	s_cbranch_execz .LBB461_10
; %bb.7:                                ;   in Loop: Header=BB461_6 Depth=1
	v_add_nc_u32_e32 v2, s6, v11
	v_mov_b32_e32 v18, 0
	s_mov_b32 s9, exec_lo
	v_cmpx_gt_u64_e64 s[2:3], v[2:3]
	s_cbranch_execz .LBB461_9
; %bb.8:                                ;   in Loop: Header=BB461_6 Depth=1
	v_mad_u64_u32 v[18:19], null, s10, v2, 0
	v_mad_u64_u32 v[19:20], null, s11, v2, v[19:20]
	v_lshlrev_b64 v[18:19], 2, v[18:19]
	v_add_co_u32 v18, vcc_lo, v16, v18
	v_add_co_ci_u32_e64 v19, null, v17, v19, vcc_lo
	flat_load_dword v18, v[18:19]
.LBB461_9:                              ;   in Loop: Header=BB461_6 Depth=1
	s_or_b32 exec_lo, exec_lo, s9
.LBB461_10:                             ;   in Loop: Header=BB461_6 Depth=1
	s_or_b32 exec_lo, exec_lo, s8
	v_add_nc_u32_e32 v2, s6, v5
	v_mov_b32_e32 v19, 0
	s_waitcnt vmcnt(0) lgkmcnt(0)
	ds_write_b32 v12, v18
	v_cmp_gt_u64_e32 vcc_lo, s[2:3], v[2:3]
	s_and_b32 s9, vcc_lo, s1
	s_and_saveexec_b32 s8, s9
	s_cbranch_execz .LBB461_5
; %bb.11:                               ;   in Loop: Header=BB461_6 Depth=1
	v_mad_u64_u32 v[18:19], null, s4, v2, 0
	v_mad_u64_u32 v[19:20], null, s5, v2, v[19:20]
	v_lshlrev_b64 v[18:19], 2, v[18:19]
	v_add_co_u32 v18, vcc_lo, v14, v18
	v_add_co_ci_u32_e64 v19, null, v15, v19, vcc_lo
	flat_load_dword v19, v[18:19]
	s_branch .LBB461_5
.LBB461_12:
	v_add_nc_u32_e32 v10, s26, v1
	v_add_nc_u32_e32 v0, s25, v0
	s_waitcnt lgkmcnt(0)
	s_lshl_b64 s[0:1], s[20:21], 2
	v_cmp_neq_f32_e64 s2, s22, 0
	s_add_u32 s3, s16, s0
	v_ashrrev_i32_e32 v3, 31, v10
	v_mul_lo_u32 v5, s19, v10
	v_mad_u64_u32 v[1:2], null, s18, v10, 0
	s_addc_u32 s4, s17, s1
	v_mul_lo_u32 v3, s18, v3
	v_cmp_le_i32_e32 vcc_lo, v10, v0
	v_cmp_gt_i32_e64 s0, s24, v0
	v_cndmask_b32_e64 v9, 0, 1, s2
	s_and_b32 s5, vcc_lo, s0
	v_add3_u32 v2, v2, v3, v5
	v_lshlrev_b64 v[2:3], 2, v[1:2]
	v_ashrrev_i32_e32 v1, 31, v0
	v_add_co_u32 v5, s1, s3, v2
	v_add_co_ci_u32_e64 v11, null, s4, v3, s1
	s_and_saveexec_b32 s1, s5
	s_cbranch_execz .LBB461_16
; %bb.13:
	v_lshlrev_b64 v[2:3], 2, v[0:1]
	v_mul_f32_e32 v8, s23, v8
	v_add_co_u32 v2, vcc_lo, v5, v2
	v_add_co_ci_u32_e64 v3, null, v11, v3, vcc_lo
	s_andn2_b32 vcc_lo, exec_lo, s2
	s_cbranch_vccnz .LBB461_15
; %bb.14:
	flat_load_dword v12, v[2:3]
	s_waitcnt vmcnt(0) lgkmcnt(0)
	v_fmac_f32_e32 v8, s22, v12
.LBB461_15:
	flat_store_dword v[2:3], v8
.LBB461_16:
	s_or_b32 exec_lo, exec_lo, s1
	v_add_nc_u32_e32 v2, 16, v0
	v_cmp_le_i32_e32 vcc_lo, v10, v2
	v_cmp_gt_i32_e64 s1, s24, v2
	v_ashrrev_i32_e32 v3, 31, v2
	s_and_b32 s2, vcc_lo, s1
	s_and_saveexec_b32 s5, s2
	s_cbranch_execz .LBB461_20
; %bb.17:
	v_lshlrev_b64 v[12:13], 2, v[2:3]
	v_mul_f32_e32 v8, s23, v4
	v_cmp_ne_u32_e32 vcc_lo, 1, v9
	v_add_co_u32 v4, s2, v5, v12
	v_add_co_ci_u32_e64 v5, null, v11, v13, s2
	s_cbranch_vccnz .LBB461_19
; %bb.18:
	flat_load_dword v11, v[4:5]
	s_waitcnt vmcnt(0) lgkmcnt(0)
	v_fmac_f32_e32 v8, s22, v11
.LBB461_19:
	flat_store_dword v[4:5], v8
.LBB461_20:
	s_or_b32 exec_lo, exec_lo, s5
	v_add_nc_u32_e32 v8, 16, v10
	v_ashrrev_i32_e32 v10, 31, v8
	v_mul_lo_u32 v11, s19, v8
	v_mad_u64_u32 v[4:5], null, s18, v8, 0
	v_cmp_le_i32_e32 vcc_lo, v8, v0
	v_mul_lo_u32 v10, s18, v10
	s_and_b32 s0, vcc_lo, s0
	v_add3_u32 v5, v5, v10, v11
	v_lshlrev_b64 v[4:5], 2, v[4:5]
	v_add_co_u32 v4, s2, s3, v4
	v_add_co_ci_u32_e64 v5, null, s4, v5, s2
	s_and_saveexec_b32 s2, s0
	s_cbranch_execz .LBB461_24
; %bb.21:
	v_lshlrev_b64 v[0:1], 2, v[0:1]
	v_cmp_ne_u32_e32 vcc_lo, 1, v9
	v_mul_f32_e32 v7, s23, v7
	v_add_co_u32 v0, s0, v4, v0
	v_add_co_ci_u32_e64 v1, null, v5, v1, s0
	s_cbranch_vccnz .LBB461_23
; %bb.22:
	flat_load_dword v10, v[0:1]
	s_waitcnt vmcnt(0) lgkmcnt(0)
	v_fmac_f32_e32 v7, s22, v10
.LBB461_23:
	flat_store_dword v[0:1], v7
.LBB461_24:
	s_or_b32 exec_lo, exec_lo, s2
	v_cmp_le_i32_e32 vcc_lo, v8, v2
	s_and_b32 s0, vcc_lo, s1
	s_and_saveexec_b32 s1, s0
	s_cbranch_execz .LBB461_28
; %bb.25:
	v_lshlrev_b64 v[0:1], 2, v[2:3]
	v_cmp_ne_u32_e32 vcc_lo, 1, v9
	v_mul_f32_e32 v2, s23, v6
	v_add_co_u32 v0, s0, v4, v0
	v_add_co_ci_u32_e64 v1, null, v5, v1, s0
	s_cbranch_vccnz .LBB461_27
; %bb.26:
	flat_load_dword v3, v[0:1]
	s_waitcnt vmcnt(0) lgkmcnt(0)
	v_fmac_f32_e32 v2, s22, v3
.LBB461_27:
	flat_store_dword v[0:1], v2
.LBB461_28:
	s_endpgm
	.section	.rodata,"a",@progbits
	.p2align	6, 0x0
	.amdhsa_kernel _ZL29rocblas_internal_gemmt_kernelIlLi16ELi32ELi8ELc78ELc67ELc76ELb0ELb0EffPKPKfPKPfEviT_T9_T10_S7_lS9_S7_lS8_T11_S7_li
		.amdhsa_group_segment_fixed_size 2048
		.amdhsa_private_segment_fixed_size 0
		.amdhsa_kernarg_size 108
		.amdhsa_user_sgpr_count 6
		.amdhsa_user_sgpr_private_segment_buffer 1
		.amdhsa_user_sgpr_dispatch_ptr 0
		.amdhsa_user_sgpr_queue_ptr 0
		.amdhsa_user_sgpr_kernarg_segment_ptr 1
		.amdhsa_user_sgpr_dispatch_id 0
		.amdhsa_user_sgpr_flat_scratch_init 0
		.amdhsa_user_sgpr_private_segment_size 0
		.amdhsa_wavefront_size32 1
		.amdhsa_uses_dynamic_stack 0
		.amdhsa_system_sgpr_private_segment_wavefront_offset 0
		.amdhsa_system_sgpr_workgroup_id_x 1
		.amdhsa_system_sgpr_workgroup_id_y 1
		.amdhsa_system_sgpr_workgroup_id_z 1
		.amdhsa_system_sgpr_workgroup_info 0
		.amdhsa_system_vgpr_workitem_id 1
		.amdhsa_next_free_vgpr 46
		.amdhsa_next_free_sgpr 27
		.amdhsa_reserve_vcc 1
		.amdhsa_reserve_flat_scratch 0
		.amdhsa_float_round_mode_32 0
		.amdhsa_float_round_mode_16_64 0
		.amdhsa_float_denorm_mode_32 3
		.amdhsa_float_denorm_mode_16_64 3
		.amdhsa_dx10_clamp 1
		.amdhsa_ieee_mode 1
		.amdhsa_fp16_overflow 0
		.amdhsa_workgroup_processor_mode 1
		.amdhsa_memory_ordered 1
		.amdhsa_forward_progress 1
		.amdhsa_shared_vgpr_count 0
		.amdhsa_exception_fp_ieee_invalid_op 0
		.amdhsa_exception_fp_denorm_src 0
		.amdhsa_exception_fp_ieee_div_zero 0
		.amdhsa_exception_fp_ieee_overflow 0
		.amdhsa_exception_fp_ieee_underflow 0
		.amdhsa_exception_fp_ieee_inexact 0
		.amdhsa_exception_int_div_zero 0
	.end_amdhsa_kernel
	.section	.text._ZL29rocblas_internal_gemmt_kernelIlLi16ELi32ELi8ELc78ELc67ELc76ELb0ELb0EffPKPKfPKPfEviT_T9_T10_S7_lS9_S7_lS8_T11_S7_li,"axG",@progbits,_ZL29rocblas_internal_gemmt_kernelIlLi16ELi32ELi8ELc78ELc67ELc76ELb0ELb0EffPKPKfPKPfEviT_T9_T10_S7_lS9_S7_lS8_T11_S7_li,comdat
.Lfunc_end461:
	.size	_ZL29rocblas_internal_gemmt_kernelIlLi16ELi32ELi8ELc78ELc67ELc76ELb0ELb0EffPKPKfPKPfEviT_T9_T10_S7_lS9_S7_lS8_T11_S7_li, .Lfunc_end461-_ZL29rocblas_internal_gemmt_kernelIlLi16ELi32ELi8ELc78ELc67ELc76ELb0ELb0EffPKPKfPKPfEviT_T9_T10_S7_lS9_S7_lS8_T11_S7_li
                                        ; -- End function
	.set _ZL29rocblas_internal_gemmt_kernelIlLi16ELi32ELi8ELc78ELc67ELc76ELb0ELb0EffPKPKfPKPfEviT_T9_T10_S7_lS9_S7_lS8_T11_S7_li.num_vgpr, 46
	.set _ZL29rocblas_internal_gemmt_kernelIlLi16ELi32ELi8ELc78ELc67ELc76ELb0ELb0EffPKPKfPKPfEviT_T9_T10_S7_lS9_S7_lS8_T11_S7_li.num_agpr, 0
	.set _ZL29rocblas_internal_gemmt_kernelIlLi16ELi32ELi8ELc78ELc67ELc76ELb0ELb0EffPKPKfPKPfEviT_T9_T10_S7_lS9_S7_lS8_T11_S7_li.numbered_sgpr, 27
	.set _ZL29rocblas_internal_gemmt_kernelIlLi16ELi32ELi8ELc78ELc67ELc76ELb0ELb0EffPKPKfPKPfEviT_T9_T10_S7_lS9_S7_lS8_T11_S7_li.num_named_barrier, 0
	.set _ZL29rocblas_internal_gemmt_kernelIlLi16ELi32ELi8ELc78ELc67ELc76ELb0ELb0EffPKPKfPKPfEviT_T9_T10_S7_lS9_S7_lS8_T11_S7_li.private_seg_size, 0
	.set _ZL29rocblas_internal_gemmt_kernelIlLi16ELi32ELi8ELc78ELc67ELc76ELb0ELb0EffPKPKfPKPfEviT_T9_T10_S7_lS9_S7_lS8_T11_S7_li.uses_vcc, 1
	.set _ZL29rocblas_internal_gemmt_kernelIlLi16ELi32ELi8ELc78ELc67ELc76ELb0ELb0EffPKPKfPKPfEviT_T9_T10_S7_lS9_S7_lS8_T11_S7_li.uses_flat_scratch, 0
	.set _ZL29rocblas_internal_gemmt_kernelIlLi16ELi32ELi8ELc78ELc67ELc76ELb0ELb0EffPKPKfPKPfEviT_T9_T10_S7_lS9_S7_lS8_T11_S7_li.has_dyn_sized_stack, 0
	.set _ZL29rocblas_internal_gemmt_kernelIlLi16ELi32ELi8ELc78ELc67ELc76ELb0ELb0EffPKPKfPKPfEviT_T9_T10_S7_lS9_S7_lS8_T11_S7_li.has_recursion, 0
	.set _ZL29rocblas_internal_gemmt_kernelIlLi16ELi32ELi8ELc78ELc67ELc76ELb0ELb0EffPKPKfPKPfEviT_T9_T10_S7_lS9_S7_lS8_T11_S7_li.has_indirect_call, 0
	.section	.AMDGPU.csdata,"",@progbits
; Kernel info:
; codeLenInByte = 1456
; TotalNumSgprs: 29
; NumVgprs: 46
; ScratchSize: 0
; MemoryBound: 0
; FloatMode: 240
; IeeeMode: 1
; LDSByteSize: 2048 bytes/workgroup (compile time only)
; SGPRBlocks: 0
; VGPRBlocks: 5
; NumSGPRsForWavesPerEU: 29
; NumVGPRsForWavesPerEU: 46
; Occupancy: 16
; WaveLimiterHint : 1
; COMPUTE_PGM_RSRC2:SCRATCH_EN: 0
; COMPUTE_PGM_RSRC2:USER_SGPR: 6
; COMPUTE_PGM_RSRC2:TRAP_HANDLER: 0
; COMPUTE_PGM_RSRC2:TGID_X_EN: 1
; COMPUTE_PGM_RSRC2:TGID_Y_EN: 1
; COMPUTE_PGM_RSRC2:TGID_Z_EN: 1
; COMPUTE_PGM_RSRC2:TIDIG_COMP_CNT: 1
	.section	.text._ZL29rocblas_internal_gemmt_kernelIlLi16ELi32ELi8ELc84ELc78ELc76ELb0ELb0EffPKPKfPKPfEviT_T9_T10_S7_lS9_S7_lS8_T11_S7_li,"axG",@progbits,_ZL29rocblas_internal_gemmt_kernelIlLi16ELi32ELi8ELc84ELc78ELc76ELb0ELb0EffPKPKfPKPfEviT_T9_T10_S7_lS9_S7_lS8_T11_S7_li,comdat
	.globl	_ZL29rocblas_internal_gemmt_kernelIlLi16ELi32ELi8ELc84ELc78ELc76ELb0ELb0EffPKPKfPKPfEviT_T9_T10_S7_lS9_S7_lS8_T11_S7_li ; -- Begin function _ZL29rocblas_internal_gemmt_kernelIlLi16ELi32ELi8ELc84ELc78ELc76ELb0ELb0EffPKPKfPKPfEviT_T9_T10_S7_lS9_S7_lS8_T11_S7_li
	.p2align	8
	.type	_ZL29rocblas_internal_gemmt_kernelIlLi16ELi32ELi8ELc84ELc78ELc76ELb0ELb0EffPKPKfPKPfEviT_T9_T10_S7_lS9_S7_lS8_T11_S7_li,@function
_ZL29rocblas_internal_gemmt_kernelIlLi16ELi32ELi8ELc84ELc78ELc76ELb0ELb0EffPKPKfPKPfEviT_T9_T10_S7_lS9_S7_lS8_T11_S7_li: ; @_ZL29rocblas_internal_gemmt_kernelIlLi16ELi32ELi8ELc84ELc78ELc76ELb0ELb0EffPKPKfPKPfEviT_T9_T10_S7_lS9_S7_lS8_T11_S7_li
; %bb.0:
	s_clause 0x2
	s_load_dword s26, s[4:5], 0x48
	s_load_dwordx2 s[20:21], s[4:5], 0x8
	s_load_dword s27, s[4:5], 0x10
	s_waitcnt lgkmcnt(0)
	v_cmp_neq_f32_e64 s0, s26, 1.0
	s_and_b32 vcc_lo, exec_lo, s0
	s_cbranch_vccnz .LBB462_2
; %bb.1:
	v_cmp_neq_f32_e64 s0, s27, 0
	s_cmp_lg_u64 s[20:21], 0
	s_cselect_b32 s1, -1, 0
	s_and_b32 s0, s1, s0
.LBB462_2:
	s_andn2_b32 vcc_lo, exec_lo, s0
	s_cbranch_vccnz .LBB462_28
; %bb.3:
	s_clause 0x1
	s_load_dwordx4 s[16:19], s[4:5], 0x50
	s_load_dword s28, s[4:5], 0x0
	s_mov_b32 s9, 0
	v_mov_b32_e32 v8, 0
	s_lshl_b64 s[24:25], s[8:9], 3
	v_mov_b32_e32 v4, 0
	v_mov_b32_e32 v7, 0
	;; [unrolled: 1-line block ×3, first 2 shown]
	s_waitcnt lgkmcnt(0)
	s_add_u32 s0, s16, s24
	s_addc_u32 s1, s17, s25
	s_load_dwordx2 s[22:23], s[4:5], 0x60
	s_load_dwordx2 s[16:17], s[0:1], 0x0
	v_cmp_lt_i64_e64 s0, s[20:21], 1
	v_cmp_eq_f32_e64 s1, s27, 0
	s_lshl_b32 s6, s6, 5
	s_lshl_b32 s7, s7, 5
	s_or_b32 s0, s1, s0
	s_and_b32 vcc_lo, exec_lo, s0
	s_cbranch_vccnz .LBB462_12
; %bb.4:
	s_clause 0x1
	s_load_dwordx8 s[8:15], s[4:5], 0x18
	s_load_dwordx4 s[0:3], s[4:5], 0x38
	v_lshl_add_u32 v2, v1, 4, v0
	v_and_b32_e32 v5, 7, v0
	v_lshlrev_b32_e32 v9, 2, v0
	v_lshl_add_u32 v10, v1, 5, 0x400
	v_mov_b32_e32 v3, 0
	v_lshrrev_b32_e32 v8, 3, v2
	v_and_b32_e32 v14, 31, v2
	v_mov_b32_e32 v6, 0
	v_mov_b32_e32 v7, 0
	v_mov_b32_e32 v4, 0
	v_add_nc_u32_e32 v18, s7, v8
	v_or_b32_e32 v16, s6, v14
	v_lshlrev_b32_e32 v20, 2, v14
	v_ashrrev_i32_e32 v11, 31, v18
	s_waitcnt lgkmcnt(0)
	s_add_u32 s4, s14, s24
	s_addc_u32 s5, s15, s25
	s_lshl_b64 s[2:3], s[2:3], 2
	s_load_dwordx2 s[4:5], s[4:5], 0x0
	v_mul_lo_u32 v17, s0, v11
	v_mul_lo_u32 v19, s1, v18
	v_mad_u64_u32 v[12:13], null, s0, v18, 0
	v_mul_lo_u32 v21, s11, v16
	v_mad_u64_u32 v[14:15], null, s10, v16, 0
	v_lshrrev_b32_e32 v11, 5, v2
	v_lshlrev_b32_e32 v2, 2, v5
	v_add3_u32 v13, v13, v17, v19
	v_lshl_or_b32 v2, v8, 5, v2
	v_mov_b32_e32 v8, 0
	s_waitcnt lgkmcnt(0)
	s_add_u32 s4, s4, s2
	s_addc_u32 s5, s5, s3
	s_add_u32 s2, s8, s24
	s_addc_u32 s3, s9, s25
	s_lshl_b64 s[0:1], s[12:13], 2
	s_load_dwordx2 s[2:3], s[2:3], 0x0
	s_waitcnt lgkmcnt(0)
	s_add_u32 s2, s2, s0
	s_addc_u32 s3, s3, s1
	s_ashr_i32 s0, s6, 31
	s_mul_i32 s1, s10, s0
	v_cmp_gt_i32_e64 s0, s28, v16
	v_add3_u32 v15, v15, s1, v21
	v_lshlrev_b64 v[16:17], 2, v[12:13]
	v_cmp_gt_i32_e64 s1, s28, v18
	v_lshl_or_b32 v12, v11, 7, v20
	v_add_nc_u32_e32 v13, 0x400, v2
	v_lshlrev_b64 v[18:19], 2, v[14:15]
	v_add_co_u32 v14, vcc_lo, s4, v16
	v_add_co_ci_u32_e64 v15, null, s5, v17, vcc_lo
	v_add_co_u32 v16, vcc_lo, s2, v18
	v_add_co_ci_u32_e64 v17, null, s3, v19, vcc_lo
	s_mov_b64 s[2:3], 0
	s_branch .LBB462_6
.LBB462_5:                              ;   in Loop: Header=BB462_6 Depth=1
	s_or_b32 exec_lo, exec_lo, s4
	s_waitcnt vmcnt(0) lgkmcnt(0)
	ds_write_b32 v13, v19
	s_waitcnt lgkmcnt(0)
	s_barrier
	buffer_gl0_inv
	ds_read_b128 v[18:21], v10
	ds_read2_b32 v[34:35], v9 offset1:16
	ds_read_b128 v[22:25], v10 offset:512
	ds_read2_b32 v[36:37], v9 offset0:32 offset1:48
	ds_read2_b32 v[38:39], v9 offset0:64 offset1:80
	;; [unrolled: 1-line block ×3, first 2 shown]
	ds_read_b128 v[26:29], v10 offset:16
	ds_read2_b32 v[42:43], v9 offset0:128 offset1:144
	ds_read_b128 v[30:33], v10 offset:528
	ds_read2_b32 v[44:45], v9 offset0:160 offset1:176
	s_add_u32 s2, s2, 8
	s_addc_u32 s3, s3, 0
	v_cmp_gt_i64_e64 s4, s[20:21], s[2:3]
	s_and_b32 vcc_lo, exec_lo, s4
	s_waitcnt lgkmcnt(8)
	v_fmac_f32_e32 v8, v34, v18
	v_fmac_f32_e32 v4, v35, v18
	s_waitcnt lgkmcnt(7)
	v_fmac_f32_e32 v7, v34, v22
	v_fmac_f32_e32 v6, v35, v22
	ds_read2_b32 v[34:35], v9 offset0:192 offset1:208
	s_waitcnt lgkmcnt(7)
	v_fmac_f32_e32 v8, v36, v19
	v_fmac_f32_e32 v4, v37, v19
	v_fmac_f32_e32 v7, v36, v23
	v_fmac_f32_e32 v6, v37, v23
	ds_read2_b32 v[18:19], v9 offset0:224 offset1:240
	s_waitcnt lgkmcnt(7)
	v_fmac_f32_e32 v8, v38, v20
	v_fmac_f32_e32 v4, v39, v20
	;; [unrolled: 1-line block ×4, first 2 shown]
	s_waitcnt lgkmcnt(0)
	v_fmac_f32_e32 v8, v40, v21
	v_fmac_f32_e32 v4, v41, v21
	;; [unrolled: 1-line block ×4, first 2 shown]
	s_barrier
	v_fmac_f32_e32 v8, v42, v26
	v_fmac_f32_e32 v4, v43, v26
	v_fmac_f32_e32 v7, v42, v30
	v_fmac_f32_e32 v6, v43, v30
	buffer_gl0_inv
	v_fmac_f32_e32 v8, v44, v27
	v_fmac_f32_e32 v4, v45, v27
	;; [unrolled: 1-line block ×12, first 2 shown]
	s_cbranch_vccz .LBB462_12
.LBB462_6:                              ; =>This Inner Loop Header: Depth=1
	v_mov_b32_e32 v18, 0
	s_and_saveexec_b32 s4, s0
	s_cbranch_execz .LBB462_10
; %bb.7:                                ;   in Loop: Header=BB462_6 Depth=1
	v_add_nc_u32_e32 v2, s2, v11
	v_mov_b32_e32 v18, 0
	s_mov_b32 s5, exec_lo
	v_cmpx_gt_u64_e64 s[20:21], v[2:3]
	s_cbranch_execz .LBB462_9
; %bb.8:                                ;   in Loop: Header=BB462_6 Depth=1
	v_lshlrev_b64 v[18:19], 2, v[2:3]
	v_add_co_u32 v18, vcc_lo, v16, v18
	v_add_co_ci_u32_e64 v19, null, v17, v19, vcc_lo
	flat_load_dword v18, v[18:19]
.LBB462_9:                              ;   in Loop: Header=BB462_6 Depth=1
	s_or_b32 exec_lo, exec_lo, s5
.LBB462_10:                             ;   in Loop: Header=BB462_6 Depth=1
	s_or_b32 exec_lo, exec_lo, s4
	v_add_nc_u32_e32 v2, s2, v5
	v_mov_b32_e32 v19, 0
	s_waitcnt vmcnt(0) lgkmcnt(0)
	ds_write_b32 v12, v18
	v_cmp_gt_u64_e32 vcc_lo, s[20:21], v[2:3]
	s_and_b32 s5, vcc_lo, s1
	s_and_saveexec_b32 s4, s5
	s_cbranch_execz .LBB462_5
; %bb.11:                               ;   in Loop: Header=BB462_6 Depth=1
	v_lshlrev_b64 v[18:19], 2, v[2:3]
	v_add_co_u32 v18, vcc_lo, v14, v18
	v_add_co_ci_u32_e64 v19, null, v15, v19, vcc_lo
	flat_load_dword v19, v[18:19]
	s_branch .LBB462_5
.LBB462_12:
	v_add_nc_u32_e32 v10, s7, v1
	v_add_nc_u32_e32 v0, s6, v0
	s_waitcnt lgkmcnt(0)
	s_lshl_b64 s[0:1], s[22:23], 2
	v_cmp_neq_f32_e64 s2, s26, 0
	s_add_u32 s3, s16, s0
	v_ashrrev_i32_e32 v3, 31, v10
	v_mul_lo_u32 v5, s19, v10
	v_mad_u64_u32 v[1:2], null, s18, v10, 0
	s_addc_u32 s4, s17, s1
	v_mul_lo_u32 v3, s18, v3
	v_cmp_le_i32_e32 vcc_lo, v10, v0
	v_cmp_gt_i32_e64 s0, s28, v0
	v_cndmask_b32_e64 v9, 0, 1, s2
	s_and_b32 s5, vcc_lo, s0
	v_add3_u32 v2, v2, v3, v5
	v_lshlrev_b64 v[2:3], 2, v[1:2]
	v_ashrrev_i32_e32 v1, 31, v0
	v_add_co_u32 v5, s1, s3, v2
	v_add_co_ci_u32_e64 v11, null, s4, v3, s1
	s_and_saveexec_b32 s1, s5
	s_cbranch_execz .LBB462_16
; %bb.13:
	v_lshlrev_b64 v[2:3], 2, v[0:1]
	v_mul_f32_e32 v8, s27, v8
	v_add_co_u32 v2, vcc_lo, v5, v2
	v_add_co_ci_u32_e64 v3, null, v11, v3, vcc_lo
	s_andn2_b32 vcc_lo, exec_lo, s2
	s_cbranch_vccnz .LBB462_15
; %bb.14:
	flat_load_dword v12, v[2:3]
	s_waitcnt vmcnt(0) lgkmcnt(0)
	v_fmac_f32_e32 v8, s26, v12
.LBB462_15:
	flat_store_dword v[2:3], v8
.LBB462_16:
	s_or_b32 exec_lo, exec_lo, s1
	v_add_nc_u32_e32 v2, 16, v0
	v_cmp_le_i32_e32 vcc_lo, v10, v2
	v_cmp_gt_i32_e64 s1, s28, v2
	v_ashrrev_i32_e32 v3, 31, v2
	s_and_b32 s2, vcc_lo, s1
	s_and_saveexec_b32 s5, s2
	s_cbranch_execz .LBB462_20
; %bb.17:
	v_lshlrev_b64 v[12:13], 2, v[2:3]
	v_mul_f32_e32 v8, s27, v4
	v_cmp_ne_u32_e32 vcc_lo, 1, v9
	v_add_co_u32 v4, s2, v5, v12
	v_add_co_ci_u32_e64 v5, null, v11, v13, s2
	s_cbranch_vccnz .LBB462_19
; %bb.18:
	flat_load_dword v11, v[4:5]
	s_waitcnt vmcnt(0) lgkmcnt(0)
	v_fmac_f32_e32 v8, s26, v11
.LBB462_19:
	flat_store_dword v[4:5], v8
.LBB462_20:
	s_or_b32 exec_lo, exec_lo, s5
	v_add_nc_u32_e32 v8, 16, v10
	v_ashrrev_i32_e32 v10, 31, v8
	v_mul_lo_u32 v11, s19, v8
	v_mad_u64_u32 v[4:5], null, s18, v8, 0
	v_cmp_le_i32_e32 vcc_lo, v8, v0
	v_mul_lo_u32 v10, s18, v10
	s_and_b32 s0, vcc_lo, s0
	v_add3_u32 v5, v5, v10, v11
	v_lshlrev_b64 v[4:5], 2, v[4:5]
	v_add_co_u32 v4, s2, s3, v4
	v_add_co_ci_u32_e64 v5, null, s4, v5, s2
	s_and_saveexec_b32 s2, s0
	s_cbranch_execz .LBB462_24
; %bb.21:
	v_lshlrev_b64 v[0:1], 2, v[0:1]
	v_cmp_ne_u32_e32 vcc_lo, 1, v9
	v_mul_f32_e32 v7, s27, v7
	v_add_co_u32 v0, s0, v4, v0
	v_add_co_ci_u32_e64 v1, null, v5, v1, s0
	s_cbranch_vccnz .LBB462_23
; %bb.22:
	flat_load_dword v10, v[0:1]
	s_waitcnt vmcnt(0) lgkmcnt(0)
	v_fmac_f32_e32 v7, s26, v10
.LBB462_23:
	flat_store_dword v[0:1], v7
.LBB462_24:
	s_or_b32 exec_lo, exec_lo, s2
	v_cmp_le_i32_e32 vcc_lo, v8, v2
	s_and_b32 s0, vcc_lo, s1
	s_and_saveexec_b32 s1, s0
	s_cbranch_execz .LBB462_28
; %bb.25:
	v_lshlrev_b64 v[0:1], 2, v[2:3]
	v_cmp_ne_u32_e32 vcc_lo, 1, v9
	v_mul_f32_e32 v2, s27, v6
	v_add_co_u32 v0, s0, v4, v0
	v_add_co_ci_u32_e64 v1, null, v5, v1, s0
	s_cbranch_vccnz .LBB462_27
; %bb.26:
	flat_load_dword v3, v[0:1]
	s_waitcnt vmcnt(0) lgkmcnt(0)
	v_fmac_f32_e32 v2, s26, v3
.LBB462_27:
	flat_store_dword v[0:1], v2
.LBB462_28:
	s_endpgm
	.section	.rodata,"a",@progbits
	.p2align	6, 0x0
	.amdhsa_kernel _ZL29rocblas_internal_gemmt_kernelIlLi16ELi32ELi8ELc84ELc78ELc76ELb0ELb0EffPKPKfPKPfEviT_T9_T10_S7_lS9_S7_lS8_T11_S7_li
		.amdhsa_group_segment_fixed_size 2048
		.amdhsa_private_segment_fixed_size 0
		.amdhsa_kernarg_size 108
		.amdhsa_user_sgpr_count 6
		.amdhsa_user_sgpr_private_segment_buffer 1
		.amdhsa_user_sgpr_dispatch_ptr 0
		.amdhsa_user_sgpr_queue_ptr 0
		.amdhsa_user_sgpr_kernarg_segment_ptr 1
		.amdhsa_user_sgpr_dispatch_id 0
		.amdhsa_user_sgpr_flat_scratch_init 0
		.amdhsa_user_sgpr_private_segment_size 0
		.amdhsa_wavefront_size32 1
		.amdhsa_uses_dynamic_stack 0
		.amdhsa_system_sgpr_private_segment_wavefront_offset 0
		.amdhsa_system_sgpr_workgroup_id_x 1
		.amdhsa_system_sgpr_workgroup_id_y 1
		.amdhsa_system_sgpr_workgroup_id_z 1
		.amdhsa_system_sgpr_workgroup_info 0
		.amdhsa_system_vgpr_workitem_id 1
		.amdhsa_next_free_vgpr 46
		.amdhsa_next_free_sgpr 29
		.amdhsa_reserve_vcc 1
		.amdhsa_reserve_flat_scratch 0
		.amdhsa_float_round_mode_32 0
		.amdhsa_float_round_mode_16_64 0
		.amdhsa_float_denorm_mode_32 3
		.amdhsa_float_denorm_mode_16_64 3
		.amdhsa_dx10_clamp 1
		.amdhsa_ieee_mode 1
		.amdhsa_fp16_overflow 0
		.amdhsa_workgroup_processor_mode 1
		.amdhsa_memory_ordered 1
		.amdhsa_forward_progress 1
		.amdhsa_shared_vgpr_count 0
		.amdhsa_exception_fp_ieee_invalid_op 0
		.amdhsa_exception_fp_denorm_src 0
		.amdhsa_exception_fp_ieee_div_zero 0
		.amdhsa_exception_fp_ieee_overflow 0
		.amdhsa_exception_fp_ieee_underflow 0
		.amdhsa_exception_fp_ieee_inexact 0
		.amdhsa_exception_int_div_zero 0
	.end_amdhsa_kernel
	.section	.text._ZL29rocblas_internal_gemmt_kernelIlLi16ELi32ELi8ELc84ELc78ELc76ELb0ELb0EffPKPKfPKPfEviT_T9_T10_S7_lS9_S7_lS8_T11_S7_li,"axG",@progbits,_ZL29rocblas_internal_gemmt_kernelIlLi16ELi32ELi8ELc84ELc78ELc76ELb0ELb0EffPKPKfPKPfEviT_T9_T10_S7_lS9_S7_lS8_T11_S7_li,comdat
.Lfunc_end462:
	.size	_ZL29rocblas_internal_gemmt_kernelIlLi16ELi32ELi8ELc84ELc78ELc76ELb0ELb0EffPKPKfPKPfEviT_T9_T10_S7_lS9_S7_lS8_T11_S7_li, .Lfunc_end462-_ZL29rocblas_internal_gemmt_kernelIlLi16ELi32ELi8ELc84ELc78ELc76ELb0ELb0EffPKPKfPKPfEviT_T9_T10_S7_lS9_S7_lS8_T11_S7_li
                                        ; -- End function
	.set _ZL29rocblas_internal_gemmt_kernelIlLi16ELi32ELi8ELc84ELc78ELc76ELb0ELb0EffPKPKfPKPfEviT_T9_T10_S7_lS9_S7_lS8_T11_S7_li.num_vgpr, 46
	.set _ZL29rocblas_internal_gemmt_kernelIlLi16ELi32ELi8ELc84ELc78ELc76ELb0ELb0EffPKPKfPKPfEviT_T9_T10_S7_lS9_S7_lS8_T11_S7_li.num_agpr, 0
	.set _ZL29rocblas_internal_gemmt_kernelIlLi16ELi32ELi8ELc84ELc78ELc76ELb0ELb0EffPKPKfPKPfEviT_T9_T10_S7_lS9_S7_lS8_T11_S7_li.numbered_sgpr, 29
	.set _ZL29rocblas_internal_gemmt_kernelIlLi16ELi32ELi8ELc84ELc78ELc76ELb0ELb0EffPKPKfPKPfEviT_T9_T10_S7_lS9_S7_lS8_T11_S7_li.num_named_barrier, 0
	.set _ZL29rocblas_internal_gemmt_kernelIlLi16ELi32ELi8ELc84ELc78ELc76ELb0ELb0EffPKPKfPKPfEviT_T9_T10_S7_lS9_S7_lS8_T11_S7_li.private_seg_size, 0
	.set _ZL29rocblas_internal_gemmt_kernelIlLi16ELi32ELi8ELc84ELc78ELc76ELb0ELb0EffPKPKfPKPfEviT_T9_T10_S7_lS9_S7_lS8_T11_S7_li.uses_vcc, 1
	.set _ZL29rocblas_internal_gemmt_kernelIlLi16ELi32ELi8ELc84ELc78ELc76ELb0ELb0EffPKPKfPKPfEviT_T9_T10_S7_lS9_S7_lS8_T11_S7_li.uses_flat_scratch, 0
	.set _ZL29rocblas_internal_gemmt_kernelIlLi16ELi32ELi8ELc84ELc78ELc76ELb0ELb0EffPKPKfPKPfEviT_T9_T10_S7_lS9_S7_lS8_T11_S7_li.has_dyn_sized_stack, 0
	.set _ZL29rocblas_internal_gemmt_kernelIlLi16ELi32ELi8ELc84ELc78ELc76ELb0ELb0EffPKPKfPKPfEviT_T9_T10_S7_lS9_S7_lS8_T11_S7_li.has_recursion, 0
	.set _ZL29rocblas_internal_gemmt_kernelIlLi16ELi32ELi8ELc84ELc78ELc76ELb0ELb0EffPKPKfPKPfEviT_T9_T10_S7_lS9_S7_lS8_T11_S7_li.has_indirect_call, 0
	.section	.AMDGPU.csdata,"",@progbits
; Kernel info:
; codeLenInByte = 1484
; TotalNumSgprs: 31
; NumVgprs: 46
; ScratchSize: 0
; MemoryBound: 0
; FloatMode: 240
; IeeeMode: 1
; LDSByteSize: 2048 bytes/workgroup (compile time only)
; SGPRBlocks: 0
; VGPRBlocks: 5
; NumSGPRsForWavesPerEU: 31
; NumVGPRsForWavesPerEU: 46
; Occupancy: 16
; WaveLimiterHint : 1
; COMPUTE_PGM_RSRC2:SCRATCH_EN: 0
; COMPUTE_PGM_RSRC2:USER_SGPR: 6
; COMPUTE_PGM_RSRC2:TRAP_HANDLER: 0
; COMPUTE_PGM_RSRC2:TGID_X_EN: 1
; COMPUTE_PGM_RSRC2:TGID_Y_EN: 1
; COMPUTE_PGM_RSRC2:TGID_Z_EN: 1
; COMPUTE_PGM_RSRC2:TIDIG_COMP_CNT: 1
	.section	.text._ZL29rocblas_internal_gemmt_kernelIlLi16ELi32ELi8ELc84ELc84ELc76ELb0ELb0EffPKPKfPKPfEviT_T9_T10_S7_lS9_S7_lS8_T11_S7_li,"axG",@progbits,_ZL29rocblas_internal_gemmt_kernelIlLi16ELi32ELi8ELc84ELc84ELc76ELb0ELb0EffPKPKfPKPfEviT_T9_T10_S7_lS9_S7_lS8_T11_S7_li,comdat
	.globl	_ZL29rocblas_internal_gemmt_kernelIlLi16ELi32ELi8ELc84ELc84ELc76ELb0ELb0EffPKPKfPKPfEviT_T9_T10_S7_lS9_S7_lS8_T11_S7_li ; -- Begin function _ZL29rocblas_internal_gemmt_kernelIlLi16ELi32ELi8ELc84ELc84ELc76ELb0ELb0EffPKPKfPKPfEviT_T9_T10_S7_lS9_S7_lS8_T11_S7_li
	.p2align	8
	.type	_ZL29rocblas_internal_gemmt_kernelIlLi16ELi32ELi8ELc84ELc84ELc76ELb0ELb0EffPKPKfPKPfEviT_T9_T10_S7_lS9_S7_lS8_T11_S7_li,@function
_ZL29rocblas_internal_gemmt_kernelIlLi16ELi32ELi8ELc84ELc84ELc76ELb0ELb0EffPKPKfPKPfEviT_T9_T10_S7_lS9_S7_lS8_T11_S7_li: ; @_ZL29rocblas_internal_gemmt_kernelIlLi16ELi32ELi8ELc84ELc84ELc76ELb0ELb0EffPKPKfPKPfEviT_T9_T10_S7_lS9_S7_lS8_T11_S7_li
; %bb.0:
	s_clause 0x2
	s_load_dword s22, s[4:5], 0x48
	s_load_dwordx2 s[2:3], s[4:5], 0x8
	s_load_dword s23, s[4:5], 0x10
	s_waitcnt lgkmcnt(0)
	v_cmp_neq_f32_e64 s0, s22, 1.0
	s_and_b32 vcc_lo, exec_lo, s0
	s_cbranch_vccnz .LBB463_2
; %bb.1:
	v_cmp_neq_f32_e64 s0, s23, 0
	s_cmp_lg_u64 s[2:3], 0
	s_cselect_b32 s1, -1, 0
	s_and_b32 s0, s1, s0
.LBB463_2:
	s_andn2_b32 vcc_lo, exec_lo, s0
	s_cbranch_vccnz .LBB463_28
; %bb.3:
	s_clause 0x1
	s_load_dwordx4 s[16:19], s[4:5], 0x50
	s_load_dword s24, s[4:5], 0x0
	s_mov_b32 s9, 0
	v_mov_b32_e32 v5, 0
	s_lshl_b64 s[0:1], s[8:9], 3
	v_mov_b32_e32 v4, 0
	v_mov_b32_e32 v7, 0
	;; [unrolled: 1-line block ×3, first 2 shown]
	s_waitcnt lgkmcnt(0)
	s_add_u32 s8, s16, s0
	s_addc_u32 s9, s17, s1
	s_load_dwordx2 s[20:21], s[4:5], 0x60
	s_load_dwordx2 s[16:17], s[8:9], 0x0
	v_cmp_lt_i64_e64 s8, s[2:3], 1
	v_cmp_eq_f32_e64 s9, s23, 0
	s_lshl_b32 s25, s6, 5
	s_lshl_b32 s26, s7, 5
	s_or_b32 s6, s9, s8
	s_and_b32 vcc_lo, exec_lo, s6
	s_cbranch_vccnz .LBB463_12
; %bb.4:
	s_clause 0x1
	s_load_dwordx8 s[8:15], s[4:5], 0x18
	s_load_dwordx4 s[4:7], s[4:5], 0x38
	v_lshl_add_u32 v2, v1, 4, v0
	v_and_b32_e32 v8, 7, v0
	v_lshlrev_b32_e32 v9, 2, v0
	v_lshl_add_u32 v10, v1, 5, 0x400
	v_mov_b32_e32 v3, 0
	v_and_b32_e32 v5, 31, v2
	v_lshrrev_b32_e32 v12, 3, v2
	v_lshrrev_b32_e32 v11, 5, v2
	v_lshlrev_b32_e32 v2, 2, v8
	v_mov_b32_e32 v6, 0
	v_or_b32_e32 v17, s25, v5
	v_add_nc_u32_e32 v13, s26, v12
	v_lshlrev_b32_e32 v5, 2, v5
	v_lshl_or_b32 v2, v12, 5, v2
	v_mov_b32_e32 v7, 0
	v_mov_b32_e32 v4, 0
	v_ashrrev_i32_e32 v14, 31, v13
	v_lshl_or_b32 v12, v11, 7, v5
	s_waitcnt lgkmcnt(0)
	s_add_u32 s14, s14, s0
	s_addc_u32 s15, s15, s1
	s_lshl_b64 s[6:7], s[6:7], 2
	s_load_dwordx2 s[14:15], s[14:15], 0x0
	v_mul_lo_u32 v18, s11, v17
	v_mad_u64_u32 v[15:16], null, s10, v17, 0
	v_mov_b32_e32 v5, 0
	s_waitcnt lgkmcnt(0)
	s_add_u32 s14, s14, s6
	s_addc_u32 s15, s15, s7
	s_add_u32 s0, s8, s0
	s_addc_u32 s1, s9, s1
	s_lshl_b64 s[6:7], s[12:13], 2
	s_load_dwordx2 s[0:1], s[0:1], 0x0
	s_waitcnt lgkmcnt(0)
	s_add_u32 s6, s0, s6
	s_addc_u32 s7, s1, s7
	s_ashr_i32 s0, s25, 31
	s_mul_i32 s1, s10, s0
	v_cmp_gt_i32_e64 s0, s24, v17
	v_add3_u32 v16, v16, s1, v18
	v_lshlrev_b64 v[17:18], 2, v[13:14]
	v_cmp_gt_i32_e64 s1, s24, v13
	v_add_nc_u32_e32 v13, 0x400, v2
	v_lshlrev_b64 v[19:20], 2, v[15:16]
	v_add_co_u32 v14, vcc_lo, s14, v17
	v_add_co_ci_u32_e64 v15, null, s15, v18, vcc_lo
	v_add_co_u32 v16, vcc_lo, s6, v19
	v_add_co_ci_u32_e64 v17, null, s7, v20, vcc_lo
	s_mov_b64 s[6:7], 0
	s_branch .LBB463_6
.LBB463_5:                              ;   in Loop: Header=BB463_6 Depth=1
	s_or_b32 exec_lo, exec_lo, s8
	s_waitcnt vmcnt(0) lgkmcnt(0)
	ds_write_b32 v13, v19
	s_waitcnt lgkmcnt(0)
	s_barrier
	buffer_gl0_inv
	ds_read_b128 v[18:21], v10
	ds_read2_b32 v[34:35], v9 offset1:16
	ds_read_b128 v[22:25], v10 offset:512
	ds_read2_b32 v[36:37], v9 offset0:32 offset1:48
	ds_read2_b32 v[38:39], v9 offset0:64 offset1:80
	;; [unrolled: 1-line block ×3, first 2 shown]
	ds_read_b128 v[26:29], v10 offset:16
	ds_read2_b32 v[42:43], v9 offset0:128 offset1:144
	ds_read_b128 v[30:33], v10 offset:528
	ds_read2_b32 v[44:45], v9 offset0:160 offset1:176
	s_add_u32 s6, s6, 8
	s_addc_u32 s7, s7, 0
	v_cmp_gt_i64_e64 s8, s[2:3], s[6:7]
	s_and_b32 vcc_lo, exec_lo, s8
	s_waitcnt lgkmcnt(8)
	v_fmac_f32_e32 v5, v34, v18
	v_fmac_f32_e32 v4, v35, v18
	s_waitcnt lgkmcnt(7)
	v_fmac_f32_e32 v7, v34, v22
	v_fmac_f32_e32 v6, v35, v22
	ds_read2_b32 v[34:35], v9 offset0:192 offset1:208
	s_waitcnt lgkmcnt(7)
	v_fmac_f32_e32 v5, v36, v19
	v_fmac_f32_e32 v4, v37, v19
	;; [unrolled: 1-line block ×4, first 2 shown]
	ds_read2_b32 v[18:19], v9 offset0:224 offset1:240
	s_waitcnt lgkmcnt(7)
	v_fmac_f32_e32 v5, v38, v20
	v_fmac_f32_e32 v4, v39, v20
	;; [unrolled: 1-line block ×4, first 2 shown]
	s_waitcnt lgkmcnt(0)
	v_fmac_f32_e32 v5, v40, v21
	v_fmac_f32_e32 v4, v41, v21
	;; [unrolled: 1-line block ×4, first 2 shown]
	s_barrier
	v_fmac_f32_e32 v5, v42, v26
	v_fmac_f32_e32 v4, v43, v26
	v_fmac_f32_e32 v7, v42, v30
	v_fmac_f32_e32 v6, v43, v30
	buffer_gl0_inv
	v_fmac_f32_e32 v5, v44, v27
	v_fmac_f32_e32 v4, v45, v27
	;; [unrolled: 1-line block ×12, first 2 shown]
	s_cbranch_vccz .LBB463_12
.LBB463_6:                              ; =>This Inner Loop Header: Depth=1
	v_mov_b32_e32 v18, 0
	s_and_saveexec_b32 s8, s0
	s_cbranch_execz .LBB463_10
; %bb.7:                                ;   in Loop: Header=BB463_6 Depth=1
	v_add_nc_u32_e32 v2, s6, v11
	v_mov_b32_e32 v18, 0
	s_mov_b32 s9, exec_lo
	v_cmpx_gt_u64_e64 s[2:3], v[2:3]
	s_cbranch_execz .LBB463_9
; %bb.8:                                ;   in Loop: Header=BB463_6 Depth=1
	v_lshlrev_b64 v[18:19], 2, v[2:3]
	v_add_co_u32 v18, vcc_lo, v16, v18
	v_add_co_ci_u32_e64 v19, null, v17, v19, vcc_lo
	flat_load_dword v18, v[18:19]
.LBB463_9:                              ;   in Loop: Header=BB463_6 Depth=1
	s_or_b32 exec_lo, exec_lo, s9
.LBB463_10:                             ;   in Loop: Header=BB463_6 Depth=1
	s_or_b32 exec_lo, exec_lo, s8
	v_add_nc_u32_e32 v2, s6, v8
	v_mov_b32_e32 v19, 0
	s_waitcnt vmcnt(0) lgkmcnt(0)
	ds_write_b32 v12, v18
	v_cmp_gt_u64_e32 vcc_lo, s[2:3], v[2:3]
	s_and_b32 s9, vcc_lo, s1
	s_and_saveexec_b32 s8, s9
	s_cbranch_execz .LBB463_5
; %bb.11:                               ;   in Loop: Header=BB463_6 Depth=1
	v_mad_u64_u32 v[18:19], null, s4, v2, 0
	v_mad_u64_u32 v[19:20], null, s5, v2, v[19:20]
	v_lshlrev_b64 v[18:19], 2, v[18:19]
	v_add_co_u32 v18, vcc_lo, v14, v18
	v_add_co_ci_u32_e64 v19, null, v15, v19, vcc_lo
	flat_load_dword v19, v[18:19]
	s_branch .LBB463_5
.LBB463_12:
	v_add_nc_u32_e32 v9, s26, v1
	v_add_nc_u32_e32 v0, s25, v0
	s_waitcnt lgkmcnt(0)
	s_lshl_b64 s[0:1], s[20:21], 2
	v_cmp_neq_f32_e64 s2, s22, 0
	s_add_u32 s3, s16, s0
	v_ashrrev_i32_e32 v3, 31, v9
	v_mul_lo_u32 v8, s19, v9
	v_mad_u64_u32 v[1:2], null, s18, v9, 0
	s_addc_u32 s4, s17, s1
	v_mul_lo_u32 v3, s18, v3
	v_cmp_le_i32_e32 vcc_lo, v9, v0
	v_cmp_gt_i32_e64 s0, s24, v0
	s_and_b32 s5, vcc_lo, s0
	v_add3_u32 v2, v2, v3, v8
	v_cndmask_b32_e64 v8, 0, 1, s2
	v_lshlrev_b64 v[2:3], 2, v[1:2]
	v_ashrrev_i32_e32 v1, 31, v0
	v_add_co_u32 v10, s1, s3, v2
	v_add_co_ci_u32_e64 v11, null, s4, v3, s1
	s_and_saveexec_b32 s1, s5
	s_cbranch_execz .LBB463_16
; %bb.13:
	v_lshlrev_b64 v[2:3], 2, v[0:1]
	v_mul_f32_e32 v5, s23, v5
	v_add_co_u32 v2, vcc_lo, v10, v2
	v_add_co_ci_u32_e64 v3, null, v11, v3, vcc_lo
	s_andn2_b32 vcc_lo, exec_lo, s2
	s_cbranch_vccnz .LBB463_15
; %bb.14:
	flat_load_dword v12, v[2:3]
	s_waitcnt vmcnt(0) lgkmcnt(0)
	v_fmac_f32_e32 v5, s22, v12
.LBB463_15:
	flat_store_dword v[2:3], v5
.LBB463_16:
	s_or_b32 exec_lo, exec_lo, s1
	v_add_nc_u32_e32 v2, 16, v0
	v_cmp_le_i32_e32 vcc_lo, v9, v2
	v_cmp_gt_i32_e64 s1, s24, v2
	v_ashrrev_i32_e32 v3, 31, v2
	s_and_b32 s2, vcc_lo, s1
	s_and_saveexec_b32 s5, s2
	s_cbranch_execz .LBB463_20
; %bb.17:
	v_lshlrev_b64 v[13:14], 2, v[2:3]
	v_mul_f32_e32 v12, s23, v4
	v_cmp_ne_u32_e32 vcc_lo, 1, v8
	v_add_co_u32 v4, s2, v10, v13
	v_add_co_ci_u32_e64 v5, null, v11, v14, s2
	s_cbranch_vccnz .LBB463_19
; %bb.18:
	flat_load_dword v10, v[4:5]
	s_waitcnt vmcnt(0) lgkmcnt(0)
	v_fmac_f32_e32 v12, s22, v10
.LBB463_19:
	flat_store_dword v[4:5], v12
.LBB463_20:
	s_or_b32 exec_lo, exec_lo, s5
	v_add_nc_u32_e32 v9, 16, v9
	v_ashrrev_i32_e32 v10, 31, v9
	v_mul_lo_u32 v11, s19, v9
	v_mad_u64_u32 v[4:5], null, s18, v9, 0
	v_cmp_le_i32_e32 vcc_lo, v9, v0
	v_mul_lo_u32 v10, s18, v10
	s_and_b32 s0, vcc_lo, s0
	v_add3_u32 v5, v5, v10, v11
	v_lshlrev_b64 v[4:5], 2, v[4:5]
	v_add_co_u32 v4, s2, s3, v4
	v_add_co_ci_u32_e64 v5, null, s4, v5, s2
	s_and_saveexec_b32 s2, s0
	s_cbranch_execz .LBB463_24
; %bb.21:
	v_lshlrev_b64 v[0:1], 2, v[0:1]
	v_cmp_ne_u32_e32 vcc_lo, 1, v8
	v_mul_f32_e32 v7, s23, v7
	v_add_co_u32 v0, s0, v4, v0
	v_add_co_ci_u32_e64 v1, null, v5, v1, s0
	s_cbranch_vccnz .LBB463_23
; %bb.22:
	flat_load_dword v10, v[0:1]
	s_waitcnt vmcnt(0) lgkmcnt(0)
	v_fmac_f32_e32 v7, s22, v10
.LBB463_23:
	flat_store_dword v[0:1], v7
.LBB463_24:
	s_or_b32 exec_lo, exec_lo, s2
	v_cmp_le_i32_e32 vcc_lo, v9, v2
	s_and_b32 s0, vcc_lo, s1
	s_and_saveexec_b32 s1, s0
	s_cbranch_execz .LBB463_28
; %bb.25:
	v_lshlrev_b64 v[0:1], 2, v[2:3]
	v_cmp_ne_u32_e32 vcc_lo, 1, v8
	v_mul_f32_e32 v2, s23, v6
	v_add_co_u32 v0, s0, v4, v0
	v_add_co_ci_u32_e64 v1, null, v5, v1, s0
	s_cbranch_vccnz .LBB463_27
; %bb.26:
	flat_load_dword v3, v[0:1]
	s_waitcnt vmcnt(0) lgkmcnt(0)
	v_fmac_f32_e32 v2, s22, v3
.LBB463_27:
	flat_store_dword v[0:1], v2
.LBB463_28:
	s_endpgm
	.section	.rodata,"a",@progbits
	.p2align	6, 0x0
	.amdhsa_kernel _ZL29rocblas_internal_gemmt_kernelIlLi16ELi32ELi8ELc84ELc84ELc76ELb0ELb0EffPKPKfPKPfEviT_T9_T10_S7_lS9_S7_lS8_T11_S7_li
		.amdhsa_group_segment_fixed_size 2048
		.amdhsa_private_segment_fixed_size 0
		.amdhsa_kernarg_size 108
		.amdhsa_user_sgpr_count 6
		.amdhsa_user_sgpr_private_segment_buffer 1
		.amdhsa_user_sgpr_dispatch_ptr 0
		.amdhsa_user_sgpr_queue_ptr 0
		.amdhsa_user_sgpr_kernarg_segment_ptr 1
		.amdhsa_user_sgpr_dispatch_id 0
		.amdhsa_user_sgpr_flat_scratch_init 0
		.amdhsa_user_sgpr_private_segment_size 0
		.amdhsa_wavefront_size32 1
		.amdhsa_uses_dynamic_stack 0
		.amdhsa_system_sgpr_private_segment_wavefront_offset 0
		.amdhsa_system_sgpr_workgroup_id_x 1
		.amdhsa_system_sgpr_workgroup_id_y 1
		.amdhsa_system_sgpr_workgroup_id_z 1
		.amdhsa_system_sgpr_workgroup_info 0
		.amdhsa_system_vgpr_workitem_id 1
		.amdhsa_next_free_vgpr 46
		.amdhsa_next_free_sgpr 27
		.amdhsa_reserve_vcc 1
		.amdhsa_reserve_flat_scratch 0
		.amdhsa_float_round_mode_32 0
		.amdhsa_float_round_mode_16_64 0
		.amdhsa_float_denorm_mode_32 3
		.amdhsa_float_denorm_mode_16_64 3
		.amdhsa_dx10_clamp 1
		.amdhsa_ieee_mode 1
		.amdhsa_fp16_overflow 0
		.amdhsa_workgroup_processor_mode 1
		.amdhsa_memory_ordered 1
		.amdhsa_forward_progress 1
		.amdhsa_shared_vgpr_count 0
		.amdhsa_exception_fp_ieee_invalid_op 0
		.amdhsa_exception_fp_denorm_src 0
		.amdhsa_exception_fp_ieee_div_zero 0
		.amdhsa_exception_fp_ieee_overflow 0
		.amdhsa_exception_fp_ieee_underflow 0
		.amdhsa_exception_fp_ieee_inexact 0
		.amdhsa_exception_int_div_zero 0
	.end_amdhsa_kernel
	.section	.text._ZL29rocblas_internal_gemmt_kernelIlLi16ELi32ELi8ELc84ELc84ELc76ELb0ELb0EffPKPKfPKPfEviT_T9_T10_S7_lS9_S7_lS8_T11_S7_li,"axG",@progbits,_ZL29rocblas_internal_gemmt_kernelIlLi16ELi32ELi8ELc84ELc84ELc76ELb0ELb0EffPKPKfPKPfEviT_T9_T10_S7_lS9_S7_lS8_T11_S7_li,comdat
.Lfunc_end463:
	.size	_ZL29rocblas_internal_gemmt_kernelIlLi16ELi32ELi8ELc84ELc84ELc76ELb0ELb0EffPKPKfPKPfEviT_T9_T10_S7_lS9_S7_lS8_T11_S7_li, .Lfunc_end463-_ZL29rocblas_internal_gemmt_kernelIlLi16ELi32ELi8ELc84ELc84ELc76ELb0ELb0EffPKPKfPKPfEviT_T9_T10_S7_lS9_S7_lS8_T11_S7_li
                                        ; -- End function
	.set _ZL29rocblas_internal_gemmt_kernelIlLi16ELi32ELi8ELc84ELc84ELc76ELb0ELb0EffPKPKfPKPfEviT_T9_T10_S7_lS9_S7_lS8_T11_S7_li.num_vgpr, 46
	.set _ZL29rocblas_internal_gemmt_kernelIlLi16ELi32ELi8ELc84ELc84ELc76ELb0ELb0EffPKPKfPKPfEviT_T9_T10_S7_lS9_S7_lS8_T11_S7_li.num_agpr, 0
	.set _ZL29rocblas_internal_gemmt_kernelIlLi16ELi32ELi8ELc84ELc84ELc76ELb0ELb0EffPKPKfPKPfEviT_T9_T10_S7_lS9_S7_lS8_T11_S7_li.numbered_sgpr, 27
	.set _ZL29rocblas_internal_gemmt_kernelIlLi16ELi32ELi8ELc84ELc84ELc76ELb0ELb0EffPKPKfPKPfEviT_T9_T10_S7_lS9_S7_lS8_T11_S7_li.num_named_barrier, 0
	.set _ZL29rocblas_internal_gemmt_kernelIlLi16ELi32ELi8ELc84ELc84ELc76ELb0ELb0EffPKPKfPKPfEviT_T9_T10_S7_lS9_S7_lS8_T11_S7_li.private_seg_size, 0
	.set _ZL29rocblas_internal_gemmt_kernelIlLi16ELi32ELi8ELc84ELc84ELc76ELb0ELb0EffPKPKfPKPfEviT_T9_T10_S7_lS9_S7_lS8_T11_S7_li.uses_vcc, 1
	.set _ZL29rocblas_internal_gemmt_kernelIlLi16ELi32ELi8ELc84ELc84ELc76ELb0ELb0EffPKPKfPKPfEviT_T9_T10_S7_lS9_S7_lS8_T11_S7_li.uses_flat_scratch, 0
	.set _ZL29rocblas_internal_gemmt_kernelIlLi16ELi32ELi8ELc84ELc84ELc76ELb0ELb0EffPKPKfPKPfEviT_T9_T10_S7_lS9_S7_lS8_T11_S7_li.has_dyn_sized_stack, 0
	.set _ZL29rocblas_internal_gemmt_kernelIlLi16ELi32ELi8ELc84ELc84ELc76ELb0ELb0EffPKPKfPKPfEviT_T9_T10_S7_lS9_S7_lS8_T11_S7_li.has_recursion, 0
	.set _ZL29rocblas_internal_gemmt_kernelIlLi16ELi32ELi8ELc84ELc84ELc76ELb0ELb0EffPKPKfPKPfEviT_T9_T10_S7_lS9_S7_lS8_T11_S7_li.has_indirect_call, 0
	.section	.AMDGPU.csdata,"",@progbits
; Kernel info:
; codeLenInByte = 1468
; TotalNumSgprs: 29
; NumVgprs: 46
; ScratchSize: 0
; MemoryBound: 0
; FloatMode: 240
; IeeeMode: 1
; LDSByteSize: 2048 bytes/workgroup (compile time only)
; SGPRBlocks: 0
; VGPRBlocks: 5
; NumSGPRsForWavesPerEU: 29
; NumVGPRsForWavesPerEU: 46
; Occupancy: 16
; WaveLimiterHint : 1
; COMPUTE_PGM_RSRC2:SCRATCH_EN: 0
; COMPUTE_PGM_RSRC2:USER_SGPR: 6
; COMPUTE_PGM_RSRC2:TRAP_HANDLER: 0
; COMPUTE_PGM_RSRC2:TGID_X_EN: 1
; COMPUTE_PGM_RSRC2:TGID_Y_EN: 1
; COMPUTE_PGM_RSRC2:TGID_Z_EN: 1
; COMPUTE_PGM_RSRC2:TIDIG_COMP_CNT: 1
	.section	.text._ZL29rocblas_internal_gemmt_kernelIlLi16ELi32ELi8ELc84ELc67ELc76ELb0ELb0EffPKPKfPKPfEviT_T9_T10_S7_lS9_S7_lS8_T11_S7_li,"axG",@progbits,_ZL29rocblas_internal_gemmt_kernelIlLi16ELi32ELi8ELc84ELc67ELc76ELb0ELb0EffPKPKfPKPfEviT_T9_T10_S7_lS9_S7_lS8_T11_S7_li,comdat
	.globl	_ZL29rocblas_internal_gemmt_kernelIlLi16ELi32ELi8ELc84ELc67ELc76ELb0ELb0EffPKPKfPKPfEviT_T9_T10_S7_lS9_S7_lS8_T11_S7_li ; -- Begin function _ZL29rocblas_internal_gemmt_kernelIlLi16ELi32ELi8ELc84ELc67ELc76ELb0ELb0EffPKPKfPKPfEviT_T9_T10_S7_lS9_S7_lS8_T11_S7_li
	.p2align	8
	.type	_ZL29rocblas_internal_gemmt_kernelIlLi16ELi32ELi8ELc84ELc67ELc76ELb0ELb0EffPKPKfPKPfEviT_T9_T10_S7_lS9_S7_lS8_T11_S7_li,@function
_ZL29rocblas_internal_gemmt_kernelIlLi16ELi32ELi8ELc84ELc67ELc76ELb0ELb0EffPKPKfPKPfEviT_T9_T10_S7_lS9_S7_lS8_T11_S7_li: ; @_ZL29rocblas_internal_gemmt_kernelIlLi16ELi32ELi8ELc84ELc67ELc76ELb0ELb0EffPKPKfPKPfEviT_T9_T10_S7_lS9_S7_lS8_T11_S7_li
; %bb.0:
	s_clause 0x2
	s_load_dword s22, s[4:5], 0x48
	s_load_dwordx2 s[2:3], s[4:5], 0x8
	s_load_dword s23, s[4:5], 0x10
	s_waitcnt lgkmcnt(0)
	v_cmp_neq_f32_e64 s0, s22, 1.0
	s_and_b32 vcc_lo, exec_lo, s0
	s_cbranch_vccnz .LBB464_2
; %bb.1:
	v_cmp_neq_f32_e64 s0, s23, 0
	s_cmp_lg_u64 s[2:3], 0
	s_cselect_b32 s1, -1, 0
	s_and_b32 s0, s1, s0
.LBB464_2:
	s_andn2_b32 vcc_lo, exec_lo, s0
	s_cbranch_vccnz .LBB464_28
; %bb.3:
	s_clause 0x1
	s_load_dwordx4 s[16:19], s[4:5], 0x50
	s_load_dword s24, s[4:5], 0x0
	s_mov_b32 s9, 0
	v_mov_b32_e32 v5, 0
	s_lshl_b64 s[0:1], s[8:9], 3
	v_mov_b32_e32 v4, 0
	v_mov_b32_e32 v7, 0
	v_mov_b32_e32 v6, 0
	s_waitcnt lgkmcnt(0)
	s_add_u32 s8, s16, s0
	s_addc_u32 s9, s17, s1
	s_load_dwordx2 s[20:21], s[4:5], 0x60
	s_load_dwordx2 s[16:17], s[8:9], 0x0
	v_cmp_lt_i64_e64 s8, s[2:3], 1
	v_cmp_eq_f32_e64 s9, s23, 0
	s_lshl_b32 s25, s6, 5
	s_lshl_b32 s26, s7, 5
	s_or_b32 s6, s9, s8
	s_and_b32 vcc_lo, exec_lo, s6
	s_cbranch_vccnz .LBB464_12
; %bb.4:
	s_clause 0x1
	s_load_dwordx8 s[8:15], s[4:5], 0x18
	s_load_dwordx4 s[4:7], s[4:5], 0x38
	v_lshl_add_u32 v2, v1, 4, v0
	v_and_b32_e32 v8, 7, v0
	v_lshlrev_b32_e32 v9, 2, v0
	v_lshl_add_u32 v10, v1, 5, 0x400
	v_mov_b32_e32 v3, 0
	v_and_b32_e32 v5, 31, v2
	v_lshrrev_b32_e32 v12, 3, v2
	v_lshrrev_b32_e32 v11, 5, v2
	v_lshlrev_b32_e32 v2, 2, v8
	v_mov_b32_e32 v6, 0
	v_or_b32_e32 v17, s25, v5
	v_add_nc_u32_e32 v13, s26, v12
	v_lshlrev_b32_e32 v5, 2, v5
	v_lshl_or_b32 v2, v12, 5, v2
	v_mov_b32_e32 v7, 0
	v_mov_b32_e32 v4, 0
	v_ashrrev_i32_e32 v14, 31, v13
	v_lshl_or_b32 v12, v11, 7, v5
	s_waitcnt lgkmcnt(0)
	s_add_u32 s14, s14, s0
	s_addc_u32 s15, s15, s1
	s_lshl_b64 s[6:7], s[6:7], 2
	s_load_dwordx2 s[14:15], s[14:15], 0x0
	v_mul_lo_u32 v18, s11, v17
	v_mad_u64_u32 v[15:16], null, s10, v17, 0
	v_mov_b32_e32 v5, 0
	s_waitcnt lgkmcnt(0)
	s_add_u32 s14, s14, s6
	s_addc_u32 s15, s15, s7
	s_add_u32 s0, s8, s0
	s_addc_u32 s1, s9, s1
	s_lshl_b64 s[6:7], s[12:13], 2
	s_load_dwordx2 s[0:1], s[0:1], 0x0
	s_waitcnt lgkmcnt(0)
	s_add_u32 s6, s0, s6
	s_addc_u32 s7, s1, s7
	s_ashr_i32 s0, s25, 31
	s_mul_i32 s1, s10, s0
	v_cmp_gt_i32_e64 s0, s24, v17
	v_add3_u32 v16, v16, s1, v18
	v_lshlrev_b64 v[17:18], 2, v[13:14]
	v_cmp_gt_i32_e64 s1, s24, v13
	v_add_nc_u32_e32 v13, 0x400, v2
	v_lshlrev_b64 v[19:20], 2, v[15:16]
	v_add_co_u32 v14, vcc_lo, s14, v17
	v_add_co_ci_u32_e64 v15, null, s15, v18, vcc_lo
	v_add_co_u32 v16, vcc_lo, s6, v19
	v_add_co_ci_u32_e64 v17, null, s7, v20, vcc_lo
	s_mov_b64 s[6:7], 0
	s_branch .LBB464_6
.LBB464_5:                              ;   in Loop: Header=BB464_6 Depth=1
	s_or_b32 exec_lo, exec_lo, s8
	s_waitcnt vmcnt(0) lgkmcnt(0)
	ds_write_b32 v13, v19
	s_waitcnt lgkmcnt(0)
	s_barrier
	buffer_gl0_inv
	ds_read_b128 v[18:21], v10
	ds_read2_b32 v[34:35], v9 offset1:16
	ds_read_b128 v[22:25], v10 offset:512
	ds_read2_b32 v[36:37], v9 offset0:32 offset1:48
	ds_read2_b32 v[38:39], v9 offset0:64 offset1:80
	;; [unrolled: 1-line block ×3, first 2 shown]
	ds_read_b128 v[26:29], v10 offset:16
	ds_read2_b32 v[42:43], v9 offset0:128 offset1:144
	ds_read_b128 v[30:33], v10 offset:528
	ds_read2_b32 v[44:45], v9 offset0:160 offset1:176
	s_add_u32 s6, s6, 8
	s_addc_u32 s7, s7, 0
	v_cmp_gt_i64_e64 s8, s[2:3], s[6:7]
	s_and_b32 vcc_lo, exec_lo, s8
	s_waitcnt lgkmcnt(8)
	v_fmac_f32_e32 v5, v34, v18
	v_fmac_f32_e32 v4, v35, v18
	s_waitcnt lgkmcnt(7)
	v_fmac_f32_e32 v7, v34, v22
	v_fmac_f32_e32 v6, v35, v22
	ds_read2_b32 v[34:35], v9 offset0:192 offset1:208
	s_waitcnt lgkmcnt(7)
	v_fmac_f32_e32 v5, v36, v19
	v_fmac_f32_e32 v4, v37, v19
	v_fmac_f32_e32 v7, v36, v23
	v_fmac_f32_e32 v6, v37, v23
	ds_read2_b32 v[18:19], v9 offset0:224 offset1:240
	s_waitcnt lgkmcnt(7)
	v_fmac_f32_e32 v5, v38, v20
	v_fmac_f32_e32 v4, v39, v20
	;; [unrolled: 1-line block ×4, first 2 shown]
	s_waitcnt lgkmcnt(0)
	v_fmac_f32_e32 v5, v40, v21
	v_fmac_f32_e32 v4, v41, v21
	;; [unrolled: 1-line block ×4, first 2 shown]
	s_barrier
	v_fmac_f32_e32 v5, v42, v26
	v_fmac_f32_e32 v4, v43, v26
	;; [unrolled: 1-line block ×4, first 2 shown]
	buffer_gl0_inv
	v_fmac_f32_e32 v5, v44, v27
	v_fmac_f32_e32 v4, v45, v27
	v_fmac_f32_e32 v7, v44, v31
	v_fmac_f32_e32 v6, v45, v31
	v_fmac_f32_e32 v5, v34, v28
	v_fmac_f32_e32 v4, v35, v28
	v_fmac_f32_e32 v7, v34, v32
	v_fmac_f32_e32 v6, v35, v32
	v_fmac_f32_e32 v5, v18, v29
	v_fmac_f32_e32 v4, v19, v29
	v_fmac_f32_e32 v7, v18, v33
	v_fmac_f32_e32 v6, v19, v33
	s_cbranch_vccz .LBB464_12
.LBB464_6:                              ; =>This Inner Loop Header: Depth=1
	v_mov_b32_e32 v18, 0
	s_and_saveexec_b32 s8, s0
	s_cbranch_execz .LBB464_10
; %bb.7:                                ;   in Loop: Header=BB464_6 Depth=1
	v_add_nc_u32_e32 v2, s6, v11
	v_mov_b32_e32 v18, 0
	s_mov_b32 s9, exec_lo
	v_cmpx_gt_u64_e64 s[2:3], v[2:3]
	s_cbranch_execz .LBB464_9
; %bb.8:                                ;   in Loop: Header=BB464_6 Depth=1
	v_lshlrev_b64 v[18:19], 2, v[2:3]
	v_add_co_u32 v18, vcc_lo, v16, v18
	v_add_co_ci_u32_e64 v19, null, v17, v19, vcc_lo
	flat_load_dword v18, v[18:19]
.LBB464_9:                              ;   in Loop: Header=BB464_6 Depth=1
	s_or_b32 exec_lo, exec_lo, s9
.LBB464_10:                             ;   in Loop: Header=BB464_6 Depth=1
	s_or_b32 exec_lo, exec_lo, s8
	v_add_nc_u32_e32 v2, s6, v8
	v_mov_b32_e32 v19, 0
	s_waitcnt vmcnt(0) lgkmcnt(0)
	ds_write_b32 v12, v18
	v_cmp_gt_u64_e32 vcc_lo, s[2:3], v[2:3]
	s_and_b32 s9, vcc_lo, s1
	s_and_saveexec_b32 s8, s9
	s_cbranch_execz .LBB464_5
; %bb.11:                               ;   in Loop: Header=BB464_6 Depth=1
	v_mad_u64_u32 v[18:19], null, s4, v2, 0
	v_mad_u64_u32 v[19:20], null, s5, v2, v[19:20]
	v_lshlrev_b64 v[18:19], 2, v[18:19]
	v_add_co_u32 v18, vcc_lo, v14, v18
	v_add_co_ci_u32_e64 v19, null, v15, v19, vcc_lo
	flat_load_dword v19, v[18:19]
	s_branch .LBB464_5
.LBB464_12:
	v_add_nc_u32_e32 v9, s26, v1
	v_add_nc_u32_e32 v0, s25, v0
	s_waitcnt lgkmcnt(0)
	s_lshl_b64 s[0:1], s[20:21], 2
	v_cmp_neq_f32_e64 s2, s22, 0
	s_add_u32 s3, s16, s0
	v_ashrrev_i32_e32 v3, 31, v9
	v_mul_lo_u32 v8, s19, v9
	v_mad_u64_u32 v[1:2], null, s18, v9, 0
	s_addc_u32 s4, s17, s1
	v_mul_lo_u32 v3, s18, v3
	v_cmp_le_i32_e32 vcc_lo, v9, v0
	v_cmp_gt_i32_e64 s0, s24, v0
	s_and_b32 s5, vcc_lo, s0
	v_add3_u32 v2, v2, v3, v8
	v_cndmask_b32_e64 v8, 0, 1, s2
	v_lshlrev_b64 v[2:3], 2, v[1:2]
	v_ashrrev_i32_e32 v1, 31, v0
	v_add_co_u32 v10, s1, s3, v2
	v_add_co_ci_u32_e64 v11, null, s4, v3, s1
	s_and_saveexec_b32 s1, s5
	s_cbranch_execz .LBB464_16
; %bb.13:
	v_lshlrev_b64 v[2:3], 2, v[0:1]
	v_mul_f32_e32 v5, s23, v5
	v_add_co_u32 v2, vcc_lo, v10, v2
	v_add_co_ci_u32_e64 v3, null, v11, v3, vcc_lo
	s_andn2_b32 vcc_lo, exec_lo, s2
	s_cbranch_vccnz .LBB464_15
; %bb.14:
	flat_load_dword v12, v[2:3]
	s_waitcnt vmcnt(0) lgkmcnt(0)
	v_fmac_f32_e32 v5, s22, v12
.LBB464_15:
	flat_store_dword v[2:3], v5
.LBB464_16:
	s_or_b32 exec_lo, exec_lo, s1
	v_add_nc_u32_e32 v2, 16, v0
	v_cmp_le_i32_e32 vcc_lo, v9, v2
	v_cmp_gt_i32_e64 s1, s24, v2
	v_ashrrev_i32_e32 v3, 31, v2
	s_and_b32 s2, vcc_lo, s1
	s_and_saveexec_b32 s5, s2
	s_cbranch_execz .LBB464_20
; %bb.17:
	v_lshlrev_b64 v[13:14], 2, v[2:3]
	v_mul_f32_e32 v12, s23, v4
	v_cmp_ne_u32_e32 vcc_lo, 1, v8
	v_add_co_u32 v4, s2, v10, v13
	v_add_co_ci_u32_e64 v5, null, v11, v14, s2
	s_cbranch_vccnz .LBB464_19
; %bb.18:
	flat_load_dword v10, v[4:5]
	s_waitcnt vmcnt(0) lgkmcnt(0)
	v_fmac_f32_e32 v12, s22, v10
.LBB464_19:
	flat_store_dword v[4:5], v12
.LBB464_20:
	s_or_b32 exec_lo, exec_lo, s5
	v_add_nc_u32_e32 v9, 16, v9
	v_ashrrev_i32_e32 v10, 31, v9
	v_mul_lo_u32 v11, s19, v9
	v_mad_u64_u32 v[4:5], null, s18, v9, 0
	v_cmp_le_i32_e32 vcc_lo, v9, v0
	v_mul_lo_u32 v10, s18, v10
	s_and_b32 s0, vcc_lo, s0
	v_add3_u32 v5, v5, v10, v11
	v_lshlrev_b64 v[4:5], 2, v[4:5]
	v_add_co_u32 v4, s2, s3, v4
	v_add_co_ci_u32_e64 v5, null, s4, v5, s2
	s_and_saveexec_b32 s2, s0
	s_cbranch_execz .LBB464_24
; %bb.21:
	v_lshlrev_b64 v[0:1], 2, v[0:1]
	v_cmp_ne_u32_e32 vcc_lo, 1, v8
	v_mul_f32_e32 v7, s23, v7
	v_add_co_u32 v0, s0, v4, v0
	v_add_co_ci_u32_e64 v1, null, v5, v1, s0
	s_cbranch_vccnz .LBB464_23
; %bb.22:
	flat_load_dword v10, v[0:1]
	s_waitcnt vmcnt(0) lgkmcnt(0)
	v_fmac_f32_e32 v7, s22, v10
.LBB464_23:
	flat_store_dword v[0:1], v7
.LBB464_24:
	s_or_b32 exec_lo, exec_lo, s2
	v_cmp_le_i32_e32 vcc_lo, v9, v2
	s_and_b32 s0, vcc_lo, s1
	s_and_saveexec_b32 s1, s0
	s_cbranch_execz .LBB464_28
; %bb.25:
	v_lshlrev_b64 v[0:1], 2, v[2:3]
	v_cmp_ne_u32_e32 vcc_lo, 1, v8
	v_mul_f32_e32 v2, s23, v6
	v_add_co_u32 v0, s0, v4, v0
	v_add_co_ci_u32_e64 v1, null, v5, v1, s0
	s_cbranch_vccnz .LBB464_27
; %bb.26:
	flat_load_dword v3, v[0:1]
	s_waitcnt vmcnt(0) lgkmcnt(0)
	v_fmac_f32_e32 v2, s22, v3
.LBB464_27:
	flat_store_dword v[0:1], v2
.LBB464_28:
	s_endpgm
	.section	.rodata,"a",@progbits
	.p2align	6, 0x0
	.amdhsa_kernel _ZL29rocblas_internal_gemmt_kernelIlLi16ELi32ELi8ELc84ELc67ELc76ELb0ELb0EffPKPKfPKPfEviT_T9_T10_S7_lS9_S7_lS8_T11_S7_li
		.amdhsa_group_segment_fixed_size 2048
		.amdhsa_private_segment_fixed_size 0
		.amdhsa_kernarg_size 108
		.amdhsa_user_sgpr_count 6
		.amdhsa_user_sgpr_private_segment_buffer 1
		.amdhsa_user_sgpr_dispatch_ptr 0
		.amdhsa_user_sgpr_queue_ptr 0
		.amdhsa_user_sgpr_kernarg_segment_ptr 1
		.amdhsa_user_sgpr_dispatch_id 0
		.amdhsa_user_sgpr_flat_scratch_init 0
		.amdhsa_user_sgpr_private_segment_size 0
		.amdhsa_wavefront_size32 1
		.amdhsa_uses_dynamic_stack 0
		.amdhsa_system_sgpr_private_segment_wavefront_offset 0
		.amdhsa_system_sgpr_workgroup_id_x 1
		.amdhsa_system_sgpr_workgroup_id_y 1
		.amdhsa_system_sgpr_workgroup_id_z 1
		.amdhsa_system_sgpr_workgroup_info 0
		.amdhsa_system_vgpr_workitem_id 1
		.amdhsa_next_free_vgpr 46
		.amdhsa_next_free_sgpr 27
		.amdhsa_reserve_vcc 1
		.amdhsa_reserve_flat_scratch 0
		.amdhsa_float_round_mode_32 0
		.amdhsa_float_round_mode_16_64 0
		.amdhsa_float_denorm_mode_32 3
		.amdhsa_float_denorm_mode_16_64 3
		.amdhsa_dx10_clamp 1
		.amdhsa_ieee_mode 1
		.amdhsa_fp16_overflow 0
		.amdhsa_workgroup_processor_mode 1
		.amdhsa_memory_ordered 1
		.amdhsa_forward_progress 1
		.amdhsa_shared_vgpr_count 0
		.amdhsa_exception_fp_ieee_invalid_op 0
		.amdhsa_exception_fp_denorm_src 0
		.amdhsa_exception_fp_ieee_div_zero 0
		.amdhsa_exception_fp_ieee_overflow 0
		.amdhsa_exception_fp_ieee_underflow 0
		.amdhsa_exception_fp_ieee_inexact 0
		.amdhsa_exception_int_div_zero 0
	.end_amdhsa_kernel
	.section	.text._ZL29rocblas_internal_gemmt_kernelIlLi16ELi32ELi8ELc84ELc67ELc76ELb0ELb0EffPKPKfPKPfEviT_T9_T10_S7_lS9_S7_lS8_T11_S7_li,"axG",@progbits,_ZL29rocblas_internal_gemmt_kernelIlLi16ELi32ELi8ELc84ELc67ELc76ELb0ELb0EffPKPKfPKPfEviT_T9_T10_S7_lS9_S7_lS8_T11_S7_li,comdat
.Lfunc_end464:
	.size	_ZL29rocblas_internal_gemmt_kernelIlLi16ELi32ELi8ELc84ELc67ELc76ELb0ELb0EffPKPKfPKPfEviT_T9_T10_S7_lS9_S7_lS8_T11_S7_li, .Lfunc_end464-_ZL29rocblas_internal_gemmt_kernelIlLi16ELi32ELi8ELc84ELc67ELc76ELb0ELb0EffPKPKfPKPfEviT_T9_T10_S7_lS9_S7_lS8_T11_S7_li
                                        ; -- End function
	.set _ZL29rocblas_internal_gemmt_kernelIlLi16ELi32ELi8ELc84ELc67ELc76ELb0ELb0EffPKPKfPKPfEviT_T9_T10_S7_lS9_S7_lS8_T11_S7_li.num_vgpr, 46
	.set _ZL29rocblas_internal_gemmt_kernelIlLi16ELi32ELi8ELc84ELc67ELc76ELb0ELb0EffPKPKfPKPfEviT_T9_T10_S7_lS9_S7_lS8_T11_S7_li.num_agpr, 0
	.set _ZL29rocblas_internal_gemmt_kernelIlLi16ELi32ELi8ELc84ELc67ELc76ELb0ELb0EffPKPKfPKPfEviT_T9_T10_S7_lS9_S7_lS8_T11_S7_li.numbered_sgpr, 27
	.set _ZL29rocblas_internal_gemmt_kernelIlLi16ELi32ELi8ELc84ELc67ELc76ELb0ELb0EffPKPKfPKPfEviT_T9_T10_S7_lS9_S7_lS8_T11_S7_li.num_named_barrier, 0
	.set _ZL29rocblas_internal_gemmt_kernelIlLi16ELi32ELi8ELc84ELc67ELc76ELb0ELb0EffPKPKfPKPfEviT_T9_T10_S7_lS9_S7_lS8_T11_S7_li.private_seg_size, 0
	.set _ZL29rocblas_internal_gemmt_kernelIlLi16ELi32ELi8ELc84ELc67ELc76ELb0ELb0EffPKPKfPKPfEviT_T9_T10_S7_lS9_S7_lS8_T11_S7_li.uses_vcc, 1
	.set _ZL29rocblas_internal_gemmt_kernelIlLi16ELi32ELi8ELc84ELc67ELc76ELb0ELb0EffPKPKfPKPfEviT_T9_T10_S7_lS9_S7_lS8_T11_S7_li.uses_flat_scratch, 0
	.set _ZL29rocblas_internal_gemmt_kernelIlLi16ELi32ELi8ELc84ELc67ELc76ELb0ELb0EffPKPKfPKPfEviT_T9_T10_S7_lS9_S7_lS8_T11_S7_li.has_dyn_sized_stack, 0
	.set _ZL29rocblas_internal_gemmt_kernelIlLi16ELi32ELi8ELc84ELc67ELc76ELb0ELb0EffPKPKfPKPfEviT_T9_T10_S7_lS9_S7_lS8_T11_S7_li.has_recursion, 0
	.set _ZL29rocblas_internal_gemmt_kernelIlLi16ELi32ELi8ELc84ELc67ELc76ELb0ELb0EffPKPKfPKPfEviT_T9_T10_S7_lS9_S7_lS8_T11_S7_li.has_indirect_call, 0
	.section	.AMDGPU.csdata,"",@progbits
; Kernel info:
; codeLenInByte = 1468
; TotalNumSgprs: 29
; NumVgprs: 46
; ScratchSize: 0
; MemoryBound: 0
; FloatMode: 240
; IeeeMode: 1
; LDSByteSize: 2048 bytes/workgroup (compile time only)
; SGPRBlocks: 0
; VGPRBlocks: 5
; NumSGPRsForWavesPerEU: 29
; NumVGPRsForWavesPerEU: 46
; Occupancy: 16
; WaveLimiterHint : 1
; COMPUTE_PGM_RSRC2:SCRATCH_EN: 0
; COMPUTE_PGM_RSRC2:USER_SGPR: 6
; COMPUTE_PGM_RSRC2:TRAP_HANDLER: 0
; COMPUTE_PGM_RSRC2:TGID_X_EN: 1
; COMPUTE_PGM_RSRC2:TGID_Y_EN: 1
; COMPUTE_PGM_RSRC2:TGID_Z_EN: 1
; COMPUTE_PGM_RSRC2:TIDIG_COMP_CNT: 1
	.section	.text._ZL29rocblas_internal_gemmt_kernelIlLi16ELi32ELi8ELc67ELc78ELc76ELb0ELb0EffPKPKfPKPfEviT_T9_T10_S7_lS9_S7_lS8_T11_S7_li,"axG",@progbits,_ZL29rocblas_internal_gemmt_kernelIlLi16ELi32ELi8ELc67ELc78ELc76ELb0ELb0EffPKPKfPKPfEviT_T9_T10_S7_lS9_S7_lS8_T11_S7_li,comdat
	.globl	_ZL29rocblas_internal_gemmt_kernelIlLi16ELi32ELi8ELc67ELc78ELc76ELb0ELb0EffPKPKfPKPfEviT_T9_T10_S7_lS9_S7_lS8_T11_S7_li ; -- Begin function _ZL29rocblas_internal_gemmt_kernelIlLi16ELi32ELi8ELc67ELc78ELc76ELb0ELb0EffPKPKfPKPfEviT_T9_T10_S7_lS9_S7_lS8_T11_S7_li
	.p2align	8
	.type	_ZL29rocblas_internal_gemmt_kernelIlLi16ELi32ELi8ELc67ELc78ELc76ELb0ELb0EffPKPKfPKPfEviT_T9_T10_S7_lS9_S7_lS8_T11_S7_li,@function
_ZL29rocblas_internal_gemmt_kernelIlLi16ELi32ELi8ELc67ELc78ELc76ELb0ELb0EffPKPKfPKPfEviT_T9_T10_S7_lS9_S7_lS8_T11_S7_li: ; @_ZL29rocblas_internal_gemmt_kernelIlLi16ELi32ELi8ELc67ELc78ELc76ELb0ELb0EffPKPKfPKPfEviT_T9_T10_S7_lS9_S7_lS8_T11_S7_li
; %bb.0:
	s_clause 0x2
	s_load_dword s26, s[4:5], 0x48
	s_load_dwordx2 s[20:21], s[4:5], 0x8
	s_load_dword s27, s[4:5], 0x10
	s_waitcnt lgkmcnt(0)
	v_cmp_neq_f32_e64 s0, s26, 1.0
	s_and_b32 vcc_lo, exec_lo, s0
	s_cbranch_vccnz .LBB465_2
; %bb.1:
	v_cmp_neq_f32_e64 s0, s27, 0
	s_cmp_lg_u64 s[20:21], 0
	s_cselect_b32 s1, -1, 0
	s_and_b32 s0, s1, s0
.LBB465_2:
	s_andn2_b32 vcc_lo, exec_lo, s0
	s_cbranch_vccnz .LBB465_28
; %bb.3:
	s_clause 0x1
	s_load_dwordx4 s[16:19], s[4:5], 0x50
	s_load_dword s28, s[4:5], 0x0
	s_mov_b32 s9, 0
	v_mov_b32_e32 v8, 0
	s_lshl_b64 s[24:25], s[8:9], 3
	v_mov_b32_e32 v4, 0
	v_mov_b32_e32 v7, 0
	;; [unrolled: 1-line block ×3, first 2 shown]
	s_waitcnt lgkmcnt(0)
	s_add_u32 s0, s16, s24
	s_addc_u32 s1, s17, s25
	s_load_dwordx2 s[22:23], s[4:5], 0x60
	s_load_dwordx2 s[16:17], s[0:1], 0x0
	v_cmp_lt_i64_e64 s0, s[20:21], 1
	v_cmp_eq_f32_e64 s1, s27, 0
	s_lshl_b32 s6, s6, 5
	s_lshl_b32 s7, s7, 5
	s_or_b32 s0, s1, s0
	s_and_b32 vcc_lo, exec_lo, s0
	s_cbranch_vccnz .LBB465_12
; %bb.4:
	s_clause 0x1
	s_load_dwordx8 s[8:15], s[4:5], 0x18
	s_load_dwordx4 s[0:3], s[4:5], 0x38
	v_lshl_add_u32 v2, v1, 4, v0
	v_and_b32_e32 v5, 7, v0
	v_lshlrev_b32_e32 v9, 2, v0
	v_lshl_add_u32 v10, v1, 5, 0x400
	v_mov_b32_e32 v3, 0
	v_lshrrev_b32_e32 v8, 3, v2
	v_and_b32_e32 v14, 31, v2
	v_mov_b32_e32 v6, 0
	v_mov_b32_e32 v7, 0
	;; [unrolled: 1-line block ×3, first 2 shown]
	v_add_nc_u32_e32 v18, s7, v8
	v_or_b32_e32 v16, s6, v14
	v_lshlrev_b32_e32 v20, 2, v14
	v_ashrrev_i32_e32 v11, 31, v18
	s_waitcnt lgkmcnt(0)
	s_add_u32 s4, s14, s24
	s_addc_u32 s5, s15, s25
	s_lshl_b64 s[2:3], s[2:3], 2
	s_load_dwordx2 s[4:5], s[4:5], 0x0
	v_mul_lo_u32 v17, s0, v11
	v_mul_lo_u32 v19, s1, v18
	v_mad_u64_u32 v[12:13], null, s0, v18, 0
	v_mul_lo_u32 v21, s11, v16
	v_mad_u64_u32 v[14:15], null, s10, v16, 0
	v_lshrrev_b32_e32 v11, 5, v2
	v_lshlrev_b32_e32 v2, 2, v5
	v_add3_u32 v13, v13, v17, v19
	v_lshl_or_b32 v2, v8, 5, v2
	v_mov_b32_e32 v8, 0
	s_waitcnt lgkmcnt(0)
	s_add_u32 s4, s4, s2
	s_addc_u32 s5, s5, s3
	s_add_u32 s2, s8, s24
	s_addc_u32 s3, s9, s25
	s_lshl_b64 s[0:1], s[12:13], 2
	s_load_dwordx2 s[2:3], s[2:3], 0x0
	s_waitcnt lgkmcnt(0)
	s_add_u32 s2, s2, s0
	s_addc_u32 s3, s3, s1
	s_ashr_i32 s0, s6, 31
	s_mul_i32 s1, s10, s0
	v_cmp_gt_i32_e64 s0, s28, v16
	v_add3_u32 v15, v15, s1, v21
	v_lshlrev_b64 v[16:17], 2, v[12:13]
	v_cmp_gt_i32_e64 s1, s28, v18
	v_lshl_or_b32 v12, v11, 7, v20
	v_add_nc_u32_e32 v13, 0x400, v2
	v_lshlrev_b64 v[18:19], 2, v[14:15]
	v_add_co_u32 v14, vcc_lo, s4, v16
	v_add_co_ci_u32_e64 v15, null, s5, v17, vcc_lo
	v_add_co_u32 v16, vcc_lo, s2, v18
	v_add_co_ci_u32_e64 v17, null, s3, v19, vcc_lo
	s_mov_b64 s[2:3], 0
	s_branch .LBB465_6
.LBB465_5:                              ;   in Loop: Header=BB465_6 Depth=1
	s_or_b32 exec_lo, exec_lo, s4
	s_waitcnt vmcnt(0) lgkmcnt(0)
	ds_write_b32 v13, v19
	s_waitcnt lgkmcnt(0)
	s_barrier
	buffer_gl0_inv
	ds_read_b128 v[18:21], v10
	ds_read2_b32 v[34:35], v9 offset1:16
	ds_read_b128 v[22:25], v10 offset:512
	ds_read2_b32 v[36:37], v9 offset0:32 offset1:48
	ds_read2_b32 v[38:39], v9 offset0:64 offset1:80
	;; [unrolled: 1-line block ×3, first 2 shown]
	ds_read_b128 v[26:29], v10 offset:16
	ds_read2_b32 v[42:43], v9 offset0:128 offset1:144
	ds_read_b128 v[30:33], v10 offset:528
	ds_read2_b32 v[44:45], v9 offset0:160 offset1:176
	s_add_u32 s2, s2, 8
	s_addc_u32 s3, s3, 0
	v_cmp_gt_i64_e64 s4, s[20:21], s[2:3]
	s_and_b32 vcc_lo, exec_lo, s4
	s_waitcnt lgkmcnt(8)
	v_fmac_f32_e32 v8, v34, v18
	v_fmac_f32_e32 v4, v35, v18
	s_waitcnt lgkmcnt(7)
	v_fmac_f32_e32 v7, v34, v22
	v_fmac_f32_e32 v6, v35, v22
	ds_read2_b32 v[34:35], v9 offset0:192 offset1:208
	s_waitcnt lgkmcnt(7)
	v_fmac_f32_e32 v8, v36, v19
	v_fmac_f32_e32 v4, v37, v19
	;; [unrolled: 1-line block ×4, first 2 shown]
	ds_read2_b32 v[18:19], v9 offset0:224 offset1:240
	s_waitcnt lgkmcnt(7)
	v_fmac_f32_e32 v8, v38, v20
	v_fmac_f32_e32 v4, v39, v20
	;; [unrolled: 1-line block ×4, first 2 shown]
	s_waitcnt lgkmcnt(0)
	v_fmac_f32_e32 v8, v40, v21
	v_fmac_f32_e32 v4, v41, v21
	;; [unrolled: 1-line block ×4, first 2 shown]
	s_barrier
	v_fmac_f32_e32 v8, v42, v26
	v_fmac_f32_e32 v4, v43, v26
	;; [unrolled: 1-line block ×4, first 2 shown]
	buffer_gl0_inv
	v_fmac_f32_e32 v8, v44, v27
	v_fmac_f32_e32 v4, v45, v27
	;; [unrolled: 1-line block ×12, first 2 shown]
	s_cbranch_vccz .LBB465_12
.LBB465_6:                              ; =>This Inner Loop Header: Depth=1
	v_mov_b32_e32 v18, 0
	s_and_saveexec_b32 s4, s0
	s_cbranch_execz .LBB465_10
; %bb.7:                                ;   in Loop: Header=BB465_6 Depth=1
	v_add_nc_u32_e32 v2, s2, v11
	v_mov_b32_e32 v18, 0
	s_mov_b32 s5, exec_lo
	v_cmpx_gt_u64_e64 s[20:21], v[2:3]
	s_cbranch_execz .LBB465_9
; %bb.8:                                ;   in Loop: Header=BB465_6 Depth=1
	v_lshlrev_b64 v[18:19], 2, v[2:3]
	v_add_co_u32 v18, vcc_lo, v16, v18
	v_add_co_ci_u32_e64 v19, null, v17, v19, vcc_lo
	flat_load_dword v18, v[18:19]
.LBB465_9:                              ;   in Loop: Header=BB465_6 Depth=1
	s_or_b32 exec_lo, exec_lo, s5
.LBB465_10:                             ;   in Loop: Header=BB465_6 Depth=1
	s_or_b32 exec_lo, exec_lo, s4
	v_add_nc_u32_e32 v2, s2, v5
	v_mov_b32_e32 v19, 0
	s_waitcnt vmcnt(0) lgkmcnt(0)
	ds_write_b32 v12, v18
	v_cmp_gt_u64_e32 vcc_lo, s[20:21], v[2:3]
	s_and_b32 s5, vcc_lo, s1
	s_and_saveexec_b32 s4, s5
	s_cbranch_execz .LBB465_5
; %bb.11:                               ;   in Loop: Header=BB465_6 Depth=1
	v_lshlrev_b64 v[18:19], 2, v[2:3]
	v_add_co_u32 v18, vcc_lo, v14, v18
	v_add_co_ci_u32_e64 v19, null, v15, v19, vcc_lo
	flat_load_dword v19, v[18:19]
	s_branch .LBB465_5
.LBB465_12:
	v_add_nc_u32_e32 v10, s7, v1
	v_add_nc_u32_e32 v0, s6, v0
	s_waitcnt lgkmcnt(0)
	s_lshl_b64 s[0:1], s[22:23], 2
	v_cmp_neq_f32_e64 s2, s26, 0
	s_add_u32 s3, s16, s0
	v_ashrrev_i32_e32 v3, 31, v10
	v_mul_lo_u32 v5, s19, v10
	v_mad_u64_u32 v[1:2], null, s18, v10, 0
	s_addc_u32 s4, s17, s1
	v_mul_lo_u32 v3, s18, v3
	v_cmp_le_i32_e32 vcc_lo, v10, v0
	v_cmp_gt_i32_e64 s0, s28, v0
	v_cndmask_b32_e64 v9, 0, 1, s2
	s_and_b32 s5, vcc_lo, s0
	v_add3_u32 v2, v2, v3, v5
	v_lshlrev_b64 v[2:3], 2, v[1:2]
	v_ashrrev_i32_e32 v1, 31, v0
	v_add_co_u32 v5, s1, s3, v2
	v_add_co_ci_u32_e64 v11, null, s4, v3, s1
	s_and_saveexec_b32 s1, s5
	s_cbranch_execz .LBB465_16
; %bb.13:
	v_lshlrev_b64 v[2:3], 2, v[0:1]
	v_mul_f32_e32 v8, s27, v8
	v_add_co_u32 v2, vcc_lo, v5, v2
	v_add_co_ci_u32_e64 v3, null, v11, v3, vcc_lo
	s_andn2_b32 vcc_lo, exec_lo, s2
	s_cbranch_vccnz .LBB465_15
; %bb.14:
	flat_load_dword v12, v[2:3]
	s_waitcnt vmcnt(0) lgkmcnt(0)
	v_fmac_f32_e32 v8, s26, v12
.LBB465_15:
	flat_store_dword v[2:3], v8
.LBB465_16:
	s_or_b32 exec_lo, exec_lo, s1
	v_add_nc_u32_e32 v2, 16, v0
	v_cmp_le_i32_e32 vcc_lo, v10, v2
	v_cmp_gt_i32_e64 s1, s28, v2
	v_ashrrev_i32_e32 v3, 31, v2
	s_and_b32 s2, vcc_lo, s1
	s_and_saveexec_b32 s5, s2
	s_cbranch_execz .LBB465_20
; %bb.17:
	v_lshlrev_b64 v[12:13], 2, v[2:3]
	v_mul_f32_e32 v8, s27, v4
	v_cmp_ne_u32_e32 vcc_lo, 1, v9
	v_add_co_u32 v4, s2, v5, v12
	v_add_co_ci_u32_e64 v5, null, v11, v13, s2
	s_cbranch_vccnz .LBB465_19
; %bb.18:
	flat_load_dword v11, v[4:5]
	s_waitcnt vmcnt(0) lgkmcnt(0)
	v_fmac_f32_e32 v8, s26, v11
.LBB465_19:
	flat_store_dword v[4:5], v8
.LBB465_20:
	s_or_b32 exec_lo, exec_lo, s5
	v_add_nc_u32_e32 v8, 16, v10
	v_ashrrev_i32_e32 v10, 31, v8
	v_mul_lo_u32 v11, s19, v8
	v_mad_u64_u32 v[4:5], null, s18, v8, 0
	v_cmp_le_i32_e32 vcc_lo, v8, v0
	v_mul_lo_u32 v10, s18, v10
	s_and_b32 s0, vcc_lo, s0
	v_add3_u32 v5, v5, v10, v11
	v_lshlrev_b64 v[4:5], 2, v[4:5]
	v_add_co_u32 v4, s2, s3, v4
	v_add_co_ci_u32_e64 v5, null, s4, v5, s2
	s_and_saveexec_b32 s2, s0
	s_cbranch_execz .LBB465_24
; %bb.21:
	v_lshlrev_b64 v[0:1], 2, v[0:1]
	v_cmp_ne_u32_e32 vcc_lo, 1, v9
	v_mul_f32_e32 v7, s27, v7
	v_add_co_u32 v0, s0, v4, v0
	v_add_co_ci_u32_e64 v1, null, v5, v1, s0
	s_cbranch_vccnz .LBB465_23
; %bb.22:
	flat_load_dword v10, v[0:1]
	s_waitcnt vmcnt(0) lgkmcnt(0)
	v_fmac_f32_e32 v7, s26, v10
.LBB465_23:
	flat_store_dword v[0:1], v7
.LBB465_24:
	s_or_b32 exec_lo, exec_lo, s2
	v_cmp_le_i32_e32 vcc_lo, v8, v2
	s_and_b32 s0, vcc_lo, s1
	s_and_saveexec_b32 s1, s0
	s_cbranch_execz .LBB465_28
; %bb.25:
	v_lshlrev_b64 v[0:1], 2, v[2:3]
	v_cmp_ne_u32_e32 vcc_lo, 1, v9
	v_mul_f32_e32 v2, s27, v6
	v_add_co_u32 v0, s0, v4, v0
	v_add_co_ci_u32_e64 v1, null, v5, v1, s0
	s_cbranch_vccnz .LBB465_27
; %bb.26:
	flat_load_dword v3, v[0:1]
	s_waitcnt vmcnt(0) lgkmcnt(0)
	v_fmac_f32_e32 v2, s26, v3
.LBB465_27:
	flat_store_dword v[0:1], v2
.LBB465_28:
	s_endpgm
	.section	.rodata,"a",@progbits
	.p2align	6, 0x0
	.amdhsa_kernel _ZL29rocblas_internal_gemmt_kernelIlLi16ELi32ELi8ELc67ELc78ELc76ELb0ELb0EffPKPKfPKPfEviT_T9_T10_S7_lS9_S7_lS8_T11_S7_li
		.amdhsa_group_segment_fixed_size 2048
		.amdhsa_private_segment_fixed_size 0
		.amdhsa_kernarg_size 108
		.amdhsa_user_sgpr_count 6
		.amdhsa_user_sgpr_private_segment_buffer 1
		.amdhsa_user_sgpr_dispatch_ptr 0
		.amdhsa_user_sgpr_queue_ptr 0
		.amdhsa_user_sgpr_kernarg_segment_ptr 1
		.amdhsa_user_sgpr_dispatch_id 0
		.amdhsa_user_sgpr_flat_scratch_init 0
		.amdhsa_user_sgpr_private_segment_size 0
		.amdhsa_wavefront_size32 1
		.amdhsa_uses_dynamic_stack 0
		.amdhsa_system_sgpr_private_segment_wavefront_offset 0
		.amdhsa_system_sgpr_workgroup_id_x 1
		.amdhsa_system_sgpr_workgroup_id_y 1
		.amdhsa_system_sgpr_workgroup_id_z 1
		.amdhsa_system_sgpr_workgroup_info 0
		.amdhsa_system_vgpr_workitem_id 1
		.amdhsa_next_free_vgpr 46
		.amdhsa_next_free_sgpr 29
		.amdhsa_reserve_vcc 1
		.amdhsa_reserve_flat_scratch 0
		.amdhsa_float_round_mode_32 0
		.amdhsa_float_round_mode_16_64 0
		.amdhsa_float_denorm_mode_32 3
		.amdhsa_float_denorm_mode_16_64 3
		.amdhsa_dx10_clamp 1
		.amdhsa_ieee_mode 1
		.amdhsa_fp16_overflow 0
		.amdhsa_workgroup_processor_mode 1
		.amdhsa_memory_ordered 1
		.amdhsa_forward_progress 1
		.amdhsa_shared_vgpr_count 0
		.amdhsa_exception_fp_ieee_invalid_op 0
		.amdhsa_exception_fp_denorm_src 0
		.amdhsa_exception_fp_ieee_div_zero 0
		.amdhsa_exception_fp_ieee_overflow 0
		.amdhsa_exception_fp_ieee_underflow 0
		.amdhsa_exception_fp_ieee_inexact 0
		.amdhsa_exception_int_div_zero 0
	.end_amdhsa_kernel
	.section	.text._ZL29rocblas_internal_gemmt_kernelIlLi16ELi32ELi8ELc67ELc78ELc76ELb0ELb0EffPKPKfPKPfEviT_T9_T10_S7_lS9_S7_lS8_T11_S7_li,"axG",@progbits,_ZL29rocblas_internal_gemmt_kernelIlLi16ELi32ELi8ELc67ELc78ELc76ELb0ELb0EffPKPKfPKPfEviT_T9_T10_S7_lS9_S7_lS8_T11_S7_li,comdat
.Lfunc_end465:
	.size	_ZL29rocblas_internal_gemmt_kernelIlLi16ELi32ELi8ELc67ELc78ELc76ELb0ELb0EffPKPKfPKPfEviT_T9_T10_S7_lS9_S7_lS8_T11_S7_li, .Lfunc_end465-_ZL29rocblas_internal_gemmt_kernelIlLi16ELi32ELi8ELc67ELc78ELc76ELb0ELb0EffPKPKfPKPfEviT_T9_T10_S7_lS9_S7_lS8_T11_S7_li
                                        ; -- End function
	.set _ZL29rocblas_internal_gemmt_kernelIlLi16ELi32ELi8ELc67ELc78ELc76ELb0ELb0EffPKPKfPKPfEviT_T9_T10_S7_lS9_S7_lS8_T11_S7_li.num_vgpr, 46
	.set _ZL29rocblas_internal_gemmt_kernelIlLi16ELi32ELi8ELc67ELc78ELc76ELb0ELb0EffPKPKfPKPfEviT_T9_T10_S7_lS9_S7_lS8_T11_S7_li.num_agpr, 0
	.set _ZL29rocblas_internal_gemmt_kernelIlLi16ELi32ELi8ELc67ELc78ELc76ELb0ELb0EffPKPKfPKPfEviT_T9_T10_S7_lS9_S7_lS8_T11_S7_li.numbered_sgpr, 29
	.set _ZL29rocblas_internal_gemmt_kernelIlLi16ELi32ELi8ELc67ELc78ELc76ELb0ELb0EffPKPKfPKPfEviT_T9_T10_S7_lS9_S7_lS8_T11_S7_li.num_named_barrier, 0
	.set _ZL29rocblas_internal_gemmt_kernelIlLi16ELi32ELi8ELc67ELc78ELc76ELb0ELb0EffPKPKfPKPfEviT_T9_T10_S7_lS9_S7_lS8_T11_S7_li.private_seg_size, 0
	.set _ZL29rocblas_internal_gemmt_kernelIlLi16ELi32ELi8ELc67ELc78ELc76ELb0ELb0EffPKPKfPKPfEviT_T9_T10_S7_lS9_S7_lS8_T11_S7_li.uses_vcc, 1
	.set _ZL29rocblas_internal_gemmt_kernelIlLi16ELi32ELi8ELc67ELc78ELc76ELb0ELb0EffPKPKfPKPfEviT_T9_T10_S7_lS9_S7_lS8_T11_S7_li.uses_flat_scratch, 0
	.set _ZL29rocblas_internal_gemmt_kernelIlLi16ELi32ELi8ELc67ELc78ELc76ELb0ELb0EffPKPKfPKPfEviT_T9_T10_S7_lS9_S7_lS8_T11_S7_li.has_dyn_sized_stack, 0
	.set _ZL29rocblas_internal_gemmt_kernelIlLi16ELi32ELi8ELc67ELc78ELc76ELb0ELb0EffPKPKfPKPfEviT_T9_T10_S7_lS9_S7_lS8_T11_S7_li.has_recursion, 0
	.set _ZL29rocblas_internal_gemmt_kernelIlLi16ELi32ELi8ELc67ELc78ELc76ELb0ELb0EffPKPKfPKPfEviT_T9_T10_S7_lS9_S7_lS8_T11_S7_li.has_indirect_call, 0
	.section	.AMDGPU.csdata,"",@progbits
; Kernel info:
; codeLenInByte = 1484
; TotalNumSgprs: 31
; NumVgprs: 46
; ScratchSize: 0
; MemoryBound: 0
; FloatMode: 240
; IeeeMode: 1
; LDSByteSize: 2048 bytes/workgroup (compile time only)
; SGPRBlocks: 0
; VGPRBlocks: 5
; NumSGPRsForWavesPerEU: 31
; NumVGPRsForWavesPerEU: 46
; Occupancy: 16
; WaveLimiterHint : 1
; COMPUTE_PGM_RSRC2:SCRATCH_EN: 0
; COMPUTE_PGM_RSRC2:USER_SGPR: 6
; COMPUTE_PGM_RSRC2:TRAP_HANDLER: 0
; COMPUTE_PGM_RSRC2:TGID_X_EN: 1
; COMPUTE_PGM_RSRC2:TGID_Y_EN: 1
; COMPUTE_PGM_RSRC2:TGID_Z_EN: 1
; COMPUTE_PGM_RSRC2:TIDIG_COMP_CNT: 1
	.section	.text._ZL29rocblas_internal_gemmt_kernelIlLi16ELi32ELi8ELc67ELc84ELc76ELb0ELb0EffPKPKfPKPfEviT_T9_T10_S7_lS9_S7_lS8_T11_S7_li,"axG",@progbits,_ZL29rocblas_internal_gemmt_kernelIlLi16ELi32ELi8ELc67ELc84ELc76ELb0ELb0EffPKPKfPKPfEviT_T9_T10_S7_lS9_S7_lS8_T11_S7_li,comdat
	.globl	_ZL29rocblas_internal_gemmt_kernelIlLi16ELi32ELi8ELc67ELc84ELc76ELb0ELb0EffPKPKfPKPfEviT_T9_T10_S7_lS9_S7_lS8_T11_S7_li ; -- Begin function _ZL29rocblas_internal_gemmt_kernelIlLi16ELi32ELi8ELc67ELc84ELc76ELb0ELb0EffPKPKfPKPfEviT_T9_T10_S7_lS9_S7_lS8_T11_S7_li
	.p2align	8
	.type	_ZL29rocblas_internal_gemmt_kernelIlLi16ELi32ELi8ELc67ELc84ELc76ELb0ELb0EffPKPKfPKPfEviT_T9_T10_S7_lS9_S7_lS8_T11_S7_li,@function
_ZL29rocblas_internal_gemmt_kernelIlLi16ELi32ELi8ELc67ELc84ELc76ELb0ELb0EffPKPKfPKPfEviT_T9_T10_S7_lS9_S7_lS8_T11_S7_li: ; @_ZL29rocblas_internal_gemmt_kernelIlLi16ELi32ELi8ELc67ELc84ELc76ELb0ELb0EffPKPKfPKPfEviT_T9_T10_S7_lS9_S7_lS8_T11_S7_li
; %bb.0:
	s_clause 0x2
	s_load_dword s22, s[4:5], 0x48
	s_load_dwordx2 s[2:3], s[4:5], 0x8
	s_load_dword s23, s[4:5], 0x10
	s_waitcnt lgkmcnt(0)
	v_cmp_neq_f32_e64 s0, s22, 1.0
	s_and_b32 vcc_lo, exec_lo, s0
	s_cbranch_vccnz .LBB466_2
; %bb.1:
	v_cmp_neq_f32_e64 s0, s23, 0
	s_cmp_lg_u64 s[2:3], 0
	s_cselect_b32 s1, -1, 0
	s_and_b32 s0, s1, s0
.LBB466_2:
	s_andn2_b32 vcc_lo, exec_lo, s0
	s_cbranch_vccnz .LBB466_28
; %bb.3:
	s_clause 0x1
	s_load_dwordx4 s[16:19], s[4:5], 0x50
	s_load_dword s24, s[4:5], 0x0
	s_mov_b32 s9, 0
	v_mov_b32_e32 v5, 0
	s_lshl_b64 s[0:1], s[8:9], 3
	v_mov_b32_e32 v4, 0
	v_mov_b32_e32 v7, 0
	;; [unrolled: 1-line block ×3, first 2 shown]
	s_waitcnt lgkmcnt(0)
	s_add_u32 s8, s16, s0
	s_addc_u32 s9, s17, s1
	s_load_dwordx2 s[20:21], s[4:5], 0x60
	s_load_dwordx2 s[16:17], s[8:9], 0x0
	v_cmp_lt_i64_e64 s8, s[2:3], 1
	v_cmp_eq_f32_e64 s9, s23, 0
	s_lshl_b32 s25, s6, 5
	s_lshl_b32 s26, s7, 5
	s_or_b32 s6, s9, s8
	s_and_b32 vcc_lo, exec_lo, s6
	s_cbranch_vccnz .LBB466_12
; %bb.4:
	s_clause 0x1
	s_load_dwordx8 s[8:15], s[4:5], 0x18
	s_load_dwordx4 s[4:7], s[4:5], 0x38
	v_lshl_add_u32 v2, v1, 4, v0
	v_and_b32_e32 v8, 7, v0
	v_lshlrev_b32_e32 v9, 2, v0
	v_lshl_add_u32 v10, v1, 5, 0x400
	v_mov_b32_e32 v3, 0
	v_and_b32_e32 v5, 31, v2
	v_lshrrev_b32_e32 v12, 3, v2
	v_lshrrev_b32_e32 v11, 5, v2
	v_lshlrev_b32_e32 v2, 2, v8
	v_mov_b32_e32 v6, 0
	v_or_b32_e32 v17, s25, v5
	v_add_nc_u32_e32 v13, s26, v12
	v_lshlrev_b32_e32 v5, 2, v5
	v_lshl_or_b32 v2, v12, 5, v2
	v_mov_b32_e32 v7, 0
	v_mov_b32_e32 v4, 0
	v_ashrrev_i32_e32 v14, 31, v13
	v_lshl_or_b32 v12, v11, 7, v5
	s_waitcnt lgkmcnt(0)
	s_add_u32 s14, s14, s0
	s_addc_u32 s15, s15, s1
	s_lshl_b64 s[6:7], s[6:7], 2
	s_load_dwordx2 s[14:15], s[14:15], 0x0
	v_mul_lo_u32 v18, s11, v17
	v_mad_u64_u32 v[15:16], null, s10, v17, 0
	v_mov_b32_e32 v5, 0
	s_waitcnt lgkmcnt(0)
	s_add_u32 s14, s14, s6
	s_addc_u32 s15, s15, s7
	s_add_u32 s0, s8, s0
	s_addc_u32 s1, s9, s1
	s_lshl_b64 s[6:7], s[12:13], 2
	s_load_dwordx2 s[0:1], s[0:1], 0x0
	s_waitcnt lgkmcnt(0)
	s_add_u32 s6, s0, s6
	s_addc_u32 s7, s1, s7
	s_ashr_i32 s0, s25, 31
	s_mul_i32 s1, s10, s0
	v_cmp_gt_i32_e64 s0, s24, v17
	v_add3_u32 v16, v16, s1, v18
	v_lshlrev_b64 v[17:18], 2, v[13:14]
	v_cmp_gt_i32_e64 s1, s24, v13
	v_add_nc_u32_e32 v13, 0x400, v2
	v_lshlrev_b64 v[19:20], 2, v[15:16]
	v_add_co_u32 v14, vcc_lo, s14, v17
	v_add_co_ci_u32_e64 v15, null, s15, v18, vcc_lo
	v_add_co_u32 v16, vcc_lo, s6, v19
	v_add_co_ci_u32_e64 v17, null, s7, v20, vcc_lo
	s_mov_b64 s[6:7], 0
	s_branch .LBB466_6
.LBB466_5:                              ;   in Loop: Header=BB466_6 Depth=1
	s_or_b32 exec_lo, exec_lo, s8
	s_waitcnt vmcnt(0) lgkmcnt(0)
	ds_write_b32 v13, v19
	s_waitcnt lgkmcnt(0)
	s_barrier
	buffer_gl0_inv
	ds_read_b128 v[18:21], v10
	ds_read2_b32 v[34:35], v9 offset1:16
	ds_read_b128 v[22:25], v10 offset:512
	ds_read2_b32 v[36:37], v9 offset0:32 offset1:48
	ds_read2_b32 v[38:39], v9 offset0:64 offset1:80
	;; [unrolled: 1-line block ×3, first 2 shown]
	ds_read_b128 v[26:29], v10 offset:16
	ds_read2_b32 v[42:43], v9 offset0:128 offset1:144
	ds_read_b128 v[30:33], v10 offset:528
	ds_read2_b32 v[44:45], v9 offset0:160 offset1:176
	s_add_u32 s6, s6, 8
	s_addc_u32 s7, s7, 0
	v_cmp_gt_i64_e64 s8, s[2:3], s[6:7]
	s_and_b32 vcc_lo, exec_lo, s8
	s_waitcnt lgkmcnt(8)
	v_fmac_f32_e32 v5, v34, v18
	v_fmac_f32_e32 v4, v35, v18
	s_waitcnt lgkmcnt(7)
	v_fmac_f32_e32 v7, v34, v22
	v_fmac_f32_e32 v6, v35, v22
	ds_read2_b32 v[34:35], v9 offset0:192 offset1:208
	s_waitcnt lgkmcnt(7)
	v_fmac_f32_e32 v5, v36, v19
	v_fmac_f32_e32 v4, v37, v19
	;; [unrolled: 1-line block ×4, first 2 shown]
	ds_read2_b32 v[18:19], v9 offset0:224 offset1:240
	s_waitcnt lgkmcnt(7)
	v_fmac_f32_e32 v5, v38, v20
	v_fmac_f32_e32 v4, v39, v20
	;; [unrolled: 1-line block ×4, first 2 shown]
	s_waitcnt lgkmcnt(0)
	v_fmac_f32_e32 v5, v40, v21
	v_fmac_f32_e32 v4, v41, v21
	;; [unrolled: 1-line block ×4, first 2 shown]
	s_barrier
	v_fmac_f32_e32 v5, v42, v26
	v_fmac_f32_e32 v4, v43, v26
	;; [unrolled: 1-line block ×4, first 2 shown]
	buffer_gl0_inv
	v_fmac_f32_e32 v5, v44, v27
	v_fmac_f32_e32 v4, v45, v27
	;; [unrolled: 1-line block ×12, first 2 shown]
	s_cbranch_vccz .LBB466_12
.LBB466_6:                              ; =>This Inner Loop Header: Depth=1
	v_mov_b32_e32 v18, 0
	s_and_saveexec_b32 s8, s0
	s_cbranch_execz .LBB466_10
; %bb.7:                                ;   in Loop: Header=BB466_6 Depth=1
	v_add_nc_u32_e32 v2, s6, v11
	v_mov_b32_e32 v18, 0
	s_mov_b32 s9, exec_lo
	v_cmpx_gt_u64_e64 s[2:3], v[2:3]
	s_cbranch_execz .LBB466_9
; %bb.8:                                ;   in Loop: Header=BB466_6 Depth=1
	v_lshlrev_b64 v[18:19], 2, v[2:3]
	v_add_co_u32 v18, vcc_lo, v16, v18
	v_add_co_ci_u32_e64 v19, null, v17, v19, vcc_lo
	flat_load_dword v18, v[18:19]
.LBB466_9:                              ;   in Loop: Header=BB466_6 Depth=1
	s_or_b32 exec_lo, exec_lo, s9
.LBB466_10:                             ;   in Loop: Header=BB466_6 Depth=1
	s_or_b32 exec_lo, exec_lo, s8
	v_add_nc_u32_e32 v2, s6, v8
	v_mov_b32_e32 v19, 0
	s_waitcnt vmcnt(0) lgkmcnt(0)
	ds_write_b32 v12, v18
	v_cmp_gt_u64_e32 vcc_lo, s[2:3], v[2:3]
	s_and_b32 s9, vcc_lo, s1
	s_and_saveexec_b32 s8, s9
	s_cbranch_execz .LBB466_5
; %bb.11:                               ;   in Loop: Header=BB466_6 Depth=1
	v_mad_u64_u32 v[18:19], null, s4, v2, 0
	v_mad_u64_u32 v[19:20], null, s5, v2, v[19:20]
	v_lshlrev_b64 v[18:19], 2, v[18:19]
	v_add_co_u32 v18, vcc_lo, v14, v18
	v_add_co_ci_u32_e64 v19, null, v15, v19, vcc_lo
	flat_load_dword v19, v[18:19]
	s_branch .LBB466_5
.LBB466_12:
	v_add_nc_u32_e32 v9, s26, v1
	v_add_nc_u32_e32 v0, s25, v0
	s_waitcnt lgkmcnt(0)
	s_lshl_b64 s[0:1], s[20:21], 2
	v_cmp_neq_f32_e64 s2, s22, 0
	s_add_u32 s3, s16, s0
	v_ashrrev_i32_e32 v3, 31, v9
	v_mul_lo_u32 v8, s19, v9
	v_mad_u64_u32 v[1:2], null, s18, v9, 0
	s_addc_u32 s4, s17, s1
	v_mul_lo_u32 v3, s18, v3
	v_cmp_le_i32_e32 vcc_lo, v9, v0
	v_cmp_gt_i32_e64 s0, s24, v0
	s_and_b32 s5, vcc_lo, s0
	v_add3_u32 v2, v2, v3, v8
	v_cndmask_b32_e64 v8, 0, 1, s2
	v_lshlrev_b64 v[2:3], 2, v[1:2]
	v_ashrrev_i32_e32 v1, 31, v0
	v_add_co_u32 v10, s1, s3, v2
	v_add_co_ci_u32_e64 v11, null, s4, v3, s1
	s_and_saveexec_b32 s1, s5
	s_cbranch_execz .LBB466_16
; %bb.13:
	v_lshlrev_b64 v[2:3], 2, v[0:1]
	v_mul_f32_e32 v5, s23, v5
	v_add_co_u32 v2, vcc_lo, v10, v2
	v_add_co_ci_u32_e64 v3, null, v11, v3, vcc_lo
	s_andn2_b32 vcc_lo, exec_lo, s2
	s_cbranch_vccnz .LBB466_15
; %bb.14:
	flat_load_dword v12, v[2:3]
	s_waitcnt vmcnt(0) lgkmcnt(0)
	v_fmac_f32_e32 v5, s22, v12
.LBB466_15:
	flat_store_dword v[2:3], v5
.LBB466_16:
	s_or_b32 exec_lo, exec_lo, s1
	v_add_nc_u32_e32 v2, 16, v0
	v_cmp_le_i32_e32 vcc_lo, v9, v2
	v_cmp_gt_i32_e64 s1, s24, v2
	v_ashrrev_i32_e32 v3, 31, v2
	s_and_b32 s2, vcc_lo, s1
	s_and_saveexec_b32 s5, s2
	s_cbranch_execz .LBB466_20
; %bb.17:
	v_lshlrev_b64 v[13:14], 2, v[2:3]
	v_mul_f32_e32 v12, s23, v4
	v_cmp_ne_u32_e32 vcc_lo, 1, v8
	v_add_co_u32 v4, s2, v10, v13
	v_add_co_ci_u32_e64 v5, null, v11, v14, s2
	s_cbranch_vccnz .LBB466_19
; %bb.18:
	flat_load_dword v10, v[4:5]
	s_waitcnt vmcnt(0) lgkmcnt(0)
	v_fmac_f32_e32 v12, s22, v10
.LBB466_19:
	flat_store_dword v[4:5], v12
.LBB466_20:
	s_or_b32 exec_lo, exec_lo, s5
	v_add_nc_u32_e32 v9, 16, v9
	v_ashrrev_i32_e32 v10, 31, v9
	v_mul_lo_u32 v11, s19, v9
	v_mad_u64_u32 v[4:5], null, s18, v9, 0
	v_cmp_le_i32_e32 vcc_lo, v9, v0
	v_mul_lo_u32 v10, s18, v10
	s_and_b32 s0, vcc_lo, s0
	v_add3_u32 v5, v5, v10, v11
	v_lshlrev_b64 v[4:5], 2, v[4:5]
	v_add_co_u32 v4, s2, s3, v4
	v_add_co_ci_u32_e64 v5, null, s4, v5, s2
	s_and_saveexec_b32 s2, s0
	s_cbranch_execz .LBB466_24
; %bb.21:
	v_lshlrev_b64 v[0:1], 2, v[0:1]
	v_cmp_ne_u32_e32 vcc_lo, 1, v8
	v_mul_f32_e32 v7, s23, v7
	v_add_co_u32 v0, s0, v4, v0
	v_add_co_ci_u32_e64 v1, null, v5, v1, s0
	s_cbranch_vccnz .LBB466_23
; %bb.22:
	flat_load_dword v10, v[0:1]
	s_waitcnt vmcnt(0) lgkmcnt(0)
	v_fmac_f32_e32 v7, s22, v10
.LBB466_23:
	flat_store_dword v[0:1], v7
.LBB466_24:
	s_or_b32 exec_lo, exec_lo, s2
	v_cmp_le_i32_e32 vcc_lo, v9, v2
	s_and_b32 s0, vcc_lo, s1
	s_and_saveexec_b32 s1, s0
	s_cbranch_execz .LBB466_28
; %bb.25:
	v_lshlrev_b64 v[0:1], 2, v[2:3]
	v_cmp_ne_u32_e32 vcc_lo, 1, v8
	v_mul_f32_e32 v2, s23, v6
	v_add_co_u32 v0, s0, v4, v0
	v_add_co_ci_u32_e64 v1, null, v5, v1, s0
	s_cbranch_vccnz .LBB466_27
; %bb.26:
	flat_load_dword v3, v[0:1]
	s_waitcnt vmcnt(0) lgkmcnt(0)
	v_fmac_f32_e32 v2, s22, v3
.LBB466_27:
	flat_store_dword v[0:1], v2
.LBB466_28:
	s_endpgm
	.section	.rodata,"a",@progbits
	.p2align	6, 0x0
	.amdhsa_kernel _ZL29rocblas_internal_gemmt_kernelIlLi16ELi32ELi8ELc67ELc84ELc76ELb0ELb0EffPKPKfPKPfEviT_T9_T10_S7_lS9_S7_lS8_T11_S7_li
		.amdhsa_group_segment_fixed_size 2048
		.amdhsa_private_segment_fixed_size 0
		.amdhsa_kernarg_size 108
		.amdhsa_user_sgpr_count 6
		.amdhsa_user_sgpr_private_segment_buffer 1
		.amdhsa_user_sgpr_dispatch_ptr 0
		.amdhsa_user_sgpr_queue_ptr 0
		.amdhsa_user_sgpr_kernarg_segment_ptr 1
		.amdhsa_user_sgpr_dispatch_id 0
		.amdhsa_user_sgpr_flat_scratch_init 0
		.amdhsa_user_sgpr_private_segment_size 0
		.amdhsa_wavefront_size32 1
		.amdhsa_uses_dynamic_stack 0
		.amdhsa_system_sgpr_private_segment_wavefront_offset 0
		.amdhsa_system_sgpr_workgroup_id_x 1
		.amdhsa_system_sgpr_workgroup_id_y 1
		.amdhsa_system_sgpr_workgroup_id_z 1
		.amdhsa_system_sgpr_workgroup_info 0
		.amdhsa_system_vgpr_workitem_id 1
		.amdhsa_next_free_vgpr 46
		.amdhsa_next_free_sgpr 27
		.amdhsa_reserve_vcc 1
		.amdhsa_reserve_flat_scratch 0
		.amdhsa_float_round_mode_32 0
		.amdhsa_float_round_mode_16_64 0
		.amdhsa_float_denorm_mode_32 3
		.amdhsa_float_denorm_mode_16_64 3
		.amdhsa_dx10_clamp 1
		.amdhsa_ieee_mode 1
		.amdhsa_fp16_overflow 0
		.amdhsa_workgroup_processor_mode 1
		.amdhsa_memory_ordered 1
		.amdhsa_forward_progress 1
		.amdhsa_shared_vgpr_count 0
		.amdhsa_exception_fp_ieee_invalid_op 0
		.amdhsa_exception_fp_denorm_src 0
		.amdhsa_exception_fp_ieee_div_zero 0
		.amdhsa_exception_fp_ieee_overflow 0
		.amdhsa_exception_fp_ieee_underflow 0
		.amdhsa_exception_fp_ieee_inexact 0
		.amdhsa_exception_int_div_zero 0
	.end_amdhsa_kernel
	.section	.text._ZL29rocblas_internal_gemmt_kernelIlLi16ELi32ELi8ELc67ELc84ELc76ELb0ELb0EffPKPKfPKPfEviT_T9_T10_S7_lS9_S7_lS8_T11_S7_li,"axG",@progbits,_ZL29rocblas_internal_gemmt_kernelIlLi16ELi32ELi8ELc67ELc84ELc76ELb0ELb0EffPKPKfPKPfEviT_T9_T10_S7_lS9_S7_lS8_T11_S7_li,comdat
.Lfunc_end466:
	.size	_ZL29rocblas_internal_gemmt_kernelIlLi16ELi32ELi8ELc67ELc84ELc76ELb0ELb0EffPKPKfPKPfEviT_T9_T10_S7_lS9_S7_lS8_T11_S7_li, .Lfunc_end466-_ZL29rocblas_internal_gemmt_kernelIlLi16ELi32ELi8ELc67ELc84ELc76ELb0ELb0EffPKPKfPKPfEviT_T9_T10_S7_lS9_S7_lS8_T11_S7_li
                                        ; -- End function
	.set _ZL29rocblas_internal_gemmt_kernelIlLi16ELi32ELi8ELc67ELc84ELc76ELb0ELb0EffPKPKfPKPfEviT_T9_T10_S7_lS9_S7_lS8_T11_S7_li.num_vgpr, 46
	.set _ZL29rocblas_internal_gemmt_kernelIlLi16ELi32ELi8ELc67ELc84ELc76ELb0ELb0EffPKPKfPKPfEviT_T9_T10_S7_lS9_S7_lS8_T11_S7_li.num_agpr, 0
	.set _ZL29rocblas_internal_gemmt_kernelIlLi16ELi32ELi8ELc67ELc84ELc76ELb0ELb0EffPKPKfPKPfEviT_T9_T10_S7_lS9_S7_lS8_T11_S7_li.numbered_sgpr, 27
	.set _ZL29rocblas_internal_gemmt_kernelIlLi16ELi32ELi8ELc67ELc84ELc76ELb0ELb0EffPKPKfPKPfEviT_T9_T10_S7_lS9_S7_lS8_T11_S7_li.num_named_barrier, 0
	.set _ZL29rocblas_internal_gemmt_kernelIlLi16ELi32ELi8ELc67ELc84ELc76ELb0ELb0EffPKPKfPKPfEviT_T9_T10_S7_lS9_S7_lS8_T11_S7_li.private_seg_size, 0
	.set _ZL29rocblas_internal_gemmt_kernelIlLi16ELi32ELi8ELc67ELc84ELc76ELb0ELb0EffPKPKfPKPfEviT_T9_T10_S7_lS9_S7_lS8_T11_S7_li.uses_vcc, 1
	.set _ZL29rocblas_internal_gemmt_kernelIlLi16ELi32ELi8ELc67ELc84ELc76ELb0ELb0EffPKPKfPKPfEviT_T9_T10_S7_lS9_S7_lS8_T11_S7_li.uses_flat_scratch, 0
	.set _ZL29rocblas_internal_gemmt_kernelIlLi16ELi32ELi8ELc67ELc84ELc76ELb0ELb0EffPKPKfPKPfEviT_T9_T10_S7_lS9_S7_lS8_T11_S7_li.has_dyn_sized_stack, 0
	.set _ZL29rocblas_internal_gemmt_kernelIlLi16ELi32ELi8ELc67ELc84ELc76ELb0ELb0EffPKPKfPKPfEviT_T9_T10_S7_lS9_S7_lS8_T11_S7_li.has_recursion, 0
	.set _ZL29rocblas_internal_gemmt_kernelIlLi16ELi32ELi8ELc67ELc84ELc76ELb0ELb0EffPKPKfPKPfEviT_T9_T10_S7_lS9_S7_lS8_T11_S7_li.has_indirect_call, 0
	.section	.AMDGPU.csdata,"",@progbits
; Kernel info:
; codeLenInByte = 1468
; TotalNumSgprs: 29
; NumVgprs: 46
; ScratchSize: 0
; MemoryBound: 0
; FloatMode: 240
; IeeeMode: 1
; LDSByteSize: 2048 bytes/workgroup (compile time only)
; SGPRBlocks: 0
; VGPRBlocks: 5
; NumSGPRsForWavesPerEU: 29
; NumVGPRsForWavesPerEU: 46
; Occupancy: 16
; WaveLimiterHint : 1
; COMPUTE_PGM_RSRC2:SCRATCH_EN: 0
; COMPUTE_PGM_RSRC2:USER_SGPR: 6
; COMPUTE_PGM_RSRC2:TRAP_HANDLER: 0
; COMPUTE_PGM_RSRC2:TGID_X_EN: 1
; COMPUTE_PGM_RSRC2:TGID_Y_EN: 1
; COMPUTE_PGM_RSRC2:TGID_Z_EN: 1
; COMPUTE_PGM_RSRC2:TIDIG_COMP_CNT: 1
	.section	.text._ZL29rocblas_internal_gemmt_kernelIlLi16ELi32ELi8ELc67ELc67ELc76ELb0ELb0EffPKPKfPKPfEviT_T9_T10_S7_lS9_S7_lS8_T11_S7_li,"axG",@progbits,_ZL29rocblas_internal_gemmt_kernelIlLi16ELi32ELi8ELc67ELc67ELc76ELb0ELb0EffPKPKfPKPfEviT_T9_T10_S7_lS9_S7_lS8_T11_S7_li,comdat
	.globl	_ZL29rocblas_internal_gemmt_kernelIlLi16ELi32ELi8ELc67ELc67ELc76ELb0ELb0EffPKPKfPKPfEviT_T9_T10_S7_lS9_S7_lS8_T11_S7_li ; -- Begin function _ZL29rocblas_internal_gemmt_kernelIlLi16ELi32ELi8ELc67ELc67ELc76ELb0ELb0EffPKPKfPKPfEviT_T9_T10_S7_lS9_S7_lS8_T11_S7_li
	.p2align	8
	.type	_ZL29rocblas_internal_gemmt_kernelIlLi16ELi32ELi8ELc67ELc67ELc76ELb0ELb0EffPKPKfPKPfEviT_T9_T10_S7_lS9_S7_lS8_T11_S7_li,@function
_ZL29rocblas_internal_gemmt_kernelIlLi16ELi32ELi8ELc67ELc67ELc76ELb0ELb0EffPKPKfPKPfEviT_T9_T10_S7_lS9_S7_lS8_T11_S7_li: ; @_ZL29rocblas_internal_gemmt_kernelIlLi16ELi32ELi8ELc67ELc67ELc76ELb0ELb0EffPKPKfPKPfEviT_T9_T10_S7_lS9_S7_lS8_T11_S7_li
; %bb.0:
	s_clause 0x2
	s_load_dword s22, s[4:5], 0x48
	s_load_dwordx2 s[2:3], s[4:5], 0x8
	s_load_dword s23, s[4:5], 0x10
	s_waitcnt lgkmcnt(0)
	v_cmp_neq_f32_e64 s0, s22, 1.0
	s_and_b32 vcc_lo, exec_lo, s0
	s_cbranch_vccnz .LBB467_2
; %bb.1:
	v_cmp_neq_f32_e64 s0, s23, 0
	s_cmp_lg_u64 s[2:3], 0
	s_cselect_b32 s1, -1, 0
	s_and_b32 s0, s1, s0
.LBB467_2:
	s_andn2_b32 vcc_lo, exec_lo, s0
	s_cbranch_vccnz .LBB467_28
; %bb.3:
	s_clause 0x1
	s_load_dwordx4 s[16:19], s[4:5], 0x50
	s_load_dword s24, s[4:5], 0x0
	s_mov_b32 s9, 0
	v_mov_b32_e32 v5, 0
	s_lshl_b64 s[0:1], s[8:9], 3
	v_mov_b32_e32 v4, 0
	v_mov_b32_e32 v7, 0
	;; [unrolled: 1-line block ×3, first 2 shown]
	s_waitcnt lgkmcnt(0)
	s_add_u32 s8, s16, s0
	s_addc_u32 s9, s17, s1
	s_load_dwordx2 s[20:21], s[4:5], 0x60
	s_load_dwordx2 s[16:17], s[8:9], 0x0
	v_cmp_lt_i64_e64 s8, s[2:3], 1
	v_cmp_eq_f32_e64 s9, s23, 0
	s_lshl_b32 s25, s6, 5
	s_lshl_b32 s26, s7, 5
	s_or_b32 s6, s9, s8
	s_and_b32 vcc_lo, exec_lo, s6
	s_cbranch_vccnz .LBB467_12
; %bb.4:
	s_clause 0x1
	s_load_dwordx8 s[8:15], s[4:5], 0x18
	s_load_dwordx4 s[4:7], s[4:5], 0x38
	v_lshl_add_u32 v2, v1, 4, v0
	v_and_b32_e32 v8, 7, v0
	v_lshlrev_b32_e32 v9, 2, v0
	v_lshl_add_u32 v10, v1, 5, 0x400
	v_mov_b32_e32 v3, 0
	v_and_b32_e32 v5, 31, v2
	v_lshrrev_b32_e32 v12, 3, v2
	v_lshrrev_b32_e32 v11, 5, v2
	v_lshlrev_b32_e32 v2, 2, v8
	v_mov_b32_e32 v6, 0
	v_or_b32_e32 v17, s25, v5
	v_add_nc_u32_e32 v13, s26, v12
	v_lshlrev_b32_e32 v5, 2, v5
	v_lshl_or_b32 v2, v12, 5, v2
	v_mov_b32_e32 v7, 0
	v_mov_b32_e32 v4, 0
	v_ashrrev_i32_e32 v14, 31, v13
	v_lshl_or_b32 v12, v11, 7, v5
	s_waitcnt lgkmcnt(0)
	s_add_u32 s14, s14, s0
	s_addc_u32 s15, s15, s1
	s_lshl_b64 s[6:7], s[6:7], 2
	s_load_dwordx2 s[14:15], s[14:15], 0x0
	v_mul_lo_u32 v18, s11, v17
	v_mad_u64_u32 v[15:16], null, s10, v17, 0
	v_mov_b32_e32 v5, 0
	s_waitcnt lgkmcnt(0)
	s_add_u32 s14, s14, s6
	s_addc_u32 s15, s15, s7
	s_add_u32 s0, s8, s0
	s_addc_u32 s1, s9, s1
	s_lshl_b64 s[6:7], s[12:13], 2
	s_load_dwordx2 s[0:1], s[0:1], 0x0
	s_waitcnt lgkmcnt(0)
	s_add_u32 s6, s0, s6
	s_addc_u32 s7, s1, s7
	s_ashr_i32 s0, s25, 31
	s_mul_i32 s1, s10, s0
	v_cmp_gt_i32_e64 s0, s24, v17
	v_add3_u32 v16, v16, s1, v18
	v_lshlrev_b64 v[17:18], 2, v[13:14]
	v_cmp_gt_i32_e64 s1, s24, v13
	v_add_nc_u32_e32 v13, 0x400, v2
	v_lshlrev_b64 v[19:20], 2, v[15:16]
	v_add_co_u32 v14, vcc_lo, s14, v17
	v_add_co_ci_u32_e64 v15, null, s15, v18, vcc_lo
	v_add_co_u32 v16, vcc_lo, s6, v19
	v_add_co_ci_u32_e64 v17, null, s7, v20, vcc_lo
	s_mov_b64 s[6:7], 0
	s_branch .LBB467_6
.LBB467_5:                              ;   in Loop: Header=BB467_6 Depth=1
	s_or_b32 exec_lo, exec_lo, s8
	s_waitcnt vmcnt(0) lgkmcnt(0)
	ds_write_b32 v13, v19
	s_waitcnt lgkmcnt(0)
	s_barrier
	buffer_gl0_inv
	ds_read_b128 v[18:21], v10
	ds_read2_b32 v[34:35], v9 offset1:16
	ds_read_b128 v[22:25], v10 offset:512
	ds_read2_b32 v[36:37], v9 offset0:32 offset1:48
	ds_read2_b32 v[38:39], v9 offset0:64 offset1:80
	;; [unrolled: 1-line block ×3, first 2 shown]
	ds_read_b128 v[26:29], v10 offset:16
	ds_read2_b32 v[42:43], v9 offset0:128 offset1:144
	ds_read_b128 v[30:33], v10 offset:528
	ds_read2_b32 v[44:45], v9 offset0:160 offset1:176
	s_add_u32 s6, s6, 8
	s_addc_u32 s7, s7, 0
	v_cmp_gt_i64_e64 s8, s[2:3], s[6:7]
	s_and_b32 vcc_lo, exec_lo, s8
	s_waitcnt lgkmcnt(8)
	v_fmac_f32_e32 v5, v34, v18
	v_fmac_f32_e32 v4, v35, v18
	s_waitcnt lgkmcnt(7)
	v_fmac_f32_e32 v7, v34, v22
	v_fmac_f32_e32 v6, v35, v22
	ds_read2_b32 v[34:35], v9 offset0:192 offset1:208
	s_waitcnt lgkmcnt(7)
	v_fmac_f32_e32 v5, v36, v19
	v_fmac_f32_e32 v4, v37, v19
	;; [unrolled: 1-line block ×4, first 2 shown]
	ds_read2_b32 v[18:19], v9 offset0:224 offset1:240
	s_waitcnt lgkmcnt(7)
	v_fmac_f32_e32 v5, v38, v20
	v_fmac_f32_e32 v4, v39, v20
	;; [unrolled: 1-line block ×4, first 2 shown]
	s_waitcnt lgkmcnt(0)
	v_fmac_f32_e32 v5, v40, v21
	v_fmac_f32_e32 v4, v41, v21
	;; [unrolled: 1-line block ×4, first 2 shown]
	s_barrier
	v_fmac_f32_e32 v5, v42, v26
	v_fmac_f32_e32 v4, v43, v26
	;; [unrolled: 1-line block ×4, first 2 shown]
	buffer_gl0_inv
	v_fmac_f32_e32 v5, v44, v27
	v_fmac_f32_e32 v4, v45, v27
	;; [unrolled: 1-line block ×12, first 2 shown]
	s_cbranch_vccz .LBB467_12
.LBB467_6:                              ; =>This Inner Loop Header: Depth=1
	v_mov_b32_e32 v18, 0
	s_and_saveexec_b32 s8, s0
	s_cbranch_execz .LBB467_10
; %bb.7:                                ;   in Loop: Header=BB467_6 Depth=1
	v_add_nc_u32_e32 v2, s6, v11
	v_mov_b32_e32 v18, 0
	s_mov_b32 s9, exec_lo
	v_cmpx_gt_u64_e64 s[2:3], v[2:3]
	s_cbranch_execz .LBB467_9
; %bb.8:                                ;   in Loop: Header=BB467_6 Depth=1
	v_lshlrev_b64 v[18:19], 2, v[2:3]
	v_add_co_u32 v18, vcc_lo, v16, v18
	v_add_co_ci_u32_e64 v19, null, v17, v19, vcc_lo
	flat_load_dword v18, v[18:19]
.LBB467_9:                              ;   in Loop: Header=BB467_6 Depth=1
	s_or_b32 exec_lo, exec_lo, s9
.LBB467_10:                             ;   in Loop: Header=BB467_6 Depth=1
	s_or_b32 exec_lo, exec_lo, s8
	v_add_nc_u32_e32 v2, s6, v8
	v_mov_b32_e32 v19, 0
	s_waitcnt vmcnt(0) lgkmcnt(0)
	ds_write_b32 v12, v18
	v_cmp_gt_u64_e32 vcc_lo, s[2:3], v[2:3]
	s_and_b32 s9, vcc_lo, s1
	s_and_saveexec_b32 s8, s9
	s_cbranch_execz .LBB467_5
; %bb.11:                               ;   in Loop: Header=BB467_6 Depth=1
	v_mad_u64_u32 v[18:19], null, s4, v2, 0
	v_mad_u64_u32 v[19:20], null, s5, v2, v[19:20]
	v_lshlrev_b64 v[18:19], 2, v[18:19]
	v_add_co_u32 v18, vcc_lo, v14, v18
	v_add_co_ci_u32_e64 v19, null, v15, v19, vcc_lo
	flat_load_dword v19, v[18:19]
	s_branch .LBB467_5
.LBB467_12:
	v_add_nc_u32_e32 v9, s26, v1
	v_add_nc_u32_e32 v0, s25, v0
	s_waitcnt lgkmcnt(0)
	s_lshl_b64 s[0:1], s[20:21], 2
	v_cmp_neq_f32_e64 s2, s22, 0
	s_add_u32 s3, s16, s0
	v_ashrrev_i32_e32 v3, 31, v9
	v_mul_lo_u32 v8, s19, v9
	v_mad_u64_u32 v[1:2], null, s18, v9, 0
	s_addc_u32 s4, s17, s1
	v_mul_lo_u32 v3, s18, v3
	v_cmp_le_i32_e32 vcc_lo, v9, v0
	v_cmp_gt_i32_e64 s0, s24, v0
	s_and_b32 s5, vcc_lo, s0
	v_add3_u32 v2, v2, v3, v8
	v_cndmask_b32_e64 v8, 0, 1, s2
	v_lshlrev_b64 v[2:3], 2, v[1:2]
	v_ashrrev_i32_e32 v1, 31, v0
	v_add_co_u32 v10, s1, s3, v2
	v_add_co_ci_u32_e64 v11, null, s4, v3, s1
	s_and_saveexec_b32 s1, s5
	s_cbranch_execz .LBB467_16
; %bb.13:
	v_lshlrev_b64 v[2:3], 2, v[0:1]
	v_mul_f32_e32 v5, s23, v5
	v_add_co_u32 v2, vcc_lo, v10, v2
	v_add_co_ci_u32_e64 v3, null, v11, v3, vcc_lo
	s_andn2_b32 vcc_lo, exec_lo, s2
	s_cbranch_vccnz .LBB467_15
; %bb.14:
	flat_load_dword v12, v[2:3]
	s_waitcnt vmcnt(0) lgkmcnt(0)
	v_fmac_f32_e32 v5, s22, v12
.LBB467_15:
	flat_store_dword v[2:3], v5
.LBB467_16:
	s_or_b32 exec_lo, exec_lo, s1
	v_add_nc_u32_e32 v2, 16, v0
	v_cmp_le_i32_e32 vcc_lo, v9, v2
	v_cmp_gt_i32_e64 s1, s24, v2
	v_ashrrev_i32_e32 v3, 31, v2
	s_and_b32 s2, vcc_lo, s1
	s_and_saveexec_b32 s5, s2
	s_cbranch_execz .LBB467_20
; %bb.17:
	v_lshlrev_b64 v[13:14], 2, v[2:3]
	v_mul_f32_e32 v12, s23, v4
	v_cmp_ne_u32_e32 vcc_lo, 1, v8
	v_add_co_u32 v4, s2, v10, v13
	v_add_co_ci_u32_e64 v5, null, v11, v14, s2
	s_cbranch_vccnz .LBB467_19
; %bb.18:
	flat_load_dword v10, v[4:5]
	s_waitcnt vmcnt(0) lgkmcnt(0)
	v_fmac_f32_e32 v12, s22, v10
.LBB467_19:
	flat_store_dword v[4:5], v12
.LBB467_20:
	s_or_b32 exec_lo, exec_lo, s5
	v_add_nc_u32_e32 v9, 16, v9
	v_ashrrev_i32_e32 v10, 31, v9
	v_mul_lo_u32 v11, s19, v9
	v_mad_u64_u32 v[4:5], null, s18, v9, 0
	v_cmp_le_i32_e32 vcc_lo, v9, v0
	v_mul_lo_u32 v10, s18, v10
	s_and_b32 s0, vcc_lo, s0
	v_add3_u32 v5, v5, v10, v11
	v_lshlrev_b64 v[4:5], 2, v[4:5]
	v_add_co_u32 v4, s2, s3, v4
	v_add_co_ci_u32_e64 v5, null, s4, v5, s2
	s_and_saveexec_b32 s2, s0
	s_cbranch_execz .LBB467_24
; %bb.21:
	v_lshlrev_b64 v[0:1], 2, v[0:1]
	v_cmp_ne_u32_e32 vcc_lo, 1, v8
	v_mul_f32_e32 v7, s23, v7
	v_add_co_u32 v0, s0, v4, v0
	v_add_co_ci_u32_e64 v1, null, v5, v1, s0
	s_cbranch_vccnz .LBB467_23
; %bb.22:
	flat_load_dword v10, v[0:1]
	s_waitcnt vmcnt(0) lgkmcnt(0)
	v_fmac_f32_e32 v7, s22, v10
.LBB467_23:
	flat_store_dword v[0:1], v7
.LBB467_24:
	s_or_b32 exec_lo, exec_lo, s2
	v_cmp_le_i32_e32 vcc_lo, v9, v2
	s_and_b32 s0, vcc_lo, s1
	s_and_saveexec_b32 s1, s0
	s_cbranch_execz .LBB467_28
; %bb.25:
	v_lshlrev_b64 v[0:1], 2, v[2:3]
	v_cmp_ne_u32_e32 vcc_lo, 1, v8
	v_mul_f32_e32 v2, s23, v6
	v_add_co_u32 v0, s0, v4, v0
	v_add_co_ci_u32_e64 v1, null, v5, v1, s0
	s_cbranch_vccnz .LBB467_27
; %bb.26:
	flat_load_dword v3, v[0:1]
	s_waitcnt vmcnt(0) lgkmcnt(0)
	v_fmac_f32_e32 v2, s22, v3
.LBB467_27:
	flat_store_dword v[0:1], v2
.LBB467_28:
	s_endpgm
	.section	.rodata,"a",@progbits
	.p2align	6, 0x0
	.amdhsa_kernel _ZL29rocblas_internal_gemmt_kernelIlLi16ELi32ELi8ELc67ELc67ELc76ELb0ELb0EffPKPKfPKPfEviT_T9_T10_S7_lS9_S7_lS8_T11_S7_li
		.amdhsa_group_segment_fixed_size 2048
		.amdhsa_private_segment_fixed_size 0
		.amdhsa_kernarg_size 108
		.amdhsa_user_sgpr_count 6
		.amdhsa_user_sgpr_private_segment_buffer 1
		.amdhsa_user_sgpr_dispatch_ptr 0
		.amdhsa_user_sgpr_queue_ptr 0
		.amdhsa_user_sgpr_kernarg_segment_ptr 1
		.amdhsa_user_sgpr_dispatch_id 0
		.amdhsa_user_sgpr_flat_scratch_init 0
		.amdhsa_user_sgpr_private_segment_size 0
		.amdhsa_wavefront_size32 1
		.amdhsa_uses_dynamic_stack 0
		.amdhsa_system_sgpr_private_segment_wavefront_offset 0
		.amdhsa_system_sgpr_workgroup_id_x 1
		.amdhsa_system_sgpr_workgroup_id_y 1
		.amdhsa_system_sgpr_workgroup_id_z 1
		.amdhsa_system_sgpr_workgroup_info 0
		.amdhsa_system_vgpr_workitem_id 1
		.amdhsa_next_free_vgpr 46
		.amdhsa_next_free_sgpr 27
		.amdhsa_reserve_vcc 1
		.amdhsa_reserve_flat_scratch 0
		.amdhsa_float_round_mode_32 0
		.amdhsa_float_round_mode_16_64 0
		.amdhsa_float_denorm_mode_32 3
		.amdhsa_float_denorm_mode_16_64 3
		.amdhsa_dx10_clamp 1
		.amdhsa_ieee_mode 1
		.amdhsa_fp16_overflow 0
		.amdhsa_workgroup_processor_mode 1
		.amdhsa_memory_ordered 1
		.amdhsa_forward_progress 1
		.amdhsa_shared_vgpr_count 0
		.amdhsa_exception_fp_ieee_invalid_op 0
		.amdhsa_exception_fp_denorm_src 0
		.amdhsa_exception_fp_ieee_div_zero 0
		.amdhsa_exception_fp_ieee_overflow 0
		.amdhsa_exception_fp_ieee_underflow 0
		.amdhsa_exception_fp_ieee_inexact 0
		.amdhsa_exception_int_div_zero 0
	.end_amdhsa_kernel
	.section	.text._ZL29rocblas_internal_gemmt_kernelIlLi16ELi32ELi8ELc67ELc67ELc76ELb0ELb0EffPKPKfPKPfEviT_T9_T10_S7_lS9_S7_lS8_T11_S7_li,"axG",@progbits,_ZL29rocblas_internal_gemmt_kernelIlLi16ELi32ELi8ELc67ELc67ELc76ELb0ELb0EffPKPKfPKPfEviT_T9_T10_S7_lS9_S7_lS8_T11_S7_li,comdat
.Lfunc_end467:
	.size	_ZL29rocblas_internal_gemmt_kernelIlLi16ELi32ELi8ELc67ELc67ELc76ELb0ELb0EffPKPKfPKPfEviT_T9_T10_S7_lS9_S7_lS8_T11_S7_li, .Lfunc_end467-_ZL29rocblas_internal_gemmt_kernelIlLi16ELi32ELi8ELc67ELc67ELc76ELb0ELb0EffPKPKfPKPfEviT_T9_T10_S7_lS9_S7_lS8_T11_S7_li
                                        ; -- End function
	.set _ZL29rocblas_internal_gemmt_kernelIlLi16ELi32ELi8ELc67ELc67ELc76ELb0ELb0EffPKPKfPKPfEviT_T9_T10_S7_lS9_S7_lS8_T11_S7_li.num_vgpr, 46
	.set _ZL29rocblas_internal_gemmt_kernelIlLi16ELi32ELi8ELc67ELc67ELc76ELb0ELb0EffPKPKfPKPfEviT_T9_T10_S7_lS9_S7_lS8_T11_S7_li.num_agpr, 0
	.set _ZL29rocblas_internal_gemmt_kernelIlLi16ELi32ELi8ELc67ELc67ELc76ELb0ELb0EffPKPKfPKPfEviT_T9_T10_S7_lS9_S7_lS8_T11_S7_li.numbered_sgpr, 27
	.set _ZL29rocblas_internal_gemmt_kernelIlLi16ELi32ELi8ELc67ELc67ELc76ELb0ELb0EffPKPKfPKPfEviT_T9_T10_S7_lS9_S7_lS8_T11_S7_li.num_named_barrier, 0
	.set _ZL29rocblas_internal_gemmt_kernelIlLi16ELi32ELi8ELc67ELc67ELc76ELb0ELb0EffPKPKfPKPfEviT_T9_T10_S7_lS9_S7_lS8_T11_S7_li.private_seg_size, 0
	.set _ZL29rocblas_internal_gemmt_kernelIlLi16ELi32ELi8ELc67ELc67ELc76ELb0ELb0EffPKPKfPKPfEviT_T9_T10_S7_lS9_S7_lS8_T11_S7_li.uses_vcc, 1
	.set _ZL29rocblas_internal_gemmt_kernelIlLi16ELi32ELi8ELc67ELc67ELc76ELb0ELb0EffPKPKfPKPfEviT_T9_T10_S7_lS9_S7_lS8_T11_S7_li.uses_flat_scratch, 0
	.set _ZL29rocblas_internal_gemmt_kernelIlLi16ELi32ELi8ELc67ELc67ELc76ELb0ELb0EffPKPKfPKPfEviT_T9_T10_S7_lS9_S7_lS8_T11_S7_li.has_dyn_sized_stack, 0
	.set _ZL29rocblas_internal_gemmt_kernelIlLi16ELi32ELi8ELc67ELc67ELc76ELb0ELb0EffPKPKfPKPfEviT_T9_T10_S7_lS9_S7_lS8_T11_S7_li.has_recursion, 0
	.set _ZL29rocblas_internal_gemmt_kernelIlLi16ELi32ELi8ELc67ELc67ELc76ELb0ELb0EffPKPKfPKPfEviT_T9_T10_S7_lS9_S7_lS8_T11_S7_li.has_indirect_call, 0
	.section	.AMDGPU.csdata,"",@progbits
; Kernel info:
; codeLenInByte = 1468
; TotalNumSgprs: 29
; NumVgprs: 46
; ScratchSize: 0
; MemoryBound: 0
; FloatMode: 240
; IeeeMode: 1
; LDSByteSize: 2048 bytes/workgroup (compile time only)
; SGPRBlocks: 0
; VGPRBlocks: 5
; NumSGPRsForWavesPerEU: 29
; NumVGPRsForWavesPerEU: 46
; Occupancy: 16
; WaveLimiterHint : 1
; COMPUTE_PGM_RSRC2:SCRATCH_EN: 0
; COMPUTE_PGM_RSRC2:USER_SGPR: 6
; COMPUTE_PGM_RSRC2:TRAP_HANDLER: 0
; COMPUTE_PGM_RSRC2:TGID_X_EN: 1
; COMPUTE_PGM_RSRC2:TGID_Y_EN: 1
; COMPUTE_PGM_RSRC2:TGID_Z_EN: 1
; COMPUTE_PGM_RSRC2:TIDIG_COMP_CNT: 1
	.section	.text._ZL29rocblas_internal_gemmt_kernelIlLi16ELi32ELi8ELc78ELc78ELc85ELb0ELb0EdPKdPKS1_PKPdEviT_T9_T10_S7_lS9_S7_lS8_T11_S7_li,"axG",@progbits,_ZL29rocblas_internal_gemmt_kernelIlLi16ELi32ELi8ELc78ELc78ELc85ELb0ELb0EdPKdPKS1_PKPdEviT_T9_T10_S7_lS9_S7_lS8_T11_S7_li,comdat
	.globl	_ZL29rocblas_internal_gemmt_kernelIlLi16ELi32ELi8ELc78ELc78ELc85ELb0ELb0EdPKdPKS1_PKPdEviT_T9_T10_S7_lS9_S7_lS8_T11_S7_li ; -- Begin function _ZL29rocblas_internal_gemmt_kernelIlLi16ELi32ELi8ELc78ELc78ELc85ELb0ELb0EdPKdPKS1_PKPdEviT_T9_T10_S7_lS9_S7_lS8_T11_S7_li
	.p2align	8
	.type	_ZL29rocblas_internal_gemmt_kernelIlLi16ELi32ELi8ELc78ELc78ELc85ELb0ELb0EdPKdPKS1_PKPdEviT_T9_T10_S7_lS9_S7_lS8_T11_S7_li,@function
_ZL29rocblas_internal_gemmt_kernelIlLi16ELi32ELi8ELc78ELc78ELc85ELb0ELb0EdPKdPKS1_PKPdEviT_T9_T10_S7_lS9_S7_lS8_T11_S7_li: ; @_ZL29rocblas_internal_gemmt_kernelIlLi16ELi32ELi8ELc78ELc78ELc85ELb0ELb0EdPKdPKS1_PKPdEviT_T9_T10_S7_lS9_S7_lS8_T11_S7_li
; %bb.0:
	s_load_dwordx8 s[36:43], s[4:5], 0x48
	s_waitcnt lgkmcnt(0)
	s_load_dwordx2 s[2:3], s[36:37], 0x0
	s_load_dwordx16 s[12:27], s[4:5], 0x8
	s_waitcnt lgkmcnt(0)
	v_cmp_neq_f64_e64 s0, s[2:3], 1.0
	s_load_dwordx2 s[10:11], s[14:15], 0x0
	s_and_b32 vcc_lo, exec_lo, s0
	s_cbranch_vccnz .LBB468_2
; %bb.1:
	s_waitcnt lgkmcnt(0)
	v_cmp_neq_f64_e64 s0, s[10:11], 0
	s_cmp_lg_u64 s[12:13], 0
	s_cselect_b32 s1, -1, 0
	s_and_b32 s0, s1, s0
.LBB468_2:
	s_andn2_b32 vcc_lo, exec_lo, s0
	s_cbranch_vccnz .LBB468_28
; %bb.3:
	s_waitcnt lgkmcnt(0)
	v_cmp_eq_f64_e64 s28, s[10:11], 0
	s_mov_b32 s9, 0
	v_mov_b32_e32 v8, 0
	s_lshl_b64 s[0:1], s[8:9], 3
	v_mov_b32_e32 v6, 0
	s_add_u32 s14, s38, s0
	s_addc_u32 s15, s39, s1
	s_load_dword s8, s[4:5], 0x0
	s_load_dwordx2 s[4:5], s[14:15], 0x0
	v_cmp_lt_i64_e64 s14, s[12:13], 1
	v_mov_b32_e32 v4, 0
	v_mov_b32_e32 v2, 0
	;; [unrolled: 1-line block ×6, first 2 shown]
	s_lshl_b32 s9, s6, 5
	s_or_b32 s6, s28, s14
	s_lshl_b32 s14, s7, 5
	s_and_b32 vcc_lo, exec_lo, s6
	s_cbranch_vccnz .LBB468_12
; %bb.4:
	s_add_u32 s6, s22, s0
	s_addc_u32 s7, s23, s1
	v_lshl_add_u32 v13, v1, 4, v0
	s_load_dwordx2 s[6:7], s[6:7], 0x0
	s_lshl_b64 s[22:23], s[26:27], 3
	v_and_b32_e32 v16, 7, v0
	v_mov_b32_e32 v2, 0
	v_lshrrev_b32_e32 v14, 3, v13
	v_and_b32_e32 v20, 31, v13
	v_lshrrev_b32_e32 v19, 5, v13
	v_lshlrev_b32_e32 v23, 3, v16
	v_mov_b32_e32 v4, 0
	v_add_nc_u32_e32 v15, s14, v14
	v_or_b32_e32 v12, s9, v20
	v_lshlrev_b32_e32 v20, 3, v20
	v_lshl_or_b32 v14, v14, 6, v23
	v_mov_b32_e32 v8, 0
	v_ashrrev_i32_e32 v6, 31, v15
	v_mul_lo_u32 v21, s25, v15
	v_mad_u64_u32 v[10:11], null, s24, v15, 0
	v_ashrrev_i32_e32 v13, 31, v12
	v_mul_lo_u32 v22, s24, v6
	s_waitcnt lgkmcnt(0)
	s_add_u32 s15, s6, s22
	s_addc_u32 s22, s7, s23
	s_add_u32 s0, s16, s0
	s_addc_u32 s1, s17, s1
	s_lshl_b64 s[16:17], s[20:21], 3
	s_load_dwordx2 s[6:7], s[0:1], 0x0
	v_cmp_gt_i32_e64 s0, s8, v12
	v_add3_u32 v11, v11, v22, v21
	v_lshlrev_b64 v[12:13], 3, v[12:13]
	v_mov_b32_e32 v6, 0
	v_lshlrev_b32_e32 v17, 3, v0
	v_lshl_add_u32 v18, v1, 6, 0x800
	v_lshlrev_b64 v[10:11], 3, v[10:11]
	v_mov_b32_e32 v3, 0
	v_mov_b32_e32 v5, 0
	;; [unrolled: 1-line block ×4, first 2 shown]
	v_lshl_or_b32 v20, v19, 8, v20
	v_add_co_u32 v22, vcc_lo, s15, v10
	v_add_co_ci_u32_e64 v23, null, s22, v11, vcc_lo
	v_cmp_gt_i32_e64 s1, s8, v15
	v_add_nc_u32_e32 v21, 0x800, v14
	v_mov_b32_e32 v11, 0
	s_waitcnt lgkmcnt(0)
	s_add_u32 s6, s6, s16
	s_addc_u32 s7, s7, s17
	v_add_co_u32 v24, vcc_lo, s6, v12
	v_add_co_ci_u32_e64 v25, null, s7, v13, vcc_lo
	s_mov_b64 s[6:7], 0
	s_branch .LBB468_6
.LBB468_5:                              ;   in Loop: Header=BB468_6 Depth=1
	s_or_b32 exec_lo, exec_lo, s15
	s_waitcnt vmcnt(0) lgkmcnt(0)
	ds_write_b64 v21, v[14:15]
	s_waitcnt lgkmcnt(0)
	s_barrier
	buffer_gl0_inv
	ds_read_b128 v[12:15], v18
	ds_read2_b64 v[26:29], v17 offset1:16
	ds_read_b128 v[30:33], v18 offset:1024
	ds_read_b128 v[34:37], v18 offset:16
	ds_read2_b64 v[38:41], v17 offset0:32 offset1:48
	ds_read_b128 v[42:45], v18 offset:1040
	s_add_u32 s6, s6, 8
	s_addc_u32 s7, s7, 0
	v_cmp_gt_i64_e64 s15, s[12:13], s[6:7]
	s_and_b32 vcc_lo, exec_lo, s15
	s_waitcnt lgkmcnt(4)
	v_fma_f64 v[8:9], v[26:27], v[12:13], v[8:9]
	v_fma_f64 v[6:7], v[28:29], v[12:13], v[6:7]
	s_waitcnt lgkmcnt(3)
	v_fma_f64 v[12:13], v[26:27], v[30:31], v[4:5]
	v_fma_f64 v[26:27], v[28:29], v[30:31], v[2:3]
	ds_read2_b64 v[2:5], v17 offset0:64 offset1:80
	s_waitcnt lgkmcnt(2)
	v_fma_f64 v[28:29], v[38:39], v[14:15], v[8:9]
	v_fma_f64 v[14:15], v[40:41], v[14:15], v[6:7]
	;; [unrolled: 1-line block ×4, first 2 shown]
	ds_read2_b64 v[6:9], v17 offset0:96 offset1:112
	s_waitcnt lgkmcnt(1)
	v_fma_f64 v[28:29], v[2:3], v[34:35], v[28:29]
	v_fma_f64 v[30:31], v[4:5], v[34:35], v[14:15]
	;; [unrolled: 1-line block ×4, first 2 shown]
	ds_read_b128 v[2:5], v18 offset:32
	ds_read2_b64 v[12:15], v17 offset0:128 offset1:144
	s_waitcnt lgkmcnt(2)
	v_fma_f64 v[38:39], v[6:7], v[36:37], v[28:29]
	v_fma_f64 v[40:41], v[8:9], v[36:37], v[30:31]
	;; [unrolled: 1-line block ×4, first 2 shown]
	ds_read_b128 v[6:9], v18 offset:1056
	ds_read_b128 v[26:29], v18 offset:48
	ds_read2_b64 v[30:33], v17 offset0:160 offset1:176
	ds_read_b128 v[34:37], v18 offset:1072
	s_waitcnt lgkmcnt(4)
	v_fma_f64 v[38:39], v[12:13], v[2:3], v[38:39]
	v_fma_f64 v[2:3], v[14:15], v[2:3], v[40:41]
	s_waitcnt lgkmcnt(3)
	v_fma_f64 v[40:41], v[12:13], v[6:7], v[42:43]
	v_fma_f64 v[6:7], v[14:15], v[6:7], v[44:45]
	ds_read2_b64 v[12:15], v17 offset0:192 offset1:208
	s_waitcnt lgkmcnt(2)
	v_fma_f64 v[38:39], v[30:31], v[4:5], v[38:39]
	v_fma_f64 v[2:3], v[32:33], v[4:5], v[2:3]
	v_fma_f64 v[4:5], v[30:31], v[8:9], v[40:41]
	v_fma_f64 v[6:7], v[32:33], v[8:9], v[6:7]
	ds_read2_b64 v[30:33], v17 offset0:224 offset1:240
	s_waitcnt lgkmcnt(0)
	s_barrier
	buffer_gl0_inv
	v_fma_f64 v[8:9], v[12:13], v[26:27], v[38:39]
	v_fma_f64 v[2:3], v[14:15], v[26:27], v[2:3]
	;; [unrolled: 1-line block ×8, first 2 shown]
	s_cbranch_vccz .LBB468_12
.LBB468_6:                              ; =>This Inner Loop Header: Depth=1
	v_mov_b32_e32 v12, 0
	v_mov_b32_e32 v13, 0
	s_and_saveexec_b32 s15, s0
	s_cbranch_execz .LBB468_10
; %bb.7:                                ;   in Loop: Header=BB468_6 Depth=1
	v_mov_b32_e32 v12, 0
	v_add_nc_u32_e32 v10, s6, v19
	v_mov_b32_e32 v13, 0
	s_mov_b32 s16, exec_lo
	v_cmpx_gt_u64_e64 s[12:13], v[10:11]
	s_cbranch_execz .LBB468_9
; %bb.8:                                ;   in Loop: Header=BB468_6 Depth=1
	v_mad_u64_u32 v[12:13], null, s18, v10, 0
	v_mad_u64_u32 v[13:14], null, s19, v10, v[13:14]
	v_lshlrev_b64 v[12:13], 3, v[12:13]
	v_add_co_u32 v12, vcc_lo, v24, v12
	v_add_co_ci_u32_e64 v13, null, v25, v13, vcc_lo
	flat_load_dwordx2 v[12:13], v[12:13]
.LBB468_9:                              ;   in Loop: Header=BB468_6 Depth=1
	s_or_b32 exec_lo, exec_lo, s16
.LBB468_10:                             ;   in Loop: Header=BB468_6 Depth=1
	s_or_b32 exec_lo, exec_lo, s15
	v_add_nc_u32_e32 v10, s6, v16
	v_mov_b32_e32 v14, 0
	v_mov_b32_e32 v15, 0
	s_waitcnt vmcnt(0) lgkmcnt(0)
	ds_write_b64 v20, v[12:13]
	v_cmp_gt_u64_e32 vcc_lo, s[12:13], v[10:11]
	s_and_b32 s16, vcc_lo, s1
	s_and_saveexec_b32 s15, s16
	s_cbranch_execz .LBB468_5
; %bb.11:                               ;   in Loop: Header=BB468_6 Depth=1
	v_lshlrev_b64 v[12:13], 3, v[10:11]
	v_add_co_u32 v12, vcc_lo, v22, v12
	v_add_co_ci_u32_e64 v13, null, v23, v13, vcc_lo
	flat_load_dwordx2 v[14:15], v[12:13]
	s_branch .LBB468_5
.LBB468_12:
	v_add_nc_u32_e32 v13, s14, v1
	v_cmp_neq_f64_e64 s6, s[2:3], 0
	v_add_nc_u32_e32 v0, s9, v0
	s_lshl_b64 s[0:1], s[42:43], 3
	s_waitcnt lgkmcnt(0)
	s_add_u32 s4, s4, s0
	v_ashrrev_i32_e32 v1, 31, v13
	v_mul_lo_u32 v12, s41, v13
	v_mad_u64_u32 v[10:11], null, s40, v13, 0
	s_addc_u32 s5, s5, s1
	v_mul_lo_u32 v1, s40, v1
	v_cmp_gt_i32_e64 s0, s8, v13
	v_cmp_le_i32_e32 vcc_lo, v0, v13
	s_and_b32 s7, s0, vcc_lo
	v_add3_u32 v11, v11, v1, v12
	v_ashrrev_i32_e32 v1, 31, v0
	v_cndmask_b32_e64 v12, 0, 1, s6
	v_lshlrev_b64 v[10:11], 3, v[10:11]
	v_add_co_u32 v14, s1, s4, v10
	v_add_co_ci_u32_e64 v15, null, s5, v11, s1
	s_and_saveexec_b32 s1, s7
	s_cbranch_execz .LBB468_16
; %bb.13:
	v_mul_f64 v[8:9], s[10:11], v[8:9]
	v_lshlrev_b64 v[10:11], 3, v[0:1]
	v_add_co_u32 v10, vcc_lo, v14, v10
	v_add_co_ci_u32_e64 v11, null, v15, v11, vcc_lo
	s_andn2_b32 vcc_lo, exec_lo, s6
	s_cbranch_vccnz .LBB468_15
; %bb.14:
	flat_load_dwordx2 v[16:17], v[10:11]
	s_waitcnt vmcnt(0) lgkmcnt(0)
	v_fma_f64 v[8:9], s[2:3], v[16:17], v[8:9]
.LBB468_15:
	flat_store_dwordx2 v[10:11], v[8:9]
.LBB468_16:
	s_or_b32 exec_lo, exec_lo, s1
	v_add_nc_u32_e32 v8, 16, v0
	v_cmp_le_i32_e32 vcc_lo, v8, v13
	v_ashrrev_i32_e32 v9, 31, v8
	s_and_b32 s0, s0, vcc_lo
	s_and_saveexec_b32 s1, s0
	s_cbranch_execz .LBB468_20
; %bb.17:
	v_mul_f64 v[6:7], s[10:11], v[6:7]
	v_lshlrev_b64 v[10:11], 3, v[8:9]
	v_cmp_ne_u32_e32 vcc_lo, 1, v12
	v_add_co_u32 v10, s0, v14, v10
	v_add_co_ci_u32_e64 v11, null, v15, v11, s0
	s_cbranch_vccnz .LBB468_19
; %bb.18:
	flat_load_dwordx2 v[14:15], v[10:11]
	s_waitcnt vmcnt(0) lgkmcnt(0)
	v_fma_f64 v[6:7], s[2:3], v[14:15], v[6:7]
.LBB468_19:
	flat_store_dwordx2 v[10:11], v[6:7]
.LBB468_20:
	s_or_b32 exec_lo, exec_lo, s1
	v_add_nc_u32_e32 v10, 16, v13
	v_ashrrev_i32_e32 v11, 31, v10
	v_mul_lo_u32 v13, s41, v10
	v_mad_u64_u32 v[6:7], null, s40, v10, 0
	v_cmp_gt_i32_e64 s0, s8, v10
	v_mul_lo_u32 v11, s40, v11
	v_cmp_le_i32_e32 vcc_lo, v0, v10
	v_add3_u32 v7, v7, v11, v13
	v_lshlrev_b64 v[6:7], 3, v[6:7]
	v_add_co_u32 v6, s1, s4, v6
	v_add_co_ci_u32_e64 v7, null, s5, v7, s1
	s_and_b32 s1, s0, vcc_lo
	s_and_saveexec_b32 s4, s1
	s_cbranch_execz .LBB468_24
; %bb.21:
	v_mul_f64 v[4:5], s[10:11], v[4:5]
	v_lshlrev_b64 v[0:1], 3, v[0:1]
	v_cmp_ne_u32_e32 vcc_lo, 1, v12
	v_add_co_u32 v0, s1, v6, v0
	v_add_co_ci_u32_e64 v1, null, v7, v1, s1
	s_cbranch_vccnz .LBB468_23
; %bb.22:
	flat_load_dwordx2 v[13:14], v[0:1]
	s_waitcnt vmcnt(0) lgkmcnt(0)
	v_fma_f64 v[4:5], s[2:3], v[13:14], v[4:5]
.LBB468_23:
	flat_store_dwordx2 v[0:1], v[4:5]
.LBB468_24:
	s_or_b32 exec_lo, exec_lo, s4
	v_cmp_le_i32_e32 vcc_lo, v8, v10
	s_and_b32 s0, s0, vcc_lo
	s_and_saveexec_b32 s1, s0
	s_cbranch_execz .LBB468_28
; %bb.25:
	v_mul_f64 v[0:1], s[10:11], v[2:3]
	v_lshlrev_b64 v[2:3], 3, v[8:9]
	v_cmp_ne_u32_e32 vcc_lo, 1, v12
	v_add_co_u32 v2, s0, v6, v2
	v_add_co_ci_u32_e64 v3, null, v7, v3, s0
	s_cbranch_vccnz .LBB468_27
; %bb.26:
	flat_load_dwordx2 v[4:5], v[2:3]
	s_waitcnt vmcnt(0) lgkmcnt(0)
	v_fma_f64 v[0:1], s[2:3], v[4:5], v[0:1]
.LBB468_27:
	flat_store_dwordx2 v[2:3], v[0:1]
.LBB468_28:
	s_endpgm
	.section	.rodata,"a",@progbits
	.p2align	6, 0x0
	.amdhsa_kernel _ZL29rocblas_internal_gemmt_kernelIlLi16ELi32ELi8ELc78ELc78ELc85ELb0ELb0EdPKdPKS1_PKPdEviT_T9_T10_S7_lS9_S7_lS8_T11_S7_li
		.amdhsa_group_segment_fixed_size 4096
		.amdhsa_private_segment_fixed_size 0
		.amdhsa_kernarg_size 108
		.amdhsa_user_sgpr_count 6
		.amdhsa_user_sgpr_private_segment_buffer 1
		.amdhsa_user_sgpr_dispatch_ptr 0
		.amdhsa_user_sgpr_queue_ptr 0
		.amdhsa_user_sgpr_kernarg_segment_ptr 1
		.amdhsa_user_sgpr_dispatch_id 0
		.amdhsa_user_sgpr_flat_scratch_init 0
		.amdhsa_user_sgpr_private_segment_size 0
		.amdhsa_wavefront_size32 1
		.amdhsa_uses_dynamic_stack 0
		.amdhsa_system_sgpr_private_segment_wavefront_offset 0
		.amdhsa_system_sgpr_workgroup_id_x 1
		.amdhsa_system_sgpr_workgroup_id_y 1
		.amdhsa_system_sgpr_workgroup_id_z 1
		.amdhsa_system_sgpr_workgroup_info 0
		.amdhsa_system_vgpr_workitem_id 1
		.amdhsa_next_free_vgpr 46
		.amdhsa_next_free_sgpr 44
		.amdhsa_reserve_vcc 1
		.amdhsa_reserve_flat_scratch 0
		.amdhsa_float_round_mode_32 0
		.amdhsa_float_round_mode_16_64 0
		.amdhsa_float_denorm_mode_32 3
		.amdhsa_float_denorm_mode_16_64 3
		.amdhsa_dx10_clamp 1
		.amdhsa_ieee_mode 1
		.amdhsa_fp16_overflow 0
		.amdhsa_workgroup_processor_mode 1
		.amdhsa_memory_ordered 1
		.amdhsa_forward_progress 1
		.amdhsa_shared_vgpr_count 0
		.amdhsa_exception_fp_ieee_invalid_op 0
		.amdhsa_exception_fp_denorm_src 0
		.amdhsa_exception_fp_ieee_div_zero 0
		.amdhsa_exception_fp_ieee_overflow 0
		.amdhsa_exception_fp_ieee_underflow 0
		.amdhsa_exception_fp_ieee_inexact 0
		.amdhsa_exception_int_div_zero 0
	.end_amdhsa_kernel
	.section	.text._ZL29rocblas_internal_gemmt_kernelIlLi16ELi32ELi8ELc78ELc78ELc85ELb0ELb0EdPKdPKS1_PKPdEviT_T9_T10_S7_lS9_S7_lS8_T11_S7_li,"axG",@progbits,_ZL29rocblas_internal_gemmt_kernelIlLi16ELi32ELi8ELc78ELc78ELc85ELb0ELb0EdPKdPKS1_PKPdEviT_T9_T10_S7_lS9_S7_lS8_T11_S7_li,comdat
.Lfunc_end468:
	.size	_ZL29rocblas_internal_gemmt_kernelIlLi16ELi32ELi8ELc78ELc78ELc85ELb0ELb0EdPKdPKS1_PKPdEviT_T9_T10_S7_lS9_S7_lS8_T11_S7_li, .Lfunc_end468-_ZL29rocblas_internal_gemmt_kernelIlLi16ELi32ELi8ELc78ELc78ELc85ELb0ELb0EdPKdPKS1_PKPdEviT_T9_T10_S7_lS9_S7_lS8_T11_S7_li
                                        ; -- End function
	.set _ZL29rocblas_internal_gemmt_kernelIlLi16ELi32ELi8ELc78ELc78ELc85ELb0ELb0EdPKdPKS1_PKPdEviT_T9_T10_S7_lS9_S7_lS8_T11_S7_li.num_vgpr, 46
	.set _ZL29rocblas_internal_gemmt_kernelIlLi16ELi32ELi8ELc78ELc78ELc85ELb0ELb0EdPKdPKS1_PKPdEviT_T9_T10_S7_lS9_S7_lS8_T11_S7_li.num_agpr, 0
	.set _ZL29rocblas_internal_gemmt_kernelIlLi16ELi32ELi8ELc78ELc78ELc85ELb0ELb0EdPKdPKS1_PKPdEviT_T9_T10_S7_lS9_S7_lS8_T11_S7_li.numbered_sgpr, 44
	.set _ZL29rocblas_internal_gemmt_kernelIlLi16ELi32ELi8ELc78ELc78ELc85ELb0ELb0EdPKdPKS1_PKPdEviT_T9_T10_S7_lS9_S7_lS8_T11_S7_li.num_named_barrier, 0
	.set _ZL29rocblas_internal_gemmt_kernelIlLi16ELi32ELi8ELc78ELc78ELc85ELb0ELb0EdPKdPKS1_PKPdEviT_T9_T10_S7_lS9_S7_lS8_T11_S7_li.private_seg_size, 0
	.set _ZL29rocblas_internal_gemmt_kernelIlLi16ELi32ELi8ELc78ELc78ELc85ELb0ELb0EdPKdPKS1_PKPdEviT_T9_T10_S7_lS9_S7_lS8_T11_S7_li.uses_vcc, 1
	.set _ZL29rocblas_internal_gemmt_kernelIlLi16ELi32ELi8ELc78ELc78ELc85ELb0ELb0EdPKdPKS1_PKPdEviT_T9_T10_S7_lS9_S7_lS8_T11_S7_li.uses_flat_scratch, 0
	.set _ZL29rocblas_internal_gemmt_kernelIlLi16ELi32ELi8ELc78ELc78ELc85ELb0ELb0EdPKdPKS1_PKPdEviT_T9_T10_S7_lS9_S7_lS8_T11_S7_li.has_dyn_sized_stack, 0
	.set _ZL29rocblas_internal_gemmt_kernelIlLi16ELi32ELi8ELc78ELc78ELc85ELb0ELb0EdPKdPKS1_PKPdEviT_T9_T10_S7_lS9_S7_lS8_T11_S7_li.has_recursion, 0
	.set _ZL29rocblas_internal_gemmt_kernelIlLi16ELi32ELi8ELc78ELc78ELc85ELb0ELb0EdPKdPKS1_PKPdEviT_T9_T10_S7_lS9_S7_lS8_T11_S7_li.has_indirect_call, 0
	.section	.AMDGPU.csdata,"",@progbits
; Kernel info:
; codeLenInByte = 1692
; TotalNumSgprs: 46
; NumVgprs: 46
; ScratchSize: 0
; MemoryBound: 0
; FloatMode: 240
; IeeeMode: 1
; LDSByteSize: 4096 bytes/workgroup (compile time only)
; SGPRBlocks: 0
; VGPRBlocks: 5
; NumSGPRsForWavesPerEU: 46
; NumVGPRsForWavesPerEU: 46
; Occupancy: 16
; WaveLimiterHint : 1
; COMPUTE_PGM_RSRC2:SCRATCH_EN: 0
; COMPUTE_PGM_RSRC2:USER_SGPR: 6
; COMPUTE_PGM_RSRC2:TRAP_HANDLER: 0
; COMPUTE_PGM_RSRC2:TGID_X_EN: 1
; COMPUTE_PGM_RSRC2:TGID_Y_EN: 1
; COMPUTE_PGM_RSRC2:TGID_Z_EN: 1
; COMPUTE_PGM_RSRC2:TIDIG_COMP_CNT: 1
	.section	.text._ZL29rocblas_internal_gemmt_kernelIlLi16ELi32ELi8ELc78ELc84ELc85ELb0ELb0EdPKdPKS1_PKPdEviT_T9_T10_S7_lS9_S7_lS8_T11_S7_li,"axG",@progbits,_ZL29rocblas_internal_gemmt_kernelIlLi16ELi32ELi8ELc78ELc84ELc85ELb0ELb0EdPKdPKS1_PKPdEviT_T9_T10_S7_lS9_S7_lS8_T11_S7_li,comdat
	.globl	_ZL29rocblas_internal_gemmt_kernelIlLi16ELi32ELi8ELc78ELc84ELc85ELb0ELb0EdPKdPKS1_PKPdEviT_T9_T10_S7_lS9_S7_lS8_T11_S7_li ; -- Begin function _ZL29rocblas_internal_gemmt_kernelIlLi16ELi32ELi8ELc78ELc84ELc85ELb0ELb0EdPKdPKS1_PKPdEviT_T9_T10_S7_lS9_S7_lS8_T11_S7_li
	.p2align	8
	.type	_ZL29rocblas_internal_gemmt_kernelIlLi16ELi32ELi8ELc78ELc84ELc85ELb0ELb0EdPKdPKS1_PKPdEviT_T9_T10_S7_lS9_S7_lS8_T11_S7_li,@function
_ZL29rocblas_internal_gemmt_kernelIlLi16ELi32ELi8ELc78ELc84ELc85ELb0ELb0EdPKdPKS1_PKPdEviT_T9_T10_S7_lS9_S7_lS8_T11_S7_li: ; @_ZL29rocblas_internal_gemmt_kernelIlLi16ELi32ELi8ELc78ELc84ELc85ELb0ELb0EdPKdPKS1_PKPdEviT_T9_T10_S7_lS9_S7_lS8_T11_S7_li
; %bb.0:
	s_load_dwordx8 s[36:43], s[4:5], 0x48
	s_waitcnt lgkmcnt(0)
	s_load_dwordx2 s[2:3], s[36:37], 0x0
	s_load_dwordx16 s[12:27], s[4:5], 0x8
	s_waitcnt lgkmcnt(0)
	v_cmp_neq_f64_e64 s0, s[2:3], 1.0
	s_load_dwordx2 s[10:11], s[14:15], 0x0
	s_and_b32 vcc_lo, exec_lo, s0
	s_cbranch_vccnz .LBB469_2
; %bb.1:
	s_waitcnt lgkmcnt(0)
	v_cmp_neq_f64_e64 s0, s[10:11], 0
	s_cmp_lg_u64 s[12:13], 0
	s_cselect_b32 s1, -1, 0
	s_and_b32 s0, s1, s0
.LBB469_2:
	s_andn2_b32 vcc_lo, exec_lo, s0
	s_cbranch_vccnz .LBB469_28
; %bb.3:
	s_waitcnt lgkmcnt(0)
	v_cmp_eq_f64_e64 s28, s[10:11], 0
	s_mov_b32 s9, 0
	v_mov_b32_e32 v8, 0
	s_lshl_b64 s[0:1], s[8:9], 3
	v_mov_b32_e32 v6, 0
	s_add_u32 s14, s38, s0
	s_addc_u32 s15, s39, s1
	s_load_dword s8, s[4:5], 0x0
	s_load_dwordx2 s[4:5], s[14:15], 0x0
	v_cmp_lt_i64_e64 s14, s[12:13], 1
	v_mov_b32_e32 v4, 0
	v_mov_b32_e32 v2, 0
	v_mov_b32_e32 v9, 0
	v_mov_b32_e32 v7, 0
	v_mov_b32_e32 v5, 0
	v_mov_b32_e32 v3, 0
	s_lshl_b32 s9, s6, 5
	s_or_b32 s6, s28, s14
	s_lshl_b32 s14, s7, 5
	s_and_b32 vcc_lo, exec_lo, s6
	s_cbranch_vccnz .LBB469_12
; %bb.4:
	s_add_u32 s6, s22, s0
	s_addc_u32 s7, s23, s1
	s_lshl_b64 s[22:23], s[26:27], 3
	s_load_dwordx2 s[6:7], s[6:7], 0x0
	v_lshl_add_u32 v11, v1, 4, v0
	v_and_b32_e32 v16, 7, v0
	v_mov_b32_e32 v2, 0
	v_mov_b32_e32 v4, 0
	v_mov_b32_e32 v6, 0
	v_lshrrev_b32_e32 v13, 3, v11
	v_and_b32_e32 v14, 31, v11
	v_lshlrev_b32_e32 v15, 3, v16
	v_lshrrev_b32_e32 v19, 5, v11
	v_mov_b32_e32 v8, 0
	v_add_nc_u32_e32 v10, s14, v13
	v_or_b32_e32 v12, s9, v14
	v_lshlrev_b32_e32 v14, 3, v14
	v_lshl_or_b32 v21, v13, 6, v15
	v_lshlrev_b32_e32 v17, 3, v0
	v_ashrrev_i32_e32 v11, 31, v10
	v_ashrrev_i32_e32 v13, 31, v12
	v_lshl_or_b32 v20, v19, 8, v14
	v_lshl_add_u32 v18, v1, 6, 0x800
	s_waitcnt lgkmcnt(0)
	s_add_u32 s15, s6, s22
	s_addc_u32 s22, s7, s23
	s_add_u32 s0, s16, s0
	s_addc_u32 s1, s17, s1
	v_lshlrev_b64 v[14:15], 3, v[10:11]
	s_load_dwordx2 s[6:7], s[0:1], 0x0
	v_cmp_gt_i32_e64 s1, s8, v10
	v_lshlrev_b64 v[10:11], 3, v[12:13]
	s_lshl_b64 s[16:17], s[20:21], 3
	v_mov_b32_e32 v3, 0
	v_add_co_u32 v22, vcc_lo, s15, v14
	v_add_co_ci_u32_e64 v23, null, s22, v15, vcc_lo
	v_mov_b32_e32 v5, 0
	v_mov_b32_e32 v7, 0
	;; [unrolled: 1-line block ×3, first 2 shown]
	v_cmp_gt_i32_e64 s0, s8, v12
	v_add_nc_u32_e32 v21, 0x800, v21
	s_waitcnt lgkmcnt(0)
	s_add_u32 s6, s6, s16
	s_addc_u32 s7, s7, s17
	v_add_co_u32 v24, vcc_lo, s6, v10
	v_add_co_ci_u32_e64 v25, null, s7, v11, vcc_lo
	v_mov_b32_e32 v11, 0
	s_mov_b64 s[6:7], 0
	s_branch .LBB469_6
.LBB469_5:                              ;   in Loop: Header=BB469_6 Depth=1
	s_or_b32 exec_lo, exec_lo, s15
	s_waitcnt vmcnt(0) lgkmcnt(0)
	ds_write_b64 v21, v[14:15]
	s_waitcnt lgkmcnt(0)
	s_barrier
	buffer_gl0_inv
	ds_read_b128 v[12:15], v18
	ds_read2_b64 v[26:29], v17 offset1:16
	ds_read_b128 v[30:33], v18 offset:1024
	ds_read_b128 v[34:37], v18 offset:16
	ds_read2_b64 v[38:41], v17 offset0:32 offset1:48
	ds_read_b128 v[42:45], v18 offset:1040
	s_add_u32 s6, s6, 8
	s_addc_u32 s7, s7, 0
	v_cmp_gt_i64_e64 s15, s[12:13], s[6:7]
	s_and_b32 vcc_lo, exec_lo, s15
	s_waitcnt lgkmcnt(4)
	v_fma_f64 v[8:9], v[26:27], v[12:13], v[8:9]
	v_fma_f64 v[6:7], v[28:29], v[12:13], v[6:7]
	s_waitcnt lgkmcnt(3)
	v_fma_f64 v[12:13], v[26:27], v[30:31], v[4:5]
	v_fma_f64 v[26:27], v[28:29], v[30:31], v[2:3]
	ds_read2_b64 v[2:5], v17 offset0:64 offset1:80
	s_waitcnt lgkmcnt(2)
	v_fma_f64 v[28:29], v[38:39], v[14:15], v[8:9]
	v_fma_f64 v[14:15], v[40:41], v[14:15], v[6:7]
	v_fma_f64 v[12:13], v[38:39], v[32:33], v[12:13]
	v_fma_f64 v[26:27], v[40:41], v[32:33], v[26:27]
	ds_read2_b64 v[6:9], v17 offset0:96 offset1:112
	s_waitcnt lgkmcnt(1)
	v_fma_f64 v[28:29], v[2:3], v[34:35], v[28:29]
	v_fma_f64 v[30:31], v[4:5], v[34:35], v[14:15]
	;; [unrolled: 1-line block ×4, first 2 shown]
	ds_read_b128 v[2:5], v18 offset:32
	ds_read2_b64 v[12:15], v17 offset0:128 offset1:144
	s_waitcnt lgkmcnt(2)
	v_fma_f64 v[38:39], v[6:7], v[36:37], v[28:29]
	v_fma_f64 v[40:41], v[8:9], v[36:37], v[30:31]
	;; [unrolled: 1-line block ×4, first 2 shown]
	ds_read_b128 v[6:9], v18 offset:1056
	ds_read_b128 v[26:29], v18 offset:48
	ds_read2_b64 v[30:33], v17 offset0:160 offset1:176
	ds_read_b128 v[34:37], v18 offset:1072
	s_waitcnt lgkmcnt(4)
	v_fma_f64 v[38:39], v[12:13], v[2:3], v[38:39]
	v_fma_f64 v[2:3], v[14:15], v[2:3], v[40:41]
	s_waitcnt lgkmcnt(3)
	v_fma_f64 v[40:41], v[12:13], v[6:7], v[42:43]
	v_fma_f64 v[6:7], v[14:15], v[6:7], v[44:45]
	ds_read2_b64 v[12:15], v17 offset0:192 offset1:208
	s_waitcnt lgkmcnt(2)
	v_fma_f64 v[38:39], v[30:31], v[4:5], v[38:39]
	v_fma_f64 v[2:3], v[32:33], v[4:5], v[2:3]
	;; [unrolled: 1-line block ×4, first 2 shown]
	ds_read2_b64 v[30:33], v17 offset0:224 offset1:240
	s_waitcnt lgkmcnt(0)
	s_barrier
	buffer_gl0_inv
	v_fma_f64 v[8:9], v[12:13], v[26:27], v[38:39]
	v_fma_f64 v[2:3], v[14:15], v[26:27], v[2:3]
	;; [unrolled: 1-line block ×8, first 2 shown]
	s_cbranch_vccz .LBB469_12
.LBB469_6:                              ; =>This Inner Loop Header: Depth=1
	v_mov_b32_e32 v12, 0
	v_mov_b32_e32 v13, 0
	s_and_saveexec_b32 s15, s0
	s_cbranch_execz .LBB469_10
; %bb.7:                                ;   in Loop: Header=BB469_6 Depth=1
	v_mov_b32_e32 v12, 0
	v_add_nc_u32_e32 v10, s6, v19
	v_mov_b32_e32 v13, 0
	s_mov_b32 s16, exec_lo
	v_cmpx_gt_u64_e64 s[12:13], v[10:11]
	s_cbranch_execz .LBB469_9
; %bb.8:                                ;   in Loop: Header=BB469_6 Depth=1
	v_mad_u64_u32 v[12:13], null, s18, v10, 0
	v_mad_u64_u32 v[13:14], null, s19, v10, v[13:14]
	v_lshlrev_b64 v[12:13], 3, v[12:13]
	v_add_co_u32 v12, vcc_lo, v24, v12
	v_add_co_ci_u32_e64 v13, null, v25, v13, vcc_lo
	flat_load_dwordx2 v[12:13], v[12:13]
.LBB469_9:                              ;   in Loop: Header=BB469_6 Depth=1
	s_or_b32 exec_lo, exec_lo, s16
.LBB469_10:                             ;   in Loop: Header=BB469_6 Depth=1
	s_or_b32 exec_lo, exec_lo, s15
	v_add_nc_u32_e32 v10, s6, v16
	v_mov_b32_e32 v14, 0
	v_mov_b32_e32 v15, 0
	s_waitcnt vmcnt(0) lgkmcnt(0)
	ds_write_b64 v20, v[12:13]
	v_cmp_gt_u64_e32 vcc_lo, s[12:13], v[10:11]
	s_and_b32 s16, vcc_lo, s1
	s_and_saveexec_b32 s15, s16
	s_cbranch_execz .LBB469_5
; %bb.11:                               ;   in Loop: Header=BB469_6 Depth=1
	v_mad_u64_u32 v[12:13], null, s24, v10, 0
	v_mad_u64_u32 v[13:14], null, s25, v10, v[13:14]
	v_lshlrev_b64 v[12:13], 3, v[12:13]
	v_add_co_u32 v12, vcc_lo, v22, v12
	v_add_co_ci_u32_e64 v13, null, v23, v13, vcc_lo
	flat_load_dwordx2 v[14:15], v[12:13]
	s_branch .LBB469_5
.LBB469_12:
	v_add_nc_u32_e32 v13, s14, v1
	v_cmp_neq_f64_e64 s6, s[2:3], 0
	v_add_nc_u32_e32 v0, s9, v0
	s_lshl_b64 s[0:1], s[42:43], 3
	s_waitcnt lgkmcnt(0)
	s_add_u32 s4, s4, s0
	v_ashrrev_i32_e32 v1, 31, v13
	v_mul_lo_u32 v12, s41, v13
	v_mad_u64_u32 v[10:11], null, s40, v13, 0
	s_addc_u32 s5, s5, s1
	v_mul_lo_u32 v1, s40, v1
	v_cmp_gt_i32_e64 s0, s8, v13
	v_cmp_le_i32_e32 vcc_lo, v0, v13
	s_and_b32 s7, s0, vcc_lo
	v_add3_u32 v11, v11, v1, v12
	v_ashrrev_i32_e32 v1, 31, v0
	v_cndmask_b32_e64 v12, 0, 1, s6
	v_lshlrev_b64 v[10:11], 3, v[10:11]
	v_add_co_u32 v14, s1, s4, v10
	v_add_co_ci_u32_e64 v15, null, s5, v11, s1
	s_and_saveexec_b32 s1, s7
	s_cbranch_execz .LBB469_16
; %bb.13:
	v_mul_f64 v[8:9], s[10:11], v[8:9]
	v_lshlrev_b64 v[10:11], 3, v[0:1]
	v_add_co_u32 v10, vcc_lo, v14, v10
	v_add_co_ci_u32_e64 v11, null, v15, v11, vcc_lo
	s_andn2_b32 vcc_lo, exec_lo, s6
	s_cbranch_vccnz .LBB469_15
; %bb.14:
	flat_load_dwordx2 v[16:17], v[10:11]
	s_waitcnt vmcnt(0) lgkmcnt(0)
	v_fma_f64 v[8:9], s[2:3], v[16:17], v[8:9]
.LBB469_15:
	flat_store_dwordx2 v[10:11], v[8:9]
.LBB469_16:
	s_or_b32 exec_lo, exec_lo, s1
	v_add_nc_u32_e32 v8, 16, v0
	v_cmp_le_i32_e32 vcc_lo, v8, v13
	v_ashrrev_i32_e32 v9, 31, v8
	s_and_b32 s0, s0, vcc_lo
	s_and_saveexec_b32 s1, s0
	s_cbranch_execz .LBB469_20
; %bb.17:
	v_mul_f64 v[6:7], s[10:11], v[6:7]
	v_lshlrev_b64 v[10:11], 3, v[8:9]
	v_cmp_ne_u32_e32 vcc_lo, 1, v12
	v_add_co_u32 v10, s0, v14, v10
	v_add_co_ci_u32_e64 v11, null, v15, v11, s0
	s_cbranch_vccnz .LBB469_19
; %bb.18:
	flat_load_dwordx2 v[14:15], v[10:11]
	s_waitcnt vmcnt(0) lgkmcnt(0)
	v_fma_f64 v[6:7], s[2:3], v[14:15], v[6:7]
.LBB469_19:
	flat_store_dwordx2 v[10:11], v[6:7]
.LBB469_20:
	s_or_b32 exec_lo, exec_lo, s1
	v_add_nc_u32_e32 v10, 16, v13
	v_ashrrev_i32_e32 v11, 31, v10
	v_mul_lo_u32 v13, s41, v10
	v_mad_u64_u32 v[6:7], null, s40, v10, 0
	v_cmp_gt_i32_e64 s0, s8, v10
	v_mul_lo_u32 v11, s40, v11
	v_cmp_le_i32_e32 vcc_lo, v0, v10
	v_add3_u32 v7, v7, v11, v13
	v_lshlrev_b64 v[6:7], 3, v[6:7]
	v_add_co_u32 v6, s1, s4, v6
	v_add_co_ci_u32_e64 v7, null, s5, v7, s1
	s_and_b32 s1, s0, vcc_lo
	s_and_saveexec_b32 s4, s1
	s_cbranch_execz .LBB469_24
; %bb.21:
	v_mul_f64 v[4:5], s[10:11], v[4:5]
	v_lshlrev_b64 v[0:1], 3, v[0:1]
	v_cmp_ne_u32_e32 vcc_lo, 1, v12
	v_add_co_u32 v0, s1, v6, v0
	v_add_co_ci_u32_e64 v1, null, v7, v1, s1
	s_cbranch_vccnz .LBB469_23
; %bb.22:
	flat_load_dwordx2 v[13:14], v[0:1]
	s_waitcnt vmcnt(0) lgkmcnt(0)
	v_fma_f64 v[4:5], s[2:3], v[13:14], v[4:5]
.LBB469_23:
	flat_store_dwordx2 v[0:1], v[4:5]
.LBB469_24:
	s_or_b32 exec_lo, exec_lo, s4
	v_cmp_le_i32_e32 vcc_lo, v8, v10
	s_and_b32 s0, s0, vcc_lo
	s_and_saveexec_b32 s1, s0
	s_cbranch_execz .LBB469_28
; %bb.25:
	v_mul_f64 v[0:1], s[10:11], v[2:3]
	v_lshlrev_b64 v[2:3], 3, v[8:9]
	v_cmp_ne_u32_e32 vcc_lo, 1, v12
	v_add_co_u32 v2, s0, v6, v2
	v_add_co_ci_u32_e64 v3, null, v7, v3, s0
	s_cbranch_vccnz .LBB469_27
; %bb.26:
	flat_load_dwordx2 v[4:5], v[2:3]
	s_waitcnt vmcnt(0) lgkmcnt(0)
	v_fma_f64 v[0:1], s[2:3], v[4:5], v[0:1]
.LBB469_27:
	flat_store_dwordx2 v[2:3], v[0:1]
.LBB469_28:
	s_endpgm
	.section	.rodata,"a",@progbits
	.p2align	6, 0x0
	.amdhsa_kernel _ZL29rocblas_internal_gemmt_kernelIlLi16ELi32ELi8ELc78ELc84ELc85ELb0ELb0EdPKdPKS1_PKPdEviT_T9_T10_S7_lS9_S7_lS8_T11_S7_li
		.amdhsa_group_segment_fixed_size 4096
		.amdhsa_private_segment_fixed_size 0
		.amdhsa_kernarg_size 108
		.amdhsa_user_sgpr_count 6
		.amdhsa_user_sgpr_private_segment_buffer 1
		.amdhsa_user_sgpr_dispatch_ptr 0
		.amdhsa_user_sgpr_queue_ptr 0
		.amdhsa_user_sgpr_kernarg_segment_ptr 1
		.amdhsa_user_sgpr_dispatch_id 0
		.amdhsa_user_sgpr_flat_scratch_init 0
		.amdhsa_user_sgpr_private_segment_size 0
		.amdhsa_wavefront_size32 1
		.amdhsa_uses_dynamic_stack 0
		.amdhsa_system_sgpr_private_segment_wavefront_offset 0
		.amdhsa_system_sgpr_workgroup_id_x 1
		.amdhsa_system_sgpr_workgroup_id_y 1
		.amdhsa_system_sgpr_workgroup_id_z 1
		.amdhsa_system_sgpr_workgroup_info 0
		.amdhsa_system_vgpr_workitem_id 1
		.amdhsa_next_free_vgpr 46
		.amdhsa_next_free_sgpr 44
		.amdhsa_reserve_vcc 1
		.amdhsa_reserve_flat_scratch 0
		.amdhsa_float_round_mode_32 0
		.amdhsa_float_round_mode_16_64 0
		.amdhsa_float_denorm_mode_32 3
		.amdhsa_float_denorm_mode_16_64 3
		.amdhsa_dx10_clamp 1
		.amdhsa_ieee_mode 1
		.amdhsa_fp16_overflow 0
		.amdhsa_workgroup_processor_mode 1
		.amdhsa_memory_ordered 1
		.amdhsa_forward_progress 1
		.amdhsa_shared_vgpr_count 0
		.amdhsa_exception_fp_ieee_invalid_op 0
		.amdhsa_exception_fp_denorm_src 0
		.amdhsa_exception_fp_ieee_div_zero 0
		.amdhsa_exception_fp_ieee_overflow 0
		.amdhsa_exception_fp_ieee_underflow 0
		.amdhsa_exception_fp_ieee_inexact 0
		.amdhsa_exception_int_div_zero 0
	.end_amdhsa_kernel
	.section	.text._ZL29rocblas_internal_gemmt_kernelIlLi16ELi32ELi8ELc78ELc84ELc85ELb0ELb0EdPKdPKS1_PKPdEviT_T9_T10_S7_lS9_S7_lS8_T11_S7_li,"axG",@progbits,_ZL29rocblas_internal_gemmt_kernelIlLi16ELi32ELi8ELc78ELc84ELc85ELb0ELb0EdPKdPKS1_PKPdEviT_T9_T10_S7_lS9_S7_lS8_T11_S7_li,comdat
.Lfunc_end469:
	.size	_ZL29rocblas_internal_gemmt_kernelIlLi16ELi32ELi8ELc78ELc84ELc85ELb0ELb0EdPKdPKS1_PKPdEviT_T9_T10_S7_lS9_S7_lS8_T11_S7_li, .Lfunc_end469-_ZL29rocblas_internal_gemmt_kernelIlLi16ELi32ELi8ELc78ELc84ELc85ELb0ELb0EdPKdPKS1_PKPdEviT_T9_T10_S7_lS9_S7_lS8_T11_S7_li
                                        ; -- End function
	.set _ZL29rocblas_internal_gemmt_kernelIlLi16ELi32ELi8ELc78ELc84ELc85ELb0ELb0EdPKdPKS1_PKPdEviT_T9_T10_S7_lS9_S7_lS8_T11_S7_li.num_vgpr, 46
	.set _ZL29rocblas_internal_gemmt_kernelIlLi16ELi32ELi8ELc78ELc84ELc85ELb0ELb0EdPKdPKS1_PKPdEviT_T9_T10_S7_lS9_S7_lS8_T11_S7_li.num_agpr, 0
	.set _ZL29rocblas_internal_gemmt_kernelIlLi16ELi32ELi8ELc78ELc84ELc85ELb0ELb0EdPKdPKS1_PKPdEviT_T9_T10_S7_lS9_S7_lS8_T11_S7_li.numbered_sgpr, 44
	.set _ZL29rocblas_internal_gemmt_kernelIlLi16ELi32ELi8ELc78ELc84ELc85ELb0ELb0EdPKdPKS1_PKPdEviT_T9_T10_S7_lS9_S7_lS8_T11_S7_li.num_named_barrier, 0
	.set _ZL29rocblas_internal_gemmt_kernelIlLi16ELi32ELi8ELc78ELc84ELc85ELb0ELb0EdPKdPKS1_PKPdEviT_T9_T10_S7_lS9_S7_lS8_T11_S7_li.private_seg_size, 0
	.set _ZL29rocblas_internal_gemmt_kernelIlLi16ELi32ELi8ELc78ELc84ELc85ELb0ELb0EdPKdPKS1_PKPdEviT_T9_T10_S7_lS9_S7_lS8_T11_S7_li.uses_vcc, 1
	.set _ZL29rocblas_internal_gemmt_kernelIlLi16ELi32ELi8ELc78ELc84ELc85ELb0ELb0EdPKdPKS1_PKPdEviT_T9_T10_S7_lS9_S7_lS8_T11_S7_li.uses_flat_scratch, 0
	.set _ZL29rocblas_internal_gemmt_kernelIlLi16ELi32ELi8ELc78ELc84ELc85ELb0ELb0EdPKdPKS1_PKPdEviT_T9_T10_S7_lS9_S7_lS8_T11_S7_li.has_dyn_sized_stack, 0
	.set _ZL29rocblas_internal_gemmt_kernelIlLi16ELi32ELi8ELc78ELc84ELc85ELb0ELb0EdPKdPKS1_PKPdEviT_T9_T10_S7_lS9_S7_lS8_T11_S7_li.has_recursion, 0
	.set _ZL29rocblas_internal_gemmt_kernelIlLi16ELi32ELi8ELc78ELc84ELc85ELb0ELb0EdPKdPKS1_PKPdEviT_T9_T10_S7_lS9_S7_lS8_T11_S7_li.has_indirect_call, 0
	.section	.AMDGPU.csdata,"",@progbits
; Kernel info:
; codeLenInByte = 1676
; TotalNumSgprs: 46
; NumVgprs: 46
; ScratchSize: 0
; MemoryBound: 0
; FloatMode: 240
; IeeeMode: 1
; LDSByteSize: 4096 bytes/workgroup (compile time only)
; SGPRBlocks: 0
; VGPRBlocks: 5
; NumSGPRsForWavesPerEU: 46
; NumVGPRsForWavesPerEU: 46
; Occupancy: 16
; WaveLimiterHint : 1
; COMPUTE_PGM_RSRC2:SCRATCH_EN: 0
; COMPUTE_PGM_RSRC2:USER_SGPR: 6
; COMPUTE_PGM_RSRC2:TRAP_HANDLER: 0
; COMPUTE_PGM_RSRC2:TGID_X_EN: 1
; COMPUTE_PGM_RSRC2:TGID_Y_EN: 1
; COMPUTE_PGM_RSRC2:TGID_Z_EN: 1
; COMPUTE_PGM_RSRC2:TIDIG_COMP_CNT: 1
	.section	.text._ZL29rocblas_internal_gemmt_kernelIlLi16ELi32ELi8ELc78ELc67ELc85ELb0ELb0EdPKdPKS1_PKPdEviT_T9_T10_S7_lS9_S7_lS8_T11_S7_li,"axG",@progbits,_ZL29rocblas_internal_gemmt_kernelIlLi16ELi32ELi8ELc78ELc67ELc85ELb0ELb0EdPKdPKS1_PKPdEviT_T9_T10_S7_lS9_S7_lS8_T11_S7_li,comdat
	.globl	_ZL29rocblas_internal_gemmt_kernelIlLi16ELi32ELi8ELc78ELc67ELc85ELb0ELb0EdPKdPKS1_PKPdEviT_T9_T10_S7_lS9_S7_lS8_T11_S7_li ; -- Begin function _ZL29rocblas_internal_gemmt_kernelIlLi16ELi32ELi8ELc78ELc67ELc85ELb0ELb0EdPKdPKS1_PKPdEviT_T9_T10_S7_lS9_S7_lS8_T11_S7_li
	.p2align	8
	.type	_ZL29rocblas_internal_gemmt_kernelIlLi16ELi32ELi8ELc78ELc67ELc85ELb0ELb0EdPKdPKS1_PKPdEviT_T9_T10_S7_lS9_S7_lS8_T11_S7_li,@function
_ZL29rocblas_internal_gemmt_kernelIlLi16ELi32ELi8ELc78ELc67ELc85ELb0ELb0EdPKdPKS1_PKPdEviT_T9_T10_S7_lS9_S7_lS8_T11_S7_li: ; @_ZL29rocblas_internal_gemmt_kernelIlLi16ELi32ELi8ELc78ELc67ELc85ELb0ELb0EdPKdPKS1_PKPdEviT_T9_T10_S7_lS9_S7_lS8_T11_S7_li
; %bb.0:
	s_load_dwordx8 s[36:43], s[4:5], 0x48
	s_waitcnt lgkmcnt(0)
	s_load_dwordx2 s[2:3], s[36:37], 0x0
	s_load_dwordx16 s[12:27], s[4:5], 0x8
	s_waitcnt lgkmcnt(0)
	v_cmp_neq_f64_e64 s0, s[2:3], 1.0
	s_load_dwordx2 s[10:11], s[14:15], 0x0
	s_and_b32 vcc_lo, exec_lo, s0
	s_cbranch_vccnz .LBB470_2
; %bb.1:
	s_waitcnt lgkmcnt(0)
	v_cmp_neq_f64_e64 s0, s[10:11], 0
	s_cmp_lg_u64 s[12:13], 0
	s_cselect_b32 s1, -1, 0
	s_and_b32 s0, s1, s0
.LBB470_2:
	s_andn2_b32 vcc_lo, exec_lo, s0
	s_cbranch_vccnz .LBB470_28
; %bb.3:
	s_waitcnt lgkmcnt(0)
	v_cmp_eq_f64_e64 s28, s[10:11], 0
	s_mov_b32 s9, 0
	v_mov_b32_e32 v8, 0
	s_lshl_b64 s[0:1], s[8:9], 3
	v_mov_b32_e32 v6, 0
	s_add_u32 s14, s38, s0
	s_addc_u32 s15, s39, s1
	s_load_dword s8, s[4:5], 0x0
	s_load_dwordx2 s[4:5], s[14:15], 0x0
	v_cmp_lt_i64_e64 s14, s[12:13], 1
	v_mov_b32_e32 v4, 0
	v_mov_b32_e32 v2, 0
	;; [unrolled: 1-line block ×6, first 2 shown]
	s_lshl_b32 s9, s6, 5
	s_or_b32 s6, s28, s14
	s_lshl_b32 s14, s7, 5
	s_and_b32 vcc_lo, exec_lo, s6
	s_cbranch_vccnz .LBB470_12
; %bb.4:
	s_add_u32 s6, s22, s0
	s_addc_u32 s7, s23, s1
	s_lshl_b64 s[22:23], s[26:27], 3
	s_load_dwordx2 s[6:7], s[6:7], 0x0
	v_lshl_add_u32 v11, v1, 4, v0
	v_and_b32_e32 v16, 7, v0
	v_mov_b32_e32 v2, 0
	v_mov_b32_e32 v4, 0
	;; [unrolled: 1-line block ×3, first 2 shown]
	v_lshrrev_b32_e32 v13, 3, v11
	v_and_b32_e32 v14, 31, v11
	v_lshlrev_b32_e32 v15, 3, v16
	v_lshrrev_b32_e32 v19, 5, v11
	v_mov_b32_e32 v8, 0
	v_add_nc_u32_e32 v10, s14, v13
	v_or_b32_e32 v12, s9, v14
	v_lshlrev_b32_e32 v14, 3, v14
	v_lshl_or_b32 v21, v13, 6, v15
	v_lshlrev_b32_e32 v17, 3, v0
	v_ashrrev_i32_e32 v11, 31, v10
	v_ashrrev_i32_e32 v13, 31, v12
	v_lshl_or_b32 v20, v19, 8, v14
	v_lshl_add_u32 v18, v1, 6, 0x800
	s_waitcnt lgkmcnt(0)
	s_add_u32 s15, s6, s22
	s_addc_u32 s22, s7, s23
	s_add_u32 s0, s16, s0
	s_addc_u32 s1, s17, s1
	v_lshlrev_b64 v[14:15], 3, v[10:11]
	s_load_dwordx2 s[6:7], s[0:1], 0x0
	v_cmp_gt_i32_e64 s1, s8, v10
	v_lshlrev_b64 v[10:11], 3, v[12:13]
	s_lshl_b64 s[16:17], s[20:21], 3
	v_mov_b32_e32 v3, 0
	v_add_co_u32 v22, vcc_lo, s15, v14
	v_add_co_ci_u32_e64 v23, null, s22, v15, vcc_lo
	v_mov_b32_e32 v5, 0
	v_mov_b32_e32 v7, 0
	v_mov_b32_e32 v9, 0
	v_cmp_gt_i32_e64 s0, s8, v12
	v_add_nc_u32_e32 v21, 0x800, v21
	s_waitcnt lgkmcnt(0)
	s_add_u32 s6, s6, s16
	s_addc_u32 s7, s7, s17
	v_add_co_u32 v24, vcc_lo, s6, v10
	v_add_co_ci_u32_e64 v25, null, s7, v11, vcc_lo
	v_mov_b32_e32 v11, 0
	s_mov_b64 s[6:7], 0
	s_branch .LBB470_6
.LBB470_5:                              ;   in Loop: Header=BB470_6 Depth=1
	s_or_b32 exec_lo, exec_lo, s15
	s_waitcnt vmcnt(0) lgkmcnt(0)
	ds_write_b64 v21, v[14:15]
	s_waitcnt lgkmcnt(0)
	s_barrier
	buffer_gl0_inv
	ds_read_b128 v[12:15], v18
	ds_read2_b64 v[26:29], v17 offset1:16
	ds_read_b128 v[30:33], v18 offset:1024
	ds_read_b128 v[34:37], v18 offset:16
	ds_read2_b64 v[38:41], v17 offset0:32 offset1:48
	ds_read_b128 v[42:45], v18 offset:1040
	s_add_u32 s6, s6, 8
	s_addc_u32 s7, s7, 0
	v_cmp_gt_i64_e64 s15, s[12:13], s[6:7]
	s_and_b32 vcc_lo, exec_lo, s15
	s_waitcnt lgkmcnt(4)
	v_fma_f64 v[8:9], v[26:27], v[12:13], v[8:9]
	v_fma_f64 v[6:7], v[28:29], v[12:13], v[6:7]
	s_waitcnt lgkmcnt(3)
	v_fma_f64 v[12:13], v[26:27], v[30:31], v[4:5]
	v_fma_f64 v[26:27], v[28:29], v[30:31], v[2:3]
	ds_read2_b64 v[2:5], v17 offset0:64 offset1:80
	s_waitcnt lgkmcnt(2)
	v_fma_f64 v[28:29], v[38:39], v[14:15], v[8:9]
	v_fma_f64 v[14:15], v[40:41], v[14:15], v[6:7]
	;; [unrolled: 1-line block ×4, first 2 shown]
	ds_read2_b64 v[6:9], v17 offset0:96 offset1:112
	s_waitcnt lgkmcnt(1)
	v_fma_f64 v[28:29], v[2:3], v[34:35], v[28:29]
	v_fma_f64 v[30:31], v[4:5], v[34:35], v[14:15]
	;; [unrolled: 1-line block ×4, first 2 shown]
	ds_read_b128 v[2:5], v18 offset:32
	ds_read2_b64 v[12:15], v17 offset0:128 offset1:144
	s_waitcnt lgkmcnt(2)
	v_fma_f64 v[38:39], v[6:7], v[36:37], v[28:29]
	v_fma_f64 v[40:41], v[8:9], v[36:37], v[30:31]
	;; [unrolled: 1-line block ×4, first 2 shown]
	ds_read_b128 v[6:9], v18 offset:1056
	ds_read_b128 v[26:29], v18 offset:48
	ds_read2_b64 v[30:33], v17 offset0:160 offset1:176
	ds_read_b128 v[34:37], v18 offset:1072
	s_waitcnt lgkmcnt(4)
	v_fma_f64 v[38:39], v[12:13], v[2:3], v[38:39]
	v_fma_f64 v[2:3], v[14:15], v[2:3], v[40:41]
	s_waitcnt lgkmcnt(3)
	v_fma_f64 v[40:41], v[12:13], v[6:7], v[42:43]
	v_fma_f64 v[6:7], v[14:15], v[6:7], v[44:45]
	ds_read2_b64 v[12:15], v17 offset0:192 offset1:208
	s_waitcnt lgkmcnt(2)
	v_fma_f64 v[38:39], v[30:31], v[4:5], v[38:39]
	v_fma_f64 v[2:3], v[32:33], v[4:5], v[2:3]
	;; [unrolled: 1-line block ×4, first 2 shown]
	ds_read2_b64 v[30:33], v17 offset0:224 offset1:240
	s_waitcnt lgkmcnt(0)
	s_barrier
	buffer_gl0_inv
	v_fma_f64 v[8:9], v[12:13], v[26:27], v[38:39]
	v_fma_f64 v[2:3], v[14:15], v[26:27], v[2:3]
	;; [unrolled: 1-line block ×8, first 2 shown]
	s_cbranch_vccz .LBB470_12
.LBB470_6:                              ; =>This Inner Loop Header: Depth=1
	v_mov_b32_e32 v12, 0
	v_mov_b32_e32 v13, 0
	s_and_saveexec_b32 s15, s0
	s_cbranch_execz .LBB470_10
; %bb.7:                                ;   in Loop: Header=BB470_6 Depth=1
	v_mov_b32_e32 v12, 0
	v_add_nc_u32_e32 v10, s6, v19
	v_mov_b32_e32 v13, 0
	s_mov_b32 s16, exec_lo
	v_cmpx_gt_u64_e64 s[12:13], v[10:11]
	s_cbranch_execz .LBB470_9
; %bb.8:                                ;   in Loop: Header=BB470_6 Depth=1
	v_mad_u64_u32 v[12:13], null, s18, v10, 0
	v_mad_u64_u32 v[13:14], null, s19, v10, v[13:14]
	v_lshlrev_b64 v[12:13], 3, v[12:13]
	v_add_co_u32 v12, vcc_lo, v24, v12
	v_add_co_ci_u32_e64 v13, null, v25, v13, vcc_lo
	flat_load_dwordx2 v[12:13], v[12:13]
.LBB470_9:                              ;   in Loop: Header=BB470_6 Depth=1
	s_or_b32 exec_lo, exec_lo, s16
.LBB470_10:                             ;   in Loop: Header=BB470_6 Depth=1
	s_or_b32 exec_lo, exec_lo, s15
	v_add_nc_u32_e32 v10, s6, v16
	v_mov_b32_e32 v14, 0
	v_mov_b32_e32 v15, 0
	s_waitcnt vmcnt(0) lgkmcnt(0)
	ds_write_b64 v20, v[12:13]
	v_cmp_gt_u64_e32 vcc_lo, s[12:13], v[10:11]
	s_and_b32 s16, vcc_lo, s1
	s_and_saveexec_b32 s15, s16
	s_cbranch_execz .LBB470_5
; %bb.11:                               ;   in Loop: Header=BB470_6 Depth=1
	v_mad_u64_u32 v[12:13], null, s24, v10, 0
	v_mad_u64_u32 v[13:14], null, s25, v10, v[13:14]
	v_lshlrev_b64 v[12:13], 3, v[12:13]
	v_add_co_u32 v12, vcc_lo, v22, v12
	v_add_co_ci_u32_e64 v13, null, v23, v13, vcc_lo
	flat_load_dwordx2 v[14:15], v[12:13]
	s_branch .LBB470_5
.LBB470_12:
	v_add_nc_u32_e32 v13, s14, v1
	v_cmp_neq_f64_e64 s6, s[2:3], 0
	v_add_nc_u32_e32 v0, s9, v0
	s_lshl_b64 s[0:1], s[42:43], 3
	s_waitcnt lgkmcnt(0)
	s_add_u32 s4, s4, s0
	v_ashrrev_i32_e32 v1, 31, v13
	v_mul_lo_u32 v12, s41, v13
	v_mad_u64_u32 v[10:11], null, s40, v13, 0
	s_addc_u32 s5, s5, s1
	v_mul_lo_u32 v1, s40, v1
	v_cmp_gt_i32_e64 s0, s8, v13
	v_cmp_le_i32_e32 vcc_lo, v0, v13
	s_and_b32 s7, s0, vcc_lo
	v_add3_u32 v11, v11, v1, v12
	v_ashrrev_i32_e32 v1, 31, v0
	v_cndmask_b32_e64 v12, 0, 1, s6
	v_lshlrev_b64 v[10:11], 3, v[10:11]
	v_add_co_u32 v14, s1, s4, v10
	v_add_co_ci_u32_e64 v15, null, s5, v11, s1
	s_and_saveexec_b32 s1, s7
	s_cbranch_execz .LBB470_16
; %bb.13:
	v_mul_f64 v[8:9], s[10:11], v[8:9]
	v_lshlrev_b64 v[10:11], 3, v[0:1]
	v_add_co_u32 v10, vcc_lo, v14, v10
	v_add_co_ci_u32_e64 v11, null, v15, v11, vcc_lo
	s_andn2_b32 vcc_lo, exec_lo, s6
	s_cbranch_vccnz .LBB470_15
; %bb.14:
	flat_load_dwordx2 v[16:17], v[10:11]
	s_waitcnt vmcnt(0) lgkmcnt(0)
	v_fma_f64 v[8:9], s[2:3], v[16:17], v[8:9]
.LBB470_15:
	flat_store_dwordx2 v[10:11], v[8:9]
.LBB470_16:
	s_or_b32 exec_lo, exec_lo, s1
	v_add_nc_u32_e32 v8, 16, v0
	v_cmp_le_i32_e32 vcc_lo, v8, v13
	v_ashrrev_i32_e32 v9, 31, v8
	s_and_b32 s0, s0, vcc_lo
	s_and_saveexec_b32 s1, s0
	s_cbranch_execz .LBB470_20
; %bb.17:
	v_mul_f64 v[6:7], s[10:11], v[6:7]
	v_lshlrev_b64 v[10:11], 3, v[8:9]
	v_cmp_ne_u32_e32 vcc_lo, 1, v12
	v_add_co_u32 v10, s0, v14, v10
	v_add_co_ci_u32_e64 v11, null, v15, v11, s0
	s_cbranch_vccnz .LBB470_19
; %bb.18:
	flat_load_dwordx2 v[14:15], v[10:11]
	s_waitcnt vmcnt(0) lgkmcnt(0)
	v_fma_f64 v[6:7], s[2:3], v[14:15], v[6:7]
.LBB470_19:
	flat_store_dwordx2 v[10:11], v[6:7]
.LBB470_20:
	s_or_b32 exec_lo, exec_lo, s1
	v_add_nc_u32_e32 v10, 16, v13
	v_ashrrev_i32_e32 v11, 31, v10
	v_mul_lo_u32 v13, s41, v10
	v_mad_u64_u32 v[6:7], null, s40, v10, 0
	v_cmp_gt_i32_e64 s0, s8, v10
	v_mul_lo_u32 v11, s40, v11
	v_cmp_le_i32_e32 vcc_lo, v0, v10
	v_add3_u32 v7, v7, v11, v13
	v_lshlrev_b64 v[6:7], 3, v[6:7]
	v_add_co_u32 v6, s1, s4, v6
	v_add_co_ci_u32_e64 v7, null, s5, v7, s1
	s_and_b32 s1, s0, vcc_lo
	s_and_saveexec_b32 s4, s1
	s_cbranch_execz .LBB470_24
; %bb.21:
	v_mul_f64 v[4:5], s[10:11], v[4:5]
	v_lshlrev_b64 v[0:1], 3, v[0:1]
	v_cmp_ne_u32_e32 vcc_lo, 1, v12
	v_add_co_u32 v0, s1, v6, v0
	v_add_co_ci_u32_e64 v1, null, v7, v1, s1
	s_cbranch_vccnz .LBB470_23
; %bb.22:
	flat_load_dwordx2 v[13:14], v[0:1]
	s_waitcnt vmcnt(0) lgkmcnt(0)
	v_fma_f64 v[4:5], s[2:3], v[13:14], v[4:5]
.LBB470_23:
	flat_store_dwordx2 v[0:1], v[4:5]
.LBB470_24:
	s_or_b32 exec_lo, exec_lo, s4
	v_cmp_le_i32_e32 vcc_lo, v8, v10
	s_and_b32 s0, s0, vcc_lo
	s_and_saveexec_b32 s1, s0
	s_cbranch_execz .LBB470_28
; %bb.25:
	v_mul_f64 v[0:1], s[10:11], v[2:3]
	v_lshlrev_b64 v[2:3], 3, v[8:9]
	v_cmp_ne_u32_e32 vcc_lo, 1, v12
	v_add_co_u32 v2, s0, v6, v2
	v_add_co_ci_u32_e64 v3, null, v7, v3, s0
	s_cbranch_vccnz .LBB470_27
; %bb.26:
	flat_load_dwordx2 v[4:5], v[2:3]
	s_waitcnt vmcnt(0) lgkmcnt(0)
	v_fma_f64 v[0:1], s[2:3], v[4:5], v[0:1]
.LBB470_27:
	flat_store_dwordx2 v[2:3], v[0:1]
.LBB470_28:
	s_endpgm
	.section	.rodata,"a",@progbits
	.p2align	6, 0x0
	.amdhsa_kernel _ZL29rocblas_internal_gemmt_kernelIlLi16ELi32ELi8ELc78ELc67ELc85ELb0ELb0EdPKdPKS1_PKPdEviT_T9_T10_S7_lS9_S7_lS8_T11_S7_li
		.amdhsa_group_segment_fixed_size 4096
		.amdhsa_private_segment_fixed_size 0
		.amdhsa_kernarg_size 108
		.amdhsa_user_sgpr_count 6
		.amdhsa_user_sgpr_private_segment_buffer 1
		.amdhsa_user_sgpr_dispatch_ptr 0
		.amdhsa_user_sgpr_queue_ptr 0
		.amdhsa_user_sgpr_kernarg_segment_ptr 1
		.amdhsa_user_sgpr_dispatch_id 0
		.amdhsa_user_sgpr_flat_scratch_init 0
		.amdhsa_user_sgpr_private_segment_size 0
		.amdhsa_wavefront_size32 1
		.amdhsa_uses_dynamic_stack 0
		.amdhsa_system_sgpr_private_segment_wavefront_offset 0
		.amdhsa_system_sgpr_workgroup_id_x 1
		.amdhsa_system_sgpr_workgroup_id_y 1
		.amdhsa_system_sgpr_workgroup_id_z 1
		.amdhsa_system_sgpr_workgroup_info 0
		.amdhsa_system_vgpr_workitem_id 1
		.amdhsa_next_free_vgpr 46
		.amdhsa_next_free_sgpr 44
		.amdhsa_reserve_vcc 1
		.amdhsa_reserve_flat_scratch 0
		.amdhsa_float_round_mode_32 0
		.amdhsa_float_round_mode_16_64 0
		.amdhsa_float_denorm_mode_32 3
		.amdhsa_float_denorm_mode_16_64 3
		.amdhsa_dx10_clamp 1
		.amdhsa_ieee_mode 1
		.amdhsa_fp16_overflow 0
		.amdhsa_workgroup_processor_mode 1
		.amdhsa_memory_ordered 1
		.amdhsa_forward_progress 1
		.amdhsa_shared_vgpr_count 0
		.amdhsa_exception_fp_ieee_invalid_op 0
		.amdhsa_exception_fp_denorm_src 0
		.amdhsa_exception_fp_ieee_div_zero 0
		.amdhsa_exception_fp_ieee_overflow 0
		.amdhsa_exception_fp_ieee_underflow 0
		.amdhsa_exception_fp_ieee_inexact 0
		.amdhsa_exception_int_div_zero 0
	.end_amdhsa_kernel
	.section	.text._ZL29rocblas_internal_gemmt_kernelIlLi16ELi32ELi8ELc78ELc67ELc85ELb0ELb0EdPKdPKS1_PKPdEviT_T9_T10_S7_lS9_S7_lS8_T11_S7_li,"axG",@progbits,_ZL29rocblas_internal_gemmt_kernelIlLi16ELi32ELi8ELc78ELc67ELc85ELb0ELb0EdPKdPKS1_PKPdEviT_T9_T10_S7_lS9_S7_lS8_T11_S7_li,comdat
.Lfunc_end470:
	.size	_ZL29rocblas_internal_gemmt_kernelIlLi16ELi32ELi8ELc78ELc67ELc85ELb0ELb0EdPKdPKS1_PKPdEviT_T9_T10_S7_lS9_S7_lS8_T11_S7_li, .Lfunc_end470-_ZL29rocblas_internal_gemmt_kernelIlLi16ELi32ELi8ELc78ELc67ELc85ELb0ELb0EdPKdPKS1_PKPdEviT_T9_T10_S7_lS9_S7_lS8_T11_S7_li
                                        ; -- End function
	.set _ZL29rocblas_internal_gemmt_kernelIlLi16ELi32ELi8ELc78ELc67ELc85ELb0ELb0EdPKdPKS1_PKPdEviT_T9_T10_S7_lS9_S7_lS8_T11_S7_li.num_vgpr, 46
	.set _ZL29rocblas_internal_gemmt_kernelIlLi16ELi32ELi8ELc78ELc67ELc85ELb0ELb0EdPKdPKS1_PKPdEviT_T9_T10_S7_lS9_S7_lS8_T11_S7_li.num_agpr, 0
	.set _ZL29rocblas_internal_gemmt_kernelIlLi16ELi32ELi8ELc78ELc67ELc85ELb0ELb0EdPKdPKS1_PKPdEviT_T9_T10_S7_lS9_S7_lS8_T11_S7_li.numbered_sgpr, 44
	.set _ZL29rocblas_internal_gemmt_kernelIlLi16ELi32ELi8ELc78ELc67ELc85ELb0ELb0EdPKdPKS1_PKPdEviT_T9_T10_S7_lS9_S7_lS8_T11_S7_li.num_named_barrier, 0
	.set _ZL29rocblas_internal_gemmt_kernelIlLi16ELi32ELi8ELc78ELc67ELc85ELb0ELb0EdPKdPKS1_PKPdEviT_T9_T10_S7_lS9_S7_lS8_T11_S7_li.private_seg_size, 0
	.set _ZL29rocblas_internal_gemmt_kernelIlLi16ELi32ELi8ELc78ELc67ELc85ELb0ELb0EdPKdPKS1_PKPdEviT_T9_T10_S7_lS9_S7_lS8_T11_S7_li.uses_vcc, 1
	.set _ZL29rocblas_internal_gemmt_kernelIlLi16ELi32ELi8ELc78ELc67ELc85ELb0ELb0EdPKdPKS1_PKPdEviT_T9_T10_S7_lS9_S7_lS8_T11_S7_li.uses_flat_scratch, 0
	.set _ZL29rocblas_internal_gemmt_kernelIlLi16ELi32ELi8ELc78ELc67ELc85ELb0ELb0EdPKdPKS1_PKPdEviT_T9_T10_S7_lS9_S7_lS8_T11_S7_li.has_dyn_sized_stack, 0
	.set _ZL29rocblas_internal_gemmt_kernelIlLi16ELi32ELi8ELc78ELc67ELc85ELb0ELb0EdPKdPKS1_PKPdEviT_T9_T10_S7_lS9_S7_lS8_T11_S7_li.has_recursion, 0
	.set _ZL29rocblas_internal_gemmt_kernelIlLi16ELi32ELi8ELc78ELc67ELc85ELb0ELb0EdPKdPKS1_PKPdEviT_T9_T10_S7_lS9_S7_lS8_T11_S7_li.has_indirect_call, 0
	.section	.AMDGPU.csdata,"",@progbits
; Kernel info:
; codeLenInByte = 1676
; TotalNumSgprs: 46
; NumVgprs: 46
; ScratchSize: 0
; MemoryBound: 0
; FloatMode: 240
; IeeeMode: 1
; LDSByteSize: 4096 bytes/workgroup (compile time only)
; SGPRBlocks: 0
; VGPRBlocks: 5
; NumSGPRsForWavesPerEU: 46
; NumVGPRsForWavesPerEU: 46
; Occupancy: 16
; WaveLimiterHint : 1
; COMPUTE_PGM_RSRC2:SCRATCH_EN: 0
; COMPUTE_PGM_RSRC2:USER_SGPR: 6
; COMPUTE_PGM_RSRC2:TRAP_HANDLER: 0
; COMPUTE_PGM_RSRC2:TGID_X_EN: 1
; COMPUTE_PGM_RSRC2:TGID_Y_EN: 1
; COMPUTE_PGM_RSRC2:TGID_Z_EN: 1
; COMPUTE_PGM_RSRC2:TIDIG_COMP_CNT: 1
	.section	.text._ZL29rocblas_internal_gemmt_kernelIlLi16ELi32ELi8ELc84ELc78ELc85ELb0ELb0EdPKdPKS1_PKPdEviT_T9_T10_S7_lS9_S7_lS8_T11_S7_li,"axG",@progbits,_ZL29rocblas_internal_gemmt_kernelIlLi16ELi32ELi8ELc84ELc78ELc85ELb0ELb0EdPKdPKS1_PKPdEviT_T9_T10_S7_lS9_S7_lS8_T11_S7_li,comdat
	.globl	_ZL29rocblas_internal_gemmt_kernelIlLi16ELi32ELi8ELc84ELc78ELc85ELb0ELb0EdPKdPKS1_PKPdEviT_T9_T10_S7_lS9_S7_lS8_T11_S7_li ; -- Begin function _ZL29rocblas_internal_gemmt_kernelIlLi16ELi32ELi8ELc84ELc78ELc85ELb0ELb0EdPKdPKS1_PKPdEviT_T9_T10_S7_lS9_S7_lS8_T11_S7_li
	.p2align	8
	.type	_ZL29rocblas_internal_gemmt_kernelIlLi16ELi32ELi8ELc84ELc78ELc85ELb0ELb0EdPKdPKS1_PKPdEviT_T9_T10_S7_lS9_S7_lS8_T11_S7_li,@function
_ZL29rocblas_internal_gemmt_kernelIlLi16ELi32ELi8ELc84ELc78ELc85ELb0ELb0EdPKdPKS1_PKPdEviT_T9_T10_S7_lS9_S7_lS8_T11_S7_li: ; @_ZL29rocblas_internal_gemmt_kernelIlLi16ELi32ELi8ELc84ELc78ELc85ELb0ELb0EdPKdPKS1_PKPdEviT_T9_T10_S7_lS9_S7_lS8_T11_S7_li
; %bb.0:
	s_load_dwordx8 s[36:43], s[4:5], 0x48
	s_waitcnt lgkmcnt(0)
	s_load_dwordx2 s[2:3], s[36:37], 0x0
	s_load_dwordx16 s[12:27], s[4:5], 0x8
	s_waitcnt lgkmcnt(0)
	v_cmp_neq_f64_e64 s0, s[2:3], 1.0
	s_load_dwordx2 s[10:11], s[14:15], 0x0
	s_and_b32 vcc_lo, exec_lo, s0
	s_cbranch_vccnz .LBB471_2
; %bb.1:
	s_waitcnt lgkmcnt(0)
	v_cmp_neq_f64_e64 s0, s[10:11], 0
	s_cmp_lg_u64 s[12:13], 0
	s_cselect_b32 s1, -1, 0
	s_and_b32 s0, s1, s0
.LBB471_2:
	s_andn2_b32 vcc_lo, exec_lo, s0
	s_cbranch_vccnz .LBB471_28
; %bb.3:
	s_waitcnt lgkmcnt(0)
	v_cmp_eq_f64_e64 s28, s[10:11], 0
	s_mov_b32 s9, 0
	v_mov_b32_e32 v8, 0
	s_lshl_b64 s[0:1], s[8:9], 3
	v_mov_b32_e32 v6, 0
	s_add_u32 s14, s38, s0
	s_addc_u32 s15, s39, s1
	s_load_dword s8, s[4:5], 0x0
	s_load_dwordx2 s[4:5], s[14:15], 0x0
	v_cmp_lt_i64_e64 s14, s[12:13], 1
	v_mov_b32_e32 v4, 0
	v_mov_b32_e32 v2, 0
	;; [unrolled: 1-line block ×6, first 2 shown]
	s_lshl_b32 s9, s6, 5
	s_or_b32 s6, s28, s14
	s_lshl_b32 s14, s7, 5
	s_and_b32 vcc_lo, exec_lo, s6
	s_cbranch_vccnz .LBB471_12
; %bb.4:
	s_add_u32 s6, s22, s0
	s_addc_u32 s7, s23, s1
	s_lshl_b64 s[22:23], s[26:27], 3
	s_load_dwordx2 s[6:7], s[6:7], 0x0
	v_lshl_add_u32 v12, v1, 4, v0
	v_and_b32_e32 v16, 7, v0
	v_mov_b32_e32 v2, 0
	v_mov_b32_e32 v4, 0
	;; [unrolled: 1-line block ×3, first 2 shown]
	v_lshrrev_b32_e32 v14, 3, v12
	v_and_b32_e32 v13, 31, v12
	v_lshlrev_b32_e32 v23, 3, v16
	v_mov_b32_e32 v8, 0
	v_lshlrev_b32_e32 v17, 3, v0
	v_add_nc_u32_e32 v15, s14, v14
	v_or_b32_e32 v20, s9, v13
	v_lshlrev_b32_e32 v24, 3, v13
	v_lshl_or_b32 v14, v14, 6, v23
	v_lshl_add_u32 v18, v1, 6, 0x800
	v_ashrrev_i32_e32 v19, 31, v15
	v_mul_lo_u32 v21, s25, v15
	v_mad_u64_u32 v[10:11], null, s24, v15, 0
	s_waitcnt lgkmcnt(0)
	s_add_u32 s15, s6, s22
	s_addc_u32 s22, s7, s23
	s_add_u32 s0, s16, s0
	s_addc_u32 s1, s17, s1
	v_mul_lo_u32 v22, s24, v19
	s_load_dwordx2 s[0:1], s[0:1], 0x0
	v_lshrrev_b32_e32 v19, 5, v12
	v_mul_lo_u32 v25, s19, v20
	v_mad_u64_u32 v[12:13], null, s18, v20, 0
	s_lshl_b64 s[6:7], s[20:21], 3
	v_mov_b32_e32 v3, 0
	v_add3_u32 v11, v11, v22, v21
	v_mov_b32_e32 v5, 0
	v_mov_b32_e32 v7, 0
	;; [unrolled: 1-line block ×3, first 2 shown]
	v_add_nc_u32_e32 v21, 0x800, v14
	v_lshlrev_b64 v[10:11], 3, v[10:11]
	v_add_co_u32 v22, vcc_lo, s15, v10
	s_waitcnt lgkmcnt(0)
	s_add_u32 s6, s0, s6
	s_addc_u32 s7, s1, s7
	s_ashr_i32 s0, s9, 31
	v_add_co_ci_u32_e64 v23, null, s22, v11, vcc_lo
	s_mul_i32 s1, s18, s0
	v_cmp_gt_i32_e64 s0, s8, v20
	v_add3_u32 v13, v13, s1, v25
	v_lshl_or_b32 v20, v19, 8, v24
	v_cmp_gt_i32_e64 s1, s8, v15
	v_mov_b32_e32 v11, 0
	v_lshlrev_b64 v[12:13], 3, v[12:13]
	v_add_co_u32 v24, vcc_lo, s6, v12
	v_add_co_ci_u32_e64 v25, null, s7, v13, vcc_lo
	s_mov_b64 s[6:7], 0
	s_branch .LBB471_6
.LBB471_5:                              ;   in Loop: Header=BB471_6 Depth=1
	s_or_b32 exec_lo, exec_lo, s15
	s_waitcnt vmcnt(0) lgkmcnt(0)
	ds_write_b64 v21, v[14:15]
	s_waitcnt lgkmcnt(0)
	s_barrier
	buffer_gl0_inv
	ds_read_b128 v[12:15], v18
	ds_read2_b64 v[26:29], v17 offset1:16
	ds_read_b128 v[30:33], v18 offset:1024
	ds_read_b128 v[34:37], v18 offset:16
	ds_read2_b64 v[38:41], v17 offset0:32 offset1:48
	ds_read_b128 v[42:45], v18 offset:1040
	s_add_u32 s6, s6, 8
	s_addc_u32 s7, s7, 0
	v_cmp_gt_i64_e64 s15, s[12:13], s[6:7]
	s_and_b32 vcc_lo, exec_lo, s15
	s_waitcnt lgkmcnt(4)
	v_fma_f64 v[8:9], v[26:27], v[12:13], v[8:9]
	v_fma_f64 v[6:7], v[28:29], v[12:13], v[6:7]
	s_waitcnt lgkmcnt(3)
	v_fma_f64 v[12:13], v[26:27], v[30:31], v[4:5]
	v_fma_f64 v[26:27], v[28:29], v[30:31], v[2:3]
	ds_read2_b64 v[2:5], v17 offset0:64 offset1:80
	s_waitcnt lgkmcnt(2)
	v_fma_f64 v[28:29], v[38:39], v[14:15], v[8:9]
	v_fma_f64 v[14:15], v[40:41], v[14:15], v[6:7]
	;; [unrolled: 1-line block ×4, first 2 shown]
	ds_read2_b64 v[6:9], v17 offset0:96 offset1:112
	s_waitcnt lgkmcnt(1)
	v_fma_f64 v[28:29], v[2:3], v[34:35], v[28:29]
	v_fma_f64 v[30:31], v[4:5], v[34:35], v[14:15]
	;; [unrolled: 1-line block ×4, first 2 shown]
	ds_read_b128 v[2:5], v18 offset:32
	ds_read2_b64 v[12:15], v17 offset0:128 offset1:144
	s_waitcnt lgkmcnt(2)
	v_fma_f64 v[38:39], v[6:7], v[36:37], v[28:29]
	v_fma_f64 v[40:41], v[8:9], v[36:37], v[30:31]
	;; [unrolled: 1-line block ×4, first 2 shown]
	ds_read_b128 v[6:9], v18 offset:1056
	ds_read_b128 v[26:29], v18 offset:48
	ds_read2_b64 v[30:33], v17 offset0:160 offset1:176
	ds_read_b128 v[34:37], v18 offset:1072
	s_waitcnt lgkmcnt(4)
	v_fma_f64 v[38:39], v[12:13], v[2:3], v[38:39]
	v_fma_f64 v[2:3], v[14:15], v[2:3], v[40:41]
	s_waitcnt lgkmcnt(3)
	v_fma_f64 v[40:41], v[12:13], v[6:7], v[42:43]
	v_fma_f64 v[6:7], v[14:15], v[6:7], v[44:45]
	ds_read2_b64 v[12:15], v17 offset0:192 offset1:208
	s_waitcnt lgkmcnt(2)
	v_fma_f64 v[38:39], v[30:31], v[4:5], v[38:39]
	v_fma_f64 v[2:3], v[32:33], v[4:5], v[2:3]
	v_fma_f64 v[4:5], v[30:31], v[8:9], v[40:41]
	v_fma_f64 v[6:7], v[32:33], v[8:9], v[6:7]
	ds_read2_b64 v[30:33], v17 offset0:224 offset1:240
	s_waitcnt lgkmcnt(0)
	s_barrier
	buffer_gl0_inv
	v_fma_f64 v[8:9], v[12:13], v[26:27], v[38:39]
	v_fma_f64 v[2:3], v[14:15], v[26:27], v[2:3]
	;; [unrolled: 1-line block ×8, first 2 shown]
	s_cbranch_vccz .LBB471_12
.LBB471_6:                              ; =>This Inner Loop Header: Depth=1
	v_mov_b32_e32 v12, 0
	v_mov_b32_e32 v13, 0
	s_and_saveexec_b32 s15, s0
	s_cbranch_execz .LBB471_10
; %bb.7:                                ;   in Loop: Header=BB471_6 Depth=1
	v_mov_b32_e32 v12, 0
	v_add_nc_u32_e32 v10, s6, v19
	v_mov_b32_e32 v13, 0
	s_mov_b32 s16, exec_lo
	v_cmpx_gt_u64_e64 s[12:13], v[10:11]
	s_cbranch_execz .LBB471_9
; %bb.8:                                ;   in Loop: Header=BB471_6 Depth=1
	v_lshlrev_b64 v[12:13], 3, v[10:11]
	v_add_co_u32 v12, vcc_lo, v24, v12
	v_add_co_ci_u32_e64 v13, null, v25, v13, vcc_lo
	flat_load_dwordx2 v[12:13], v[12:13]
.LBB471_9:                              ;   in Loop: Header=BB471_6 Depth=1
	s_or_b32 exec_lo, exec_lo, s16
.LBB471_10:                             ;   in Loop: Header=BB471_6 Depth=1
	s_or_b32 exec_lo, exec_lo, s15
	v_add_nc_u32_e32 v10, s6, v16
	v_mov_b32_e32 v14, 0
	v_mov_b32_e32 v15, 0
	s_waitcnt vmcnt(0) lgkmcnt(0)
	ds_write_b64 v20, v[12:13]
	v_cmp_gt_u64_e32 vcc_lo, s[12:13], v[10:11]
	s_and_b32 s16, vcc_lo, s1
	s_and_saveexec_b32 s15, s16
	s_cbranch_execz .LBB471_5
; %bb.11:                               ;   in Loop: Header=BB471_6 Depth=1
	v_lshlrev_b64 v[12:13], 3, v[10:11]
	v_add_co_u32 v12, vcc_lo, v22, v12
	v_add_co_ci_u32_e64 v13, null, v23, v13, vcc_lo
	flat_load_dwordx2 v[14:15], v[12:13]
	s_branch .LBB471_5
.LBB471_12:
	v_add_nc_u32_e32 v13, s14, v1
	v_cmp_neq_f64_e64 s6, s[2:3], 0
	v_add_nc_u32_e32 v0, s9, v0
	s_lshl_b64 s[0:1], s[42:43], 3
	s_waitcnt lgkmcnt(0)
	s_add_u32 s4, s4, s0
	v_ashrrev_i32_e32 v1, 31, v13
	v_mul_lo_u32 v12, s41, v13
	v_mad_u64_u32 v[10:11], null, s40, v13, 0
	s_addc_u32 s5, s5, s1
	v_mul_lo_u32 v1, s40, v1
	v_cmp_gt_i32_e64 s0, s8, v13
	v_cmp_le_i32_e32 vcc_lo, v0, v13
	s_and_b32 s7, s0, vcc_lo
	v_add3_u32 v11, v11, v1, v12
	v_ashrrev_i32_e32 v1, 31, v0
	v_cndmask_b32_e64 v12, 0, 1, s6
	v_lshlrev_b64 v[10:11], 3, v[10:11]
	v_add_co_u32 v14, s1, s4, v10
	v_add_co_ci_u32_e64 v15, null, s5, v11, s1
	s_and_saveexec_b32 s1, s7
	s_cbranch_execz .LBB471_16
; %bb.13:
	v_mul_f64 v[8:9], s[10:11], v[8:9]
	v_lshlrev_b64 v[10:11], 3, v[0:1]
	v_add_co_u32 v10, vcc_lo, v14, v10
	v_add_co_ci_u32_e64 v11, null, v15, v11, vcc_lo
	s_andn2_b32 vcc_lo, exec_lo, s6
	s_cbranch_vccnz .LBB471_15
; %bb.14:
	flat_load_dwordx2 v[16:17], v[10:11]
	s_waitcnt vmcnt(0) lgkmcnt(0)
	v_fma_f64 v[8:9], s[2:3], v[16:17], v[8:9]
.LBB471_15:
	flat_store_dwordx2 v[10:11], v[8:9]
.LBB471_16:
	s_or_b32 exec_lo, exec_lo, s1
	v_add_nc_u32_e32 v8, 16, v0
	v_cmp_le_i32_e32 vcc_lo, v8, v13
	v_ashrrev_i32_e32 v9, 31, v8
	s_and_b32 s0, s0, vcc_lo
	s_and_saveexec_b32 s1, s0
	s_cbranch_execz .LBB471_20
; %bb.17:
	v_mul_f64 v[6:7], s[10:11], v[6:7]
	v_lshlrev_b64 v[10:11], 3, v[8:9]
	v_cmp_ne_u32_e32 vcc_lo, 1, v12
	v_add_co_u32 v10, s0, v14, v10
	v_add_co_ci_u32_e64 v11, null, v15, v11, s0
	s_cbranch_vccnz .LBB471_19
; %bb.18:
	flat_load_dwordx2 v[14:15], v[10:11]
	s_waitcnt vmcnt(0) lgkmcnt(0)
	v_fma_f64 v[6:7], s[2:3], v[14:15], v[6:7]
.LBB471_19:
	flat_store_dwordx2 v[10:11], v[6:7]
.LBB471_20:
	s_or_b32 exec_lo, exec_lo, s1
	v_add_nc_u32_e32 v10, 16, v13
	v_ashrrev_i32_e32 v11, 31, v10
	v_mul_lo_u32 v13, s41, v10
	v_mad_u64_u32 v[6:7], null, s40, v10, 0
	v_cmp_gt_i32_e64 s0, s8, v10
	v_mul_lo_u32 v11, s40, v11
	v_cmp_le_i32_e32 vcc_lo, v0, v10
	v_add3_u32 v7, v7, v11, v13
	v_lshlrev_b64 v[6:7], 3, v[6:7]
	v_add_co_u32 v6, s1, s4, v6
	v_add_co_ci_u32_e64 v7, null, s5, v7, s1
	s_and_b32 s1, s0, vcc_lo
	s_and_saveexec_b32 s4, s1
	s_cbranch_execz .LBB471_24
; %bb.21:
	v_mul_f64 v[4:5], s[10:11], v[4:5]
	v_lshlrev_b64 v[0:1], 3, v[0:1]
	v_cmp_ne_u32_e32 vcc_lo, 1, v12
	v_add_co_u32 v0, s1, v6, v0
	v_add_co_ci_u32_e64 v1, null, v7, v1, s1
	s_cbranch_vccnz .LBB471_23
; %bb.22:
	flat_load_dwordx2 v[13:14], v[0:1]
	s_waitcnt vmcnt(0) lgkmcnt(0)
	v_fma_f64 v[4:5], s[2:3], v[13:14], v[4:5]
.LBB471_23:
	flat_store_dwordx2 v[0:1], v[4:5]
.LBB471_24:
	s_or_b32 exec_lo, exec_lo, s4
	v_cmp_le_i32_e32 vcc_lo, v8, v10
	s_and_b32 s0, s0, vcc_lo
	s_and_saveexec_b32 s1, s0
	s_cbranch_execz .LBB471_28
; %bb.25:
	v_mul_f64 v[0:1], s[10:11], v[2:3]
	v_lshlrev_b64 v[2:3], 3, v[8:9]
	v_cmp_ne_u32_e32 vcc_lo, 1, v12
	v_add_co_u32 v2, s0, v6, v2
	v_add_co_ci_u32_e64 v3, null, v7, v3, s0
	s_cbranch_vccnz .LBB471_27
; %bb.26:
	flat_load_dwordx2 v[4:5], v[2:3]
	s_waitcnt vmcnt(0) lgkmcnt(0)
	v_fma_f64 v[0:1], s[2:3], v[4:5], v[0:1]
.LBB471_27:
	flat_store_dwordx2 v[2:3], v[0:1]
.LBB471_28:
	s_endpgm
	.section	.rodata,"a",@progbits
	.p2align	6, 0x0
	.amdhsa_kernel _ZL29rocblas_internal_gemmt_kernelIlLi16ELi32ELi8ELc84ELc78ELc85ELb0ELb0EdPKdPKS1_PKPdEviT_T9_T10_S7_lS9_S7_lS8_T11_S7_li
		.amdhsa_group_segment_fixed_size 4096
		.amdhsa_private_segment_fixed_size 0
		.amdhsa_kernarg_size 108
		.amdhsa_user_sgpr_count 6
		.amdhsa_user_sgpr_private_segment_buffer 1
		.amdhsa_user_sgpr_dispatch_ptr 0
		.amdhsa_user_sgpr_queue_ptr 0
		.amdhsa_user_sgpr_kernarg_segment_ptr 1
		.amdhsa_user_sgpr_dispatch_id 0
		.amdhsa_user_sgpr_flat_scratch_init 0
		.amdhsa_user_sgpr_private_segment_size 0
		.amdhsa_wavefront_size32 1
		.amdhsa_uses_dynamic_stack 0
		.amdhsa_system_sgpr_private_segment_wavefront_offset 0
		.amdhsa_system_sgpr_workgroup_id_x 1
		.amdhsa_system_sgpr_workgroup_id_y 1
		.amdhsa_system_sgpr_workgroup_id_z 1
		.amdhsa_system_sgpr_workgroup_info 0
		.amdhsa_system_vgpr_workitem_id 1
		.amdhsa_next_free_vgpr 46
		.amdhsa_next_free_sgpr 44
		.amdhsa_reserve_vcc 1
		.amdhsa_reserve_flat_scratch 0
		.amdhsa_float_round_mode_32 0
		.amdhsa_float_round_mode_16_64 0
		.amdhsa_float_denorm_mode_32 3
		.amdhsa_float_denorm_mode_16_64 3
		.amdhsa_dx10_clamp 1
		.amdhsa_ieee_mode 1
		.amdhsa_fp16_overflow 0
		.amdhsa_workgroup_processor_mode 1
		.amdhsa_memory_ordered 1
		.amdhsa_forward_progress 1
		.amdhsa_shared_vgpr_count 0
		.amdhsa_exception_fp_ieee_invalid_op 0
		.amdhsa_exception_fp_denorm_src 0
		.amdhsa_exception_fp_ieee_div_zero 0
		.amdhsa_exception_fp_ieee_overflow 0
		.amdhsa_exception_fp_ieee_underflow 0
		.amdhsa_exception_fp_ieee_inexact 0
		.amdhsa_exception_int_div_zero 0
	.end_amdhsa_kernel
	.section	.text._ZL29rocblas_internal_gemmt_kernelIlLi16ELi32ELi8ELc84ELc78ELc85ELb0ELb0EdPKdPKS1_PKPdEviT_T9_T10_S7_lS9_S7_lS8_T11_S7_li,"axG",@progbits,_ZL29rocblas_internal_gemmt_kernelIlLi16ELi32ELi8ELc84ELc78ELc85ELb0ELb0EdPKdPKS1_PKPdEviT_T9_T10_S7_lS9_S7_lS8_T11_S7_li,comdat
.Lfunc_end471:
	.size	_ZL29rocblas_internal_gemmt_kernelIlLi16ELi32ELi8ELc84ELc78ELc85ELb0ELb0EdPKdPKS1_PKPdEviT_T9_T10_S7_lS9_S7_lS8_T11_S7_li, .Lfunc_end471-_ZL29rocblas_internal_gemmt_kernelIlLi16ELi32ELi8ELc84ELc78ELc85ELb0ELb0EdPKdPKS1_PKPdEviT_T9_T10_S7_lS9_S7_lS8_T11_S7_li
                                        ; -- End function
	.set _ZL29rocblas_internal_gemmt_kernelIlLi16ELi32ELi8ELc84ELc78ELc85ELb0ELb0EdPKdPKS1_PKPdEviT_T9_T10_S7_lS9_S7_lS8_T11_S7_li.num_vgpr, 46
	.set _ZL29rocblas_internal_gemmt_kernelIlLi16ELi32ELi8ELc84ELc78ELc85ELb0ELb0EdPKdPKS1_PKPdEviT_T9_T10_S7_lS9_S7_lS8_T11_S7_li.num_agpr, 0
	.set _ZL29rocblas_internal_gemmt_kernelIlLi16ELi32ELi8ELc84ELc78ELc85ELb0ELb0EdPKdPKS1_PKPdEviT_T9_T10_S7_lS9_S7_lS8_T11_S7_li.numbered_sgpr, 44
	.set _ZL29rocblas_internal_gemmt_kernelIlLi16ELi32ELi8ELc84ELc78ELc85ELb0ELb0EdPKdPKS1_PKPdEviT_T9_T10_S7_lS9_S7_lS8_T11_S7_li.num_named_barrier, 0
	.set _ZL29rocblas_internal_gemmt_kernelIlLi16ELi32ELi8ELc84ELc78ELc85ELb0ELb0EdPKdPKS1_PKPdEviT_T9_T10_S7_lS9_S7_lS8_T11_S7_li.private_seg_size, 0
	.set _ZL29rocblas_internal_gemmt_kernelIlLi16ELi32ELi8ELc84ELc78ELc85ELb0ELb0EdPKdPKS1_PKPdEviT_T9_T10_S7_lS9_S7_lS8_T11_S7_li.uses_vcc, 1
	.set _ZL29rocblas_internal_gemmt_kernelIlLi16ELi32ELi8ELc84ELc78ELc85ELb0ELb0EdPKdPKS1_PKPdEviT_T9_T10_S7_lS9_S7_lS8_T11_S7_li.uses_flat_scratch, 0
	.set _ZL29rocblas_internal_gemmt_kernelIlLi16ELi32ELi8ELc84ELc78ELc85ELb0ELb0EdPKdPKS1_PKPdEviT_T9_T10_S7_lS9_S7_lS8_T11_S7_li.has_dyn_sized_stack, 0
	.set _ZL29rocblas_internal_gemmt_kernelIlLi16ELi32ELi8ELc84ELc78ELc85ELb0ELb0EdPKdPKS1_PKPdEviT_T9_T10_S7_lS9_S7_lS8_T11_S7_li.has_recursion, 0
	.set _ZL29rocblas_internal_gemmt_kernelIlLi16ELi32ELi8ELc84ELc78ELc85ELb0ELb0EdPKdPKS1_PKPdEviT_T9_T10_S7_lS9_S7_lS8_T11_S7_li.has_indirect_call, 0
	.section	.AMDGPU.csdata,"",@progbits
; Kernel info:
; codeLenInByte = 1704
; TotalNumSgprs: 46
; NumVgprs: 46
; ScratchSize: 0
; MemoryBound: 0
; FloatMode: 240
; IeeeMode: 1
; LDSByteSize: 4096 bytes/workgroup (compile time only)
; SGPRBlocks: 0
; VGPRBlocks: 5
; NumSGPRsForWavesPerEU: 46
; NumVGPRsForWavesPerEU: 46
; Occupancy: 16
; WaveLimiterHint : 1
; COMPUTE_PGM_RSRC2:SCRATCH_EN: 0
; COMPUTE_PGM_RSRC2:USER_SGPR: 6
; COMPUTE_PGM_RSRC2:TRAP_HANDLER: 0
; COMPUTE_PGM_RSRC2:TGID_X_EN: 1
; COMPUTE_PGM_RSRC2:TGID_Y_EN: 1
; COMPUTE_PGM_RSRC2:TGID_Z_EN: 1
; COMPUTE_PGM_RSRC2:TIDIG_COMP_CNT: 1
	.section	.text._ZL29rocblas_internal_gemmt_kernelIlLi16ELi32ELi8ELc84ELc84ELc85ELb0ELb0EdPKdPKS1_PKPdEviT_T9_T10_S7_lS9_S7_lS8_T11_S7_li,"axG",@progbits,_ZL29rocblas_internal_gemmt_kernelIlLi16ELi32ELi8ELc84ELc84ELc85ELb0ELb0EdPKdPKS1_PKPdEviT_T9_T10_S7_lS9_S7_lS8_T11_S7_li,comdat
	.globl	_ZL29rocblas_internal_gemmt_kernelIlLi16ELi32ELi8ELc84ELc84ELc85ELb0ELb0EdPKdPKS1_PKPdEviT_T9_T10_S7_lS9_S7_lS8_T11_S7_li ; -- Begin function _ZL29rocblas_internal_gemmt_kernelIlLi16ELi32ELi8ELc84ELc84ELc85ELb0ELb0EdPKdPKS1_PKPdEviT_T9_T10_S7_lS9_S7_lS8_T11_S7_li
	.p2align	8
	.type	_ZL29rocblas_internal_gemmt_kernelIlLi16ELi32ELi8ELc84ELc84ELc85ELb0ELb0EdPKdPKS1_PKPdEviT_T9_T10_S7_lS9_S7_lS8_T11_S7_li,@function
_ZL29rocblas_internal_gemmt_kernelIlLi16ELi32ELi8ELc84ELc84ELc85ELb0ELb0EdPKdPKS1_PKPdEviT_T9_T10_S7_lS9_S7_lS8_T11_S7_li: ; @_ZL29rocblas_internal_gemmt_kernelIlLi16ELi32ELi8ELc84ELc84ELc85ELb0ELb0EdPKdPKS1_PKPdEviT_T9_T10_S7_lS9_S7_lS8_T11_S7_li
; %bb.0:
	s_load_dwordx8 s[36:43], s[4:5], 0x48
	s_waitcnt lgkmcnt(0)
	s_load_dwordx2 s[2:3], s[36:37], 0x0
	s_load_dwordx16 s[12:27], s[4:5], 0x8
	s_waitcnt lgkmcnt(0)
	v_cmp_neq_f64_e64 s0, s[2:3], 1.0
	s_load_dwordx2 s[10:11], s[14:15], 0x0
	s_and_b32 vcc_lo, exec_lo, s0
	s_cbranch_vccnz .LBB472_2
; %bb.1:
	s_waitcnt lgkmcnt(0)
	v_cmp_neq_f64_e64 s0, s[10:11], 0
	s_cmp_lg_u64 s[12:13], 0
	s_cselect_b32 s1, -1, 0
	s_and_b32 s0, s1, s0
.LBB472_2:
	s_andn2_b32 vcc_lo, exec_lo, s0
	s_cbranch_vccnz .LBB472_28
; %bb.3:
	s_waitcnt lgkmcnt(0)
	v_cmp_eq_f64_e64 s28, s[10:11], 0
	s_mov_b32 s9, 0
	v_mov_b32_e32 v8, 0
	s_lshl_b64 s[0:1], s[8:9], 3
	v_mov_b32_e32 v6, 0
	s_add_u32 s14, s38, s0
	s_addc_u32 s15, s39, s1
	s_load_dword s8, s[4:5], 0x0
	s_load_dwordx2 s[4:5], s[14:15], 0x0
	v_cmp_lt_i64_e64 s14, s[12:13], 1
	v_mov_b32_e32 v4, 0
	v_mov_b32_e32 v2, 0
	;; [unrolled: 1-line block ×6, first 2 shown]
	s_lshl_b32 s9, s6, 5
	s_or_b32 s6, s28, s14
	s_lshl_b32 s14, s7, 5
	s_and_b32 vcc_lo, exec_lo, s6
	s_cbranch_vccnz .LBB472_12
; %bb.4:
	s_add_u32 s6, s22, s0
	s_addc_u32 s7, s23, s1
	s_lshl_b64 s[22:23], s[26:27], 3
	s_load_dwordx2 s[6:7], s[6:7], 0x0
	v_lshl_add_u32 v10, v1, 4, v0
	v_and_b32_e32 v16, 7, v0
	v_mov_b32_e32 v2, 0
	v_mov_b32_e32 v4, 0
	;; [unrolled: 1-line block ×3, first 2 shown]
	v_and_b32_e32 v11, 31, v10
	v_lshrrev_b32_e32 v14, 3, v10
	v_lshrrev_b32_e32 v19, 5, v10
	v_lshlrev_b32_e32 v20, 3, v16
	v_mov_b32_e32 v8, 0
	v_or_b32_e32 v15, s9, v11
	v_add_nc_u32_e32 v10, s14, v14
	v_lshlrev_b32_e32 v21, 3, v11
	v_lshl_or_b32 v23, v14, 6, v20
	v_lshlrev_b32_e32 v17, 3, v0
	v_mul_lo_u32 v22, s19, v15
	v_mad_u64_u32 v[12:13], null, s18, v15, 0
	v_ashrrev_i32_e32 v11, 31, v10
	s_waitcnt lgkmcnt(0)
	s_add_u32 s15, s6, s22
	s_addc_u32 s22, s7, s23
	s_add_u32 s0, s16, s0
	s_addc_u32 s1, s17, s1
	s_lshl_b64 s[6:7], s[20:21], 3
	s_load_dwordx2 s[0:1], s[0:1], 0x0
	v_lshl_or_b32 v20, v19, 8, v21
	v_add_nc_u32_e32 v21, 0x800, v23
	v_lshl_add_u32 v18, v1, 6, 0x800
	v_mov_b32_e32 v3, 0
	v_mov_b32_e32 v5, 0
	;; [unrolled: 1-line block ×4, first 2 shown]
	s_waitcnt lgkmcnt(0)
	s_add_u32 s6, s0, s6
	s_addc_u32 s7, s1, s7
	s_ashr_i32 s0, s9, 31
	s_mul_i32 s1, s18, s0
	v_cmp_gt_i32_e64 s0, s8, v15
	v_add3_u32 v13, v13, s1, v22
	v_lshlrev_b64 v[14:15], 3, v[10:11]
	v_cmp_gt_i32_e64 s1, s8, v10
	v_lshlrev_b64 v[10:11], 3, v[12:13]
	v_add_co_u32 v22, vcc_lo, s15, v14
	v_add_co_ci_u32_e64 v23, null, s22, v15, vcc_lo
	v_add_co_u32 v24, vcc_lo, s6, v10
	v_add_co_ci_u32_e64 v25, null, s7, v11, vcc_lo
	v_mov_b32_e32 v11, 0
	s_mov_b64 s[6:7], 0
	s_branch .LBB472_6
.LBB472_5:                              ;   in Loop: Header=BB472_6 Depth=1
	s_or_b32 exec_lo, exec_lo, s15
	s_waitcnt vmcnt(0) lgkmcnt(0)
	ds_write_b64 v21, v[14:15]
	s_waitcnt lgkmcnt(0)
	s_barrier
	buffer_gl0_inv
	ds_read_b128 v[12:15], v18
	ds_read2_b64 v[26:29], v17 offset1:16
	ds_read_b128 v[30:33], v18 offset:1024
	ds_read_b128 v[34:37], v18 offset:16
	ds_read2_b64 v[38:41], v17 offset0:32 offset1:48
	ds_read_b128 v[42:45], v18 offset:1040
	s_add_u32 s6, s6, 8
	s_addc_u32 s7, s7, 0
	v_cmp_gt_i64_e64 s15, s[12:13], s[6:7]
	s_and_b32 vcc_lo, exec_lo, s15
	s_waitcnt lgkmcnt(4)
	v_fma_f64 v[8:9], v[26:27], v[12:13], v[8:9]
	v_fma_f64 v[6:7], v[28:29], v[12:13], v[6:7]
	s_waitcnt lgkmcnt(3)
	v_fma_f64 v[12:13], v[26:27], v[30:31], v[4:5]
	v_fma_f64 v[26:27], v[28:29], v[30:31], v[2:3]
	ds_read2_b64 v[2:5], v17 offset0:64 offset1:80
	s_waitcnt lgkmcnt(2)
	v_fma_f64 v[28:29], v[38:39], v[14:15], v[8:9]
	v_fma_f64 v[14:15], v[40:41], v[14:15], v[6:7]
	;; [unrolled: 1-line block ×4, first 2 shown]
	ds_read2_b64 v[6:9], v17 offset0:96 offset1:112
	s_waitcnt lgkmcnt(1)
	v_fma_f64 v[28:29], v[2:3], v[34:35], v[28:29]
	v_fma_f64 v[30:31], v[4:5], v[34:35], v[14:15]
	;; [unrolled: 1-line block ×4, first 2 shown]
	ds_read_b128 v[2:5], v18 offset:32
	ds_read2_b64 v[12:15], v17 offset0:128 offset1:144
	s_waitcnt lgkmcnt(2)
	v_fma_f64 v[38:39], v[6:7], v[36:37], v[28:29]
	v_fma_f64 v[40:41], v[8:9], v[36:37], v[30:31]
	;; [unrolled: 1-line block ×4, first 2 shown]
	ds_read_b128 v[6:9], v18 offset:1056
	ds_read_b128 v[26:29], v18 offset:48
	ds_read2_b64 v[30:33], v17 offset0:160 offset1:176
	ds_read_b128 v[34:37], v18 offset:1072
	s_waitcnt lgkmcnt(4)
	v_fma_f64 v[38:39], v[12:13], v[2:3], v[38:39]
	v_fma_f64 v[2:3], v[14:15], v[2:3], v[40:41]
	s_waitcnt lgkmcnt(3)
	v_fma_f64 v[40:41], v[12:13], v[6:7], v[42:43]
	v_fma_f64 v[6:7], v[14:15], v[6:7], v[44:45]
	ds_read2_b64 v[12:15], v17 offset0:192 offset1:208
	s_waitcnt lgkmcnt(2)
	v_fma_f64 v[38:39], v[30:31], v[4:5], v[38:39]
	v_fma_f64 v[2:3], v[32:33], v[4:5], v[2:3]
	;; [unrolled: 1-line block ×4, first 2 shown]
	ds_read2_b64 v[30:33], v17 offset0:224 offset1:240
	s_waitcnt lgkmcnt(0)
	s_barrier
	buffer_gl0_inv
	v_fma_f64 v[8:9], v[12:13], v[26:27], v[38:39]
	v_fma_f64 v[2:3], v[14:15], v[26:27], v[2:3]
	;; [unrolled: 1-line block ×8, first 2 shown]
	s_cbranch_vccz .LBB472_12
.LBB472_6:                              ; =>This Inner Loop Header: Depth=1
	v_mov_b32_e32 v12, 0
	v_mov_b32_e32 v13, 0
	s_and_saveexec_b32 s15, s0
	s_cbranch_execz .LBB472_10
; %bb.7:                                ;   in Loop: Header=BB472_6 Depth=1
	v_mov_b32_e32 v12, 0
	v_add_nc_u32_e32 v10, s6, v19
	v_mov_b32_e32 v13, 0
	s_mov_b32 s16, exec_lo
	v_cmpx_gt_u64_e64 s[12:13], v[10:11]
	s_cbranch_execz .LBB472_9
; %bb.8:                                ;   in Loop: Header=BB472_6 Depth=1
	v_lshlrev_b64 v[12:13], 3, v[10:11]
	v_add_co_u32 v12, vcc_lo, v24, v12
	v_add_co_ci_u32_e64 v13, null, v25, v13, vcc_lo
	flat_load_dwordx2 v[12:13], v[12:13]
.LBB472_9:                              ;   in Loop: Header=BB472_6 Depth=1
	s_or_b32 exec_lo, exec_lo, s16
.LBB472_10:                             ;   in Loop: Header=BB472_6 Depth=1
	s_or_b32 exec_lo, exec_lo, s15
	v_add_nc_u32_e32 v10, s6, v16
	v_mov_b32_e32 v14, 0
	v_mov_b32_e32 v15, 0
	s_waitcnt vmcnt(0) lgkmcnt(0)
	ds_write_b64 v20, v[12:13]
	v_cmp_gt_u64_e32 vcc_lo, s[12:13], v[10:11]
	s_and_b32 s16, vcc_lo, s1
	s_and_saveexec_b32 s15, s16
	s_cbranch_execz .LBB472_5
; %bb.11:                               ;   in Loop: Header=BB472_6 Depth=1
	v_mad_u64_u32 v[12:13], null, s24, v10, 0
	v_mad_u64_u32 v[13:14], null, s25, v10, v[13:14]
	v_lshlrev_b64 v[12:13], 3, v[12:13]
	v_add_co_u32 v12, vcc_lo, v22, v12
	v_add_co_ci_u32_e64 v13, null, v23, v13, vcc_lo
	flat_load_dwordx2 v[14:15], v[12:13]
	s_branch .LBB472_5
.LBB472_12:
	v_add_nc_u32_e32 v13, s14, v1
	v_cmp_neq_f64_e64 s6, s[2:3], 0
	v_add_nc_u32_e32 v0, s9, v0
	s_lshl_b64 s[0:1], s[42:43], 3
	s_waitcnt lgkmcnt(0)
	s_add_u32 s4, s4, s0
	v_ashrrev_i32_e32 v1, 31, v13
	v_mul_lo_u32 v12, s41, v13
	v_mad_u64_u32 v[10:11], null, s40, v13, 0
	s_addc_u32 s5, s5, s1
	v_mul_lo_u32 v1, s40, v1
	v_cmp_gt_i32_e64 s0, s8, v13
	v_cmp_le_i32_e32 vcc_lo, v0, v13
	s_and_b32 s7, s0, vcc_lo
	v_add3_u32 v11, v11, v1, v12
	v_ashrrev_i32_e32 v1, 31, v0
	v_cndmask_b32_e64 v12, 0, 1, s6
	v_lshlrev_b64 v[10:11], 3, v[10:11]
	v_add_co_u32 v14, s1, s4, v10
	v_add_co_ci_u32_e64 v15, null, s5, v11, s1
	s_and_saveexec_b32 s1, s7
	s_cbranch_execz .LBB472_16
; %bb.13:
	v_mul_f64 v[8:9], s[10:11], v[8:9]
	v_lshlrev_b64 v[10:11], 3, v[0:1]
	v_add_co_u32 v10, vcc_lo, v14, v10
	v_add_co_ci_u32_e64 v11, null, v15, v11, vcc_lo
	s_andn2_b32 vcc_lo, exec_lo, s6
	s_cbranch_vccnz .LBB472_15
; %bb.14:
	flat_load_dwordx2 v[16:17], v[10:11]
	s_waitcnt vmcnt(0) lgkmcnt(0)
	v_fma_f64 v[8:9], s[2:3], v[16:17], v[8:9]
.LBB472_15:
	flat_store_dwordx2 v[10:11], v[8:9]
.LBB472_16:
	s_or_b32 exec_lo, exec_lo, s1
	v_add_nc_u32_e32 v8, 16, v0
	v_cmp_le_i32_e32 vcc_lo, v8, v13
	v_ashrrev_i32_e32 v9, 31, v8
	s_and_b32 s0, s0, vcc_lo
	s_and_saveexec_b32 s1, s0
	s_cbranch_execz .LBB472_20
; %bb.17:
	v_mul_f64 v[6:7], s[10:11], v[6:7]
	v_lshlrev_b64 v[10:11], 3, v[8:9]
	v_cmp_ne_u32_e32 vcc_lo, 1, v12
	v_add_co_u32 v10, s0, v14, v10
	v_add_co_ci_u32_e64 v11, null, v15, v11, s0
	s_cbranch_vccnz .LBB472_19
; %bb.18:
	flat_load_dwordx2 v[14:15], v[10:11]
	s_waitcnt vmcnt(0) lgkmcnt(0)
	v_fma_f64 v[6:7], s[2:3], v[14:15], v[6:7]
.LBB472_19:
	flat_store_dwordx2 v[10:11], v[6:7]
.LBB472_20:
	s_or_b32 exec_lo, exec_lo, s1
	v_add_nc_u32_e32 v10, 16, v13
	v_ashrrev_i32_e32 v11, 31, v10
	v_mul_lo_u32 v13, s41, v10
	v_mad_u64_u32 v[6:7], null, s40, v10, 0
	v_cmp_gt_i32_e64 s0, s8, v10
	v_mul_lo_u32 v11, s40, v11
	v_cmp_le_i32_e32 vcc_lo, v0, v10
	v_add3_u32 v7, v7, v11, v13
	v_lshlrev_b64 v[6:7], 3, v[6:7]
	v_add_co_u32 v6, s1, s4, v6
	v_add_co_ci_u32_e64 v7, null, s5, v7, s1
	s_and_b32 s1, s0, vcc_lo
	s_and_saveexec_b32 s4, s1
	s_cbranch_execz .LBB472_24
; %bb.21:
	v_mul_f64 v[4:5], s[10:11], v[4:5]
	v_lshlrev_b64 v[0:1], 3, v[0:1]
	v_cmp_ne_u32_e32 vcc_lo, 1, v12
	v_add_co_u32 v0, s1, v6, v0
	v_add_co_ci_u32_e64 v1, null, v7, v1, s1
	s_cbranch_vccnz .LBB472_23
; %bb.22:
	flat_load_dwordx2 v[13:14], v[0:1]
	s_waitcnt vmcnt(0) lgkmcnt(0)
	v_fma_f64 v[4:5], s[2:3], v[13:14], v[4:5]
.LBB472_23:
	flat_store_dwordx2 v[0:1], v[4:5]
.LBB472_24:
	s_or_b32 exec_lo, exec_lo, s4
	v_cmp_le_i32_e32 vcc_lo, v8, v10
	s_and_b32 s0, s0, vcc_lo
	s_and_saveexec_b32 s1, s0
	s_cbranch_execz .LBB472_28
; %bb.25:
	v_mul_f64 v[0:1], s[10:11], v[2:3]
	v_lshlrev_b64 v[2:3], 3, v[8:9]
	v_cmp_ne_u32_e32 vcc_lo, 1, v12
	v_add_co_u32 v2, s0, v6, v2
	v_add_co_ci_u32_e64 v3, null, v7, v3, s0
	s_cbranch_vccnz .LBB472_27
; %bb.26:
	flat_load_dwordx2 v[4:5], v[2:3]
	s_waitcnt vmcnt(0) lgkmcnt(0)
	v_fma_f64 v[0:1], s[2:3], v[4:5], v[0:1]
.LBB472_27:
	flat_store_dwordx2 v[2:3], v[0:1]
.LBB472_28:
	s_endpgm
	.section	.rodata,"a",@progbits
	.p2align	6, 0x0
	.amdhsa_kernel _ZL29rocblas_internal_gemmt_kernelIlLi16ELi32ELi8ELc84ELc84ELc85ELb0ELb0EdPKdPKS1_PKPdEviT_T9_T10_S7_lS9_S7_lS8_T11_S7_li
		.amdhsa_group_segment_fixed_size 4096
		.amdhsa_private_segment_fixed_size 0
		.amdhsa_kernarg_size 108
		.amdhsa_user_sgpr_count 6
		.amdhsa_user_sgpr_private_segment_buffer 1
		.amdhsa_user_sgpr_dispatch_ptr 0
		.amdhsa_user_sgpr_queue_ptr 0
		.amdhsa_user_sgpr_kernarg_segment_ptr 1
		.amdhsa_user_sgpr_dispatch_id 0
		.amdhsa_user_sgpr_flat_scratch_init 0
		.amdhsa_user_sgpr_private_segment_size 0
		.amdhsa_wavefront_size32 1
		.amdhsa_uses_dynamic_stack 0
		.amdhsa_system_sgpr_private_segment_wavefront_offset 0
		.amdhsa_system_sgpr_workgroup_id_x 1
		.amdhsa_system_sgpr_workgroup_id_y 1
		.amdhsa_system_sgpr_workgroup_id_z 1
		.amdhsa_system_sgpr_workgroup_info 0
		.amdhsa_system_vgpr_workitem_id 1
		.amdhsa_next_free_vgpr 46
		.amdhsa_next_free_sgpr 44
		.amdhsa_reserve_vcc 1
		.amdhsa_reserve_flat_scratch 0
		.amdhsa_float_round_mode_32 0
		.amdhsa_float_round_mode_16_64 0
		.amdhsa_float_denorm_mode_32 3
		.amdhsa_float_denorm_mode_16_64 3
		.amdhsa_dx10_clamp 1
		.amdhsa_ieee_mode 1
		.amdhsa_fp16_overflow 0
		.amdhsa_workgroup_processor_mode 1
		.amdhsa_memory_ordered 1
		.amdhsa_forward_progress 1
		.amdhsa_shared_vgpr_count 0
		.amdhsa_exception_fp_ieee_invalid_op 0
		.amdhsa_exception_fp_denorm_src 0
		.amdhsa_exception_fp_ieee_div_zero 0
		.amdhsa_exception_fp_ieee_overflow 0
		.amdhsa_exception_fp_ieee_underflow 0
		.amdhsa_exception_fp_ieee_inexact 0
		.amdhsa_exception_int_div_zero 0
	.end_amdhsa_kernel
	.section	.text._ZL29rocblas_internal_gemmt_kernelIlLi16ELi32ELi8ELc84ELc84ELc85ELb0ELb0EdPKdPKS1_PKPdEviT_T9_T10_S7_lS9_S7_lS8_T11_S7_li,"axG",@progbits,_ZL29rocblas_internal_gemmt_kernelIlLi16ELi32ELi8ELc84ELc84ELc85ELb0ELb0EdPKdPKS1_PKPdEviT_T9_T10_S7_lS9_S7_lS8_T11_S7_li,comdat
.Lfunc_end472:
	.size	_ZL29rocblas_internal_gemmt_kernelIlLi16ELi32ELi8ELc84ELc84ELc85ELb0ELb0EdPKdPKS1_PKPdEviT_T9_T10_S7_lS9_S7_lS8_T11_S7_li, .Lfunc_end472-_ZL29rocblas_internal_gemmt_kernelIlLi16ELi32ELi8ELc84ELc84ELc85ELb0ELb0EdPKdPKS1_PKPdEviT_T9_T10_S7_lS9_S7_lS8_T11_S7_li
                                        ; -- End function
	.set _ZL29rocblas_internal_gemmt_kernelIlLi16ELi32ELi8ELc84ELc84ELc85ELb0ELb0EdPKdPKS1_PKPdEviT_T9_T10_S7_lS9_S7_lS8_T11_S7_li.num_vgpr, 46
	.set _ZL29rocblas_internal_gemmt_kernelIlLi16ELi32ELi8ELc84ELc84ELc85ELb0ELb0EdPKdPKS1_PKPdEviT_T9_T10_S7_lS9_S7_lS8_T11_S7_li.num_agpr, 0
	.set _ZL29rocblas_internal_gemmt_kernelIlLi16ELi32ELi8ELc84ELc84ELc85ELb0ELb0EdPKdPKS1_PKPdEviT_T9_T10_S7_lS9_S7_lS8_T11_S7_li.numbered_sgpr, 44
	.set _ZL29rocblas_internal_gemmt_kernelIlLi16ELi32ELi8ELc84ELc84ELc85ELb0ELb0EdPKdPKS1_PKPdEviT_T9_T10_S7_lS9_S7_lS8_T11_S7_li.num_named_barrier, 0
	.set _ZL29rocblas_internal_gemmt_kernelIlLi16ELi32ELi8ELc84ELc84ELc85ELb0ELb0EdPKdPKS1_PKPdEviT_T9_T10_S7_lS9_S7_lS8_T11_S7_li.private_seg_size, 0
	.set _ZL29rocblas_internal_gemmt_kernelIlLi16ELi32ELi8ELc84ELc84ELc85ELb0ELb0EdPKdPKS1_PKPdEviT_T9_T10_S7_lS9_S7_lS8_T11_S7_li.uses_vcc, 1
	.set _ZL29rocblas_internal_gemmt_kernelIlLi16ELi32ELi8ELc84ELc84ELc85ELb0ELb0EdPKdPKS1_PKPdEviT_T9_T10_S7_lS9_S7_lS8_T11_S7_li.uses_flat_scratch, 0
	.set _ZL29rocblas_internal_gemmt_kernelIlLi16ELi32ELi8ELc84ELc84ELc85ELb0ELb0EdPKdPKS1_PKPdEviT_T9_T10_S7_lS9_S7_lS8_T11_S7_li.has_dyn_sized_stack, 0
	.set _ZL29rocblas_internal_gemmt_kernelIlLi16ELi32ELi8ELc84ELc84ELc85ELb0ELb0EdPKdPKS1_PKPdEviT_T9_T10_S7_lS9_S7_lS8_T11_S7_li.has_recursion, 0
	.set _ZL29rocblas_internal_gemmt_kernelIlLi16ELi32ELi8ELc84ELc84ELc85ELb0ELb0EdPKdPKS1_PKPdEviT_T9_T10_S7_lS9_S7_lS8_T11_S7_li.has_indirect_call, 0
	.section	.AMDGPU.csdata,"",@progbits
; Kernel info:
; codeLenInByte = 1688
; TotalNumSgprs: 46
; NumVgprs: 46
; ScratchSize: 0
; MemoryBound: 0
; FloatMode: 240
; IeeeMode: 1
; LDSByteSize: 4096 bytes/workgroup (compile time only)
; SGPRBlocks: 0
; VGPRBlocks: 5
; NumSGPRsForWavesPerEU: 46
; NumVGPRsForWavesPerEU: 46
; Occupancy: 16
; WaveLimiterHint : 1
; COMPUTE_PGM_RSRC2:SCRATCH_EN: 0
; COMPUTE_PGM_RSRC2:USER_SGPR: 6
; COMPUTE_PGM_RSRC2:TRAP_HANDLER: 0
; COMPUTE_PGM_RSRC2:TGID_X_EN: 1
; COMPUTE_PGM_RSRC2:TGID_Y_EN: 1
; COMPUTE_PGM_RSRC2:TGID_Z_EN: 1
; COMPUTE_PGM_RSRC2:TIDIG_COMP_CNT: 1
	.section	.text._ZL29rocblas_internal_gemmt_kernelIlLi16ELi32ELi8ELc84ELc67ELc85ELb0ELb0EdPKdPKS1_PKPdEviT_T9_T10_S7_lS9_S7_lS8_T11_S7_li,"axG",@progbits,_ZL29rocblas_internal_gemmt_kernelIlLi16ELi32ELi8ELc84ELc67ELc85ELb0ELb0EdPKdPKS1_PKPdEviT_T9_T10_S7_lS9_S7_lS8_T11_S7_li,comdat
	.globl	_ZL29rocblas_internal_gemmt_kernelIlLi16ELi32ELi8ELc84ELc67ELc85ELb0ELb0EdPKdPKS1_PKPdEviT_T9_T10_S7_lS9_S7_lS8_T11_S7_li ; -- Begin function _ZL29rocblas_internal_gemmt_kernelIlLi16ELi32ELi8ELc84ELc67ELc85ELb0ELb0EdPKdPKS1_PKPdEviT_T9_T10_S7_lS9_S7_lS8_T11_S7_li
	.p2align	8
	.type	_ZL29rocblas_internal_gemmt_kernelIlLi16ELi32ELi8ELc84ELc67ELc85ELb0ELb0EdPKdPKS1_PKPdEviT_T9_T10_S7_lS9_S7_lS8_T11_S7_li,@function
_ZL29rocblas_internal_gemmt_kernelIlLi16ELi32ELi8ELc84ELc67ELc85ELb0ELb0EdPKdPKS1_PKPdEviT_T9_T10_S7_lS9_S7_lS8_T11_S7_li: ; @_ZL29rocblas_internal_gemmt_kernelIlLi16ELi32ELi8ELc84ELc67ELc85ELb0ELb0EdPKdPKS1_PKPdEviT_T9_T10_S7_lS9_S7_lS8_T11_S7_li
; %bb.0:
	s_load_dwordx8 s[36:43], s[4:5], 0x48
	s_waitcnt lgkmcnt(0)
	s_load_dwordx2 s[2:3], s[36:37], 0x0
	s_load_dwordx16 s[12:27], s[4:5], 0x8
	s_waitcnt lgkmcnt(0)
	v_cmp_neq_f64_e64 s0, s[2:3], 1.0
	s_load_dwordx2 s[10:11], s[14:15], 0x0
	s_and_b32 vcc_lo, exec_lo, s0
	s_cbranch_vccnz .LBB473_2
; %bb.1:
	s_waitcnt lgkmcnt(0)
	v_cmp_neq_f64_e64 s0, s[10:11], 0
	s_cmp_lg_u64 s[12:13], 0
	s_cselect_b32 s1, -1, 0
	s_and_b32 s0, s1, s0
.LBB473_2:
	s_andn2_b32 vcc_lo, exec_lo, s0
	s_cbranch_vccnz .LBB473_28
; %bb.3:
	s_waitcnt lgkmcnt(0)
	v_cmp_eq_f64_e64 s28, s[10:11], 0
	s_mov_b32 s9, 0
	v_mov_b32_e32 v8, 0
	s_lshl_b64 s[0:1], s[8:9], 3
	v_mov_b32_e32 v6, 0
	s_add_u32 s14, s38, s0
	s_addc_u32 s15, s39, s1
	s_load_dword s8, s[4:5], 0x0
	s_load_dwordx2 s[4:5], s[14:15], 0x0
	v_cmp_lt_i64_e64 s14, s[12:13], 1
	v_mov_b32_e32 v4, 0
	v_mov_b32_e32 v2, 0
	;; [unrolled: 1-line block ×6, first 2 shown]
	s_lshl_b32 s9, s6, 5
	s_or_b32 s6, s28, s14
	s_lshl_b32 s14, s7, 5
	s_and_b32 vcc_lo, exec_lo, s6
	s_cbranch_vccnz .LBB473_12
; %bb.4:
	s_add_u32 s6, s22, s0
	s_addc_u32 s7, s23, s1
	s_lshl_b64 s[22:23], s[26:27], 3
	s_load_dwordx2 s[6:7], s[6:7], 0x0
	v_lshl_add_u32 v10, v1, 4, v0
	v_and_b32_e32 v16, 7, v0
	v_mov_b32_e32 v2, 0
	v_mov_b32_e32 v4, 0
	;; [unrolled: 1-line block ×3, first 2 shown]
	v_and_b32_e32 v11, 31, v10
	v_lshrrev_b32_e32 v14, 3, v10
	v_lshrrev_b32_e32 v19, 5, v10
	v_lshlrev_b32_e32 v20, 3, v16
	v_mov_b32_e32 v8, 0
	v_or_b32_e32 v15, s9, v11
	v_add_nc_u32_e32 v10, s14, v14
	v_lshlrev_b32_e32 v21, 3, v11
	v_lshl_or_b32 v23, v14, 6, v20
	v_lshlrev_b32_e32 v17, 3, v0
	v_mul_lo_u32 v22, s19, v15
	v_mad_u64_u32 v[12:13], null, s18, v15, 0
	v_ashrrev_i32_e32 v11, 31, v10
	s_waitcnt lgkmcnt(0)
	s_add_u32 s15, s6, s22
	s_addc_u32 s22, s7, s23
	s_add_u32 s0, s16, s0
	s_addc_u32 s1, s17, s1
	s_lshl_b64 s[6:7], s[20:21], 3
	s_load_dwordx2 s[0:1], s[0:1], 0x0
	v_lshl_or_b32 v20, v19, 8, v21
	v_add_nc_u32_e32 v21, 0x800, v23
	v_lshl_add_u32 v18, v1, 6, 0x800
	v_mov_b32_e32 v3, 0
	v_mov_b32_e32 v5, 0
	;; [unrolled: 1-line block ×4, first 2 shown]
	s_waitcnt lgkmcnt(0)
	s_add_u32 s6, s0, s6
	s_addc_u32 s7, s1, s7
	s_ashr_i32 s0, s9, 31
	s_mul_i32 s1, s18, s0
	v_cmp_gt_i32_e64 s0, s8, v15
	v_add3_u32 v13, v13, s1, v22
	v_lshlrev_b64 v[14:15], 3, v[10:11]
	v_cmp_gt_i32_e64 s1, s8, v10
	v_lshlrev_b64 v[10:11], 3, v[12:13]
	v_add_co_u32 v22, vcc_lo, s15, v14
	v_add_co_ci_u32_e64 v23, null, s22, v15, vcc_lo
	v_add_co_u32 v24, vcc_lo, s6, v10
	v_add_co_ci_u32_e64 v25, null, s7, v11, vcc_lo
	v_mov_b32_e32 v11, 0
	s_mov_b64 s[6:7], 0
	s_branch .LBB473_6
.LBB473_5:                              ;   in Loop: Header=BB473_6 Depth=1
	s_or_b32 exec_lo, exec_lo, s15
	s_waitcnt vmcnt(0) lgkmcnt(0)
	ds_write_b64 v21, v[14:15]
	s_waitcnt lgkmcnt(0)
	s_barrier
	buffer_gl0_inv
	ds_read_b128 v[12:15], v18
	ds_read2_b64 v[26:29], v17 offset1:16
	ds_read_b128 v[30:33], v18 offset:1024
	ds_read_b128 v[34:37], v18 offset:16
	ds_read2_b64 v[38:41], v17 offset0:32 offset1:48
	ds_read_b128 v[42:45], v18 offset:1040
	s_add_u32 s6, s6, 8
	s_addc_u32 s7, s7, 0
	v_cmp_gt_i64_e64 s15, s[12:13], s[6:7]
	s_and_b32 vcc_lo, exec_lo, s15
	s_waitcnt lgkmcnt(4)
	v_fma_f64 v[8:9], v[26:27], v[12:13], v[8:9]
	v_fma_f64 v[6:7], v[28:29], v[12:13], v[6:7]
	s_waitcnt lgkmcnt(3)
	v_fma_f64 v[12:13], v[26:27], v[30:31], v[4:5]
	v_fma_f64 v[26:27], v[28:29], v[30:31], v[2:3]
	ds_read2_b64 v[2:5], v17 offset0:64 offset1:80
	s_waitcnt lgkmcnt(2)
	v_fma_f64 v[28:29], v[38:39], v[14:15], v[8:9]
	v_fma_f64 v[14:15], v[40:41], v[14:15], v[6:7]
	;; [unrolled: 1-line block ×4, first 2 shown]
	ds_read2_b64 v[6:9], v17 offset0:96 offset1:112
	s_waitcnt lgkmcnt(1)
	v_fma_f64 v[28:29], v[2:3], v[34:35], v[28:29]
	v_fma_f64 v[30:31], v[4:5], v[34:35], v[14:15]
	;; [unrolled: 1-line block ×4, first 2 shown]
	ds_read_b128 v[2:5], v18 offset:32
	ds_read2_b64 v[12:15], v17 offset0:128 offset1:144
	s_waitcnt lgkmcnt(2)
	v_fma_f64 v[38:39], v[6:7], v[36:37], v[28:29]
	v_fma_f64 v[40:41], v[8:9], v[36:37], v[30:31]
	;; [unrolled: 1-line block ×4, first 2 shown]
	ds_read_b128 v[6:9], v18 offset:1056
	ds_read_b128 v[26:29], v18 offset:48
	ds_read2_b64 v[30:33], v17 offset0:160 offset1:176
	ds_read_b128 v[34:37], v18 offset:1072
	s_waitcnt lgkmcnt(4)
	v_fma_f64 v[38:39], v[12:13], v[2:3], v[38:39]
	v_fma_f64 v[2:3], v[14:15], v[2:3], v[40:41]
	s_waitcnt lgkmcnt(3)
	v_fma_f64 v[40:41], v[12:13], v[6:7], v[42:43]
	v_fma_f64 v[6:7], v[14:15], v[6:7], v[44:45]
	ds_read2_b64 v[12:15], v17 offset0:192 offset1:208
	s_waitcnt lgkmcnt(2)
	v_fma_f64 v[38:39], v[30:31], v[4:5], v[38:39]
	v_fma_f64 v[2:3], v[32:33], v[4:5], v[2:3]
	;; [unrolled: 1-line block ×4, first 2 shown]
	ds_read2_b64 v[30:33], v17 offset0:224 offset1:240
	s_waitcnt lgkmcnt(0)
	s_barrier
	buffer_gl0_inv
	v_fma_f64 v[8:9], v[12:13], v[26:27], v[38:39]
	v_fma_f64 v[2:3], v[14:15], v[26:27], v[2:3]
	;; [unrolled: 1-line block ×8, first 2 shown]
	s_cbranch_vccz .LBB473_12
.LBB473_6:                              ; =>This Inner Loop Header: Depth=1
	v_mov_b32_e32 v12, 0
	v_mov_b32_e32 v13, 0
	s_and_saveexec_b32 s15, s0
	s_cbranch_execz .LBB473_10
; %bb.7:                                ;   in Loop: Header=BB473_6 Depth=1
	v_mov_b32_e32 v12, 0
	v_add_nc_u32_e32 v10, s6, v19
	v_mov_b32_e32 v13, 0
	s_mov_b32 s16, exec_lo
	v_cmpx_gt_u64_e64 s[12:13], v[10:11]
	s_cbranch_execz .LBB473_9
; %bb.8:                                ;   in Loop: Header=BB473_6 Depth=1
	v_lshlrev_b64 v[12:13], 3, v[10:11]
	v_add_co_u32 v12, vcc_lo, v24, v12
	v_add_co_ci_u32_e64 v13, null, v25, v13, vcc_lo
	flat_load_dwordx2 v[12:13], v[12:13]
.LBB473_9:                              ;   in Loop: Header=BB473_6 Depth=1
	s_or_b32 exec_lo, exec_lo, s16
.LBB473_10:                             ;   in Loop: Header=BB473_6 Depth=1
	s_or_b32 exec_lo, exec_lo, s15
	v_add_nc_u32_e32 v10, s6, v16
	v_mov_b32_e32 v14, 0
	v_mov_b32_e32 v15, 0
	s_waitcnt vmcnt(0) lgkmcnt(0)
	ds_write_b64 v20, v[12:13]
	v_cmp_gt_u64_e32 vcc_lo, s[12:13], v[10:11]
	s_and_b32 s16, vcc_lo, s1
	s_and_saveexec_b32 s15, s16
	s_cbranch_execz .LBB473_5
; %bb.11:                               ;   in Loop: Header=BB473_6 Depth=1
	v_mad_u64_u32 v[12:13], null, s24, v10, 0
	v_mad_u64_u32 v[13:14], null, s25, v10, v[13:14]
	v_lshlrev_b64 v[12:13], 3, v[12:13]
	v_add_co_u32 v12, vcc_lo, v22, v12
	v_add_co_ci_u32_e64 v13, null, v23, v13, vcc_lo
	flat_load_dwordx2 v[14:15], v[12:13]
	s_branch .LBB473_5
.LBB473_12:
	v_add_nc_u32_e32 v13, s14, v1
	v_cmp_neq_f64_e64 s6, s[2:3], 0
	v_add_nc_u32_e32 v0, s9, v0
	s_lshl_b64 s[0:1], s[42:43], 3
	s_waitcnt lgkmcnt(0)
	s_add_u32 s4, s4, s0
	v_ashrrev_i32_e32 v1, 31, v13
	v_mul_lo_u32 v12, s41, v13
	v_mad_u64_u32 v[10:11], null, s40, v13, 0
	s_addc_u32 s5, s5, s1
	v_mul_lo_u32 v1, s40, v1
	v_cmp_gt_i32_e64 s0, s8, v13
	v_cmp_le_i32_e32 vcc_lo, v0, v13
	s_and_b32 s7, s0, vcc_lo
	v_add3_u32 v11, v11, v1, v12
	v_ashrrev_i32_e32 v1, 31, v0
	v_cndmask_b32_e64 v12, 0, 1, s6
	v_lshlrev_b64 v[10:11], 3, v[10:11]
	v_add_co_u32 v14, s1, s4, v10
	v_add_co_ci_u32_e64 v15, null, s5, v11, s1
	s_and_saveexec_b32 s1, s7
	s_cbranch_execz .LBB473_16
; %bb.13:
	v_mul_f64 v[8:9], s[10:11], v[8:9]
	v_lshlrev_b64 v[10:11], 3, v[0:1]
	v_add_co_u32 v10, vcc_lo, v14, v10
	v_add_co_ci_u32_e64 v11, null, v15, v11, vcc_lo
	s_andn2_b32 vcc_lo, exec_lo, s6
	s_cbranch_vccnz .LBB473_15
; %bb.14:
	flat_load_dwordx2 v[16:17], v[10:11]
	s_waitcnt vmcnt(0) lgkmcnt(0)
	v_fma_f64 v[8:9], s[2:3], v[16:17], v[8:9]
.LBB473_15:
	flat_store_dwordx2 v[10:11], v[8:9]
.LBB473_16:
	s_or_b32 exec_lo, exec_lo, s1
	v_add_nc_u32_e32 v8, 16, v0
	v_cmp_le_i32_e32 vcc_lo, v8, v13
	v_ashrrev_i32_e32 v9, 31, v8
	s_and_b32 s0, s0, vcc_lo
	s_and_saveexec_b32 s1, s0
	s_cbranch_execz .LBB473_20
; %bb.17:
	v_mul_f64 v[6:7], s[10:11], v[6:7]
	v_lshlrev_b64 v[10:11], 3, v[8:9]
	v_cmp_ne_u32_e32 vcc_lo, 1, v12
	v_add_co_u32 v10, s0, v14, v10
	v_add_co_ci_u32_e64 v11, null, v15, v11, s0
	s_cbranch_vccnz .LBB473_19
; %bb.18:
	flat_load_dwordx2 v[14:15], v[10:11]
	s_waitcnt vmcnt(0) lgkmcnt(0)
	v_fma_f64 v[6:7], s[2:3], v[14:15], v[6:7]
.LBB473_19:
	flat_store_dwordx2 v[10:11], v[6:7]
.LBB473_20:
	s_or_b32 exec_lo, exec_lo, s1
	v_add_nc_u32_e32 v10, 16, v13
	v_ashrrev_i32_e32 v11, 31, v10
	v_mul_lo_u32 v13, s41, v10
	v_mad_u64_u32 v[6:7], null, s40, v10, 0
	v_cmp_gt_i32_e64 s0, s8, v10
	v_mul_lo_u32 v11, s40, v11
	v_cmp_le_i32_e32 vcc_lo, v0, v10
	v_add3_u32 v7, v7, v11, v13
	v_lshlrev_b64 v[6:7], 3, v[6:7]
	v_add_co_u32 v6, s1, s4, v6
	v_add_co_ci_u32_e64 v7, null, s5, v7, s1
	s_and_b32 s1, s0, vcc_lo
	s_and_saveexec_b32 s4, s1
	s_cbranch_execz .LBB473_24
; %bb.21:
	v_mul_f64 v[4:5], s[10:11], v[4:5]
	v_lshlrev_b64 v[0:1], 3, v[0:1]
	v_cmp_ne_u32_e32 vcc_lo, 1, v12
	v_add_co_u32 v0, s1, v6, v0
	v_add_co_ci_u32_e64 v1, null, v7, v1, s1
	s_cbranch_vccnz .LBB473_23
; %bb.22:
	flat_load_dwordx2 v[13:14], v[0:1]
	s_waitcnt vmcnt(0) lgkmcnt(0)
	v_fma_f64 v[4:5], s[2:3], v[13:14], v[4:5]
.LBB473_23:
	flat_store_dwordx2 v[0:1], v[4:5]
.LBB473_24:
	s_or_b32 exec_lo, exec_lo, s4
	v_cmp_le_i32_e32 vcc_lo, v8, v10
	s_and_b32 s0, s0, vcc_lo
	s_and_saveexec_b32 s1, s0
	s_cbranch_execz .LBB473_28
; %bb.25:
	v_mul_f64 v[0:1], s[10:11], v[2:3]
	v_lshlrev_b64 v[2:3], 3, v[8:9]
	v_cmp_ne_u32_e32 vcc_lo, 1, v12
	v_add_co_u32 v2, s0, v6, v2
	v_add_co_ci_u32_e64 v3, null, v7, v3, s0
	s_cbranch_vccnz .LBB473_27
; %bb.26:
	flat_load_dwordx2 v[4:5], v[2:3]
	s_waitcnt vmcnt(0) lgkmcnt(0)
	v_fma_f64 v[0:1], s[2:3], v[4:5], v[0:1]
.LBB473_27:
	flat_store_dwordx2 v[2:3], v[0:1]
.LBB473_28:
	s_endpgm
	.section	.rodata,"a",@progbits
	.p2align	6, 0x0
	.amdhsa_kernel _ZL29rocblas_internal_gemmt_kernelIlLi16ELi32ELi8ELc84ELc67ELc85ELb0ELb0EdPKdPKS1_PKPdEviT_T9_T10_S7_lS9_S7_lS8_T11_S7_li
		.amdhsa_group_segment_fixed_size 4096
		.amdhsa_private_segment_fixed_size 0
		.amdhsa_kernarg_size 108
		.amdhsa_user_sgpr_count 6
		.amdhsa_user_sgpr_private_segment_buffer 1
		.amdhsa_user_sgpr_dispatch_ptr 0
		.amdhsa_user_sgpr_queue_ptr 0
		.amdhsa_user_sgpr_kernarg_segment_ptr 1
		.amdhsa_user_sgpr_dispatch_id 0
		.amdhsa_user_sgpr_flat_scratch_init 0
		.amdhsa_user_sgpr_private_segment_size 0
		.amdhsa_wavefront_size32 1
		.amdhsa_uses_dynamic_stack 0
		.amdhsa_system_sgpr_private_segment_wavefront_offset 0
		.amdhsa_system_sgpr_workgroup_id_x 1
		.amdhsa_system_sgpr_workgroup_id_y 1
		.amdhsa_system_sgpr_workgroup_id_z 1
		.amdhsa_system_sgpr_workgroup_info 0
		.amdhsa_system_vgpr_workitem_id 1
		.amdhsa_next_free_vgpr 46
		.amdhsa_next_free_sgpr 44
		.amdhsa_reserve_vcc 1
		.amdhsa_reserve_flat_scratch 0
		.amdhsa_float_round_mode_32 0
		.amdhsa_float_round_mode_16_64 0
		.amdhsa_float_denorm_mode_32 3
		.amdhsa_float_denorm_mode_16_64 3
		.amdhsa_dx10_clamp 1
		.amdhsa_ieee_mode 1
		.amdhsa_fp16_overflow 0
		.amdhsa_workgroup_processor_mode 1
		.amdhsa_memory_ordered 1
		.amdhsa_forward_progress 1
		.amdhsa_shared_vgpr_count 0
		.amdhsa_exception_fp_ieee_invalid_op 0
		.amdhsa_exception_fp_denorm_src 0
		.amdhsa_exception_fp_ieee_div_zero 0
		.amdhsa_exception_fp_ieee_overflow 0
		.amdhsa_exception_fp_ieee_underflow 0
		.amdhsa_exception_fp_ieee_inexact 0
		.amdhsa_exception_int_div_zero 0
	.end_amdhsa_kernel
	.section	.text._ZL29rocblas_internal_gemmt_kernelIlLi16ELi32ELi8ELc84ELc67ELc85ELb0ELb0EdPKdPKS1_PKPdEviT_T9_T10_S7_lS9_S7_lS8_T11_S7_li,"axG",@progbits,_ZL29rocblas_internal_gemmt_kernelIlLi16ELi32ELi8ELc84ELc67ELc85ELb0ELb0EdPKdPKS1_PKPdEviT_T9_T10_S7_lS9_S7_lS8_T11_S7_li,comdat
.Lfunc_end473:
	.size	_ZL29rocblas_internal_gemmt_kernelIlLi16ELi32ELi8ELc84ELc67ELc85ELb0ELb0EdPKdPKS1_PKPdEviT_T9_T10_S7_lS9_S7_lS8_T11_S7_li, .Lfunc_end473-_ZL29rocblas_internal_gemmt_kernelIlLi16ELi32ELi8ELc84ELc67ELc85ELb0ELb0EdPKdPKS1_PKPdEviT_T9_T10_S7_lS9_S7_lS8_T11_S7_li
                                        ; -- End function
	.set _ZL29rocblas_internal_gemmt_kernelIlLi16ELi32ELi8ELc84ELc67ELc85ELb0ELb0EdPKdPKS1_PKPdEviT_T9_T10_S7_lS9_S7_lS8_T11_S7_li.num_vgpr, 46
	.set _ZL29rocblas_internal_gemmt_kernelIlLi16ELi32ELi8ELc84ELc67ELc85ELb0ELb0EdPKdPKS1_PKPdEviT_T9_T10_S7_lS9_S7_lS8_T11_S7_li.num_agpr, 0
	.set _ZL29rocblas_internal_gemmt_kernelIlLi16ELi32ELi8ELc84ELc67ELc85ELb0ELb0EdPKdPKS1_PKPdEviT_T9_T10_S7_lS9_S7_lS8_T11_S7_li.numbered_sgpr, 44
	.set _ZL29rocblas_internal_gemmt_kernelIlLi16ELi32ELi8ELc84ELc67ELc85ELb0ELb0EdPKdPKS1_PKPdEviT_T9_T10_S7_lS9_S7_lS8_T11_S7_li.num_named_barrier, 0
	.set _ZL29rocblas_internal_gemmt_kernelIlLi16ELi32ELi8ELc84ELc67ELc85ELb0ELb0EdPKdPKS1_PKPdEviT_T9_T10_S7_lS9_S7_lS8_T11_S7_li.private_seg_size, 0
	.set _ZL29rocblas_internal_gemmt_kernelIlLi16ELi32ELi8ELc84ELc67ELc85ELb0ELb0EdPKdPKS1_PKPdEviT_T9_T10_S7_lS9_S7_lS8_T11_S7_li.uses_vcc, 1
	.set _ZL29rocblas_internal_gemmt_kernelIlLi16ELi32ELi8ELc84ELc67ELc85ELb0ELb0EdPKdPKS1_PKPdEviT_T9_T10_S7_lS9_S7_lS8_T11_S7_li.uses_flat_scratch, 0
	.set _ZL29rocblas_internal_gemmt_kernelIlLi16ELi32ELi8ELc84ELc67ELc85ELb0ELb0EdPKdPKS1_PKPdEviT_T9_T10_S7_lS9_S7_lS8_T11_S7_li.has_dyn_sized_stack, 0
	.set _ZL29rocblas_internal_gemmt_kernelIlLi16ELi32ELi8ELc84ELc67ELc85ELb0ELb0EdPKdPKS1_PKPdEviT_T9_T10_S7_lS9_S7_lS8_T11_S7_li.has_recursion, 0
	.set _ZL29rocblas_internal_gemmt_kernelIlLi16ELi32ELi8ELc84ELc67ELc85ELb0ELb0EdPKdPKS1_PKPdEviT_T9_T10_S7_lS9_S7_lS8_T11_S7_li.has_indirect_call, 0
	.section	.AMDGPU.csdata,"",@progbits
; Kernel info:
; codeLenInByte = 1688
; TotalNumSgprs: 46
; NumVgprs: 46
; ScratchSize: 0
; MemoryBound: 0
; FloatMode: 240
; IeeeMode: 1
; LDSByteSize: 4096 bytes/workgroup (compile time only)
; SGPRBlocks: 0
; VGPRBlocks: 5
; NumSGPRsForWavesPerEU: 46
; NumVGPRsForWavesPerEU: 46
; Occupancy: 16
; WaveLimiterHint : 1
; COMPUTE_PGM_RSRC2:SCRATCH_EN: 0
; COMPUTE_PGM_RSRC2:USER_SGPR: 6
; COMPUTE_PGM_RSRC2:TRAP_HANDLER: 0
; COMPUTE_PGM_RSRC2:TGID_X_EN: 1
; COMPUTE_PGM_RSRC2:TGID_Y_EN: 1
; COMPUTE_PGM_RSRC2:TGID_Z_EN: 1
; COMPUTE_PGM_RSRC2:TIDIG_COMP_CNT: 1
	.section	.text._ZL29rocblas_internal_gemmt_kernelIlLi16ELi32ELi8ELc67ELc78ELc85ELb0ELb0EdPKdPKS1_PKPdEviT_T9_T10_S7_lS9_S7_lS8_T11_S7_li,"axG",@progbits,_ZL29rocblas_internal_gemmt_kernelIlLi16ELi32ELi8ELc67ELc78ELc85ELb0ELb0EdPKdPKS1_PKPdEviT_T9_T10_S7_lS9_S7_lS8_T11_S7_li,comdat
	.globl	_ZL29rocblas_internal_gemmt_kernelIlLi16ELi32ELi8ELc67ELc78ELc85ELb0ELb0EdPKdPKS1_PKPdEviT_T9_T10_S7_lS9_S7_lS8_T11_S7_li ; -- Begin function _ZL29rocblas_internal_gemmt_kernelIlLi16ELi32ELi8ELc67ELc78ELc85ELb0ELb0EdPKdPKS1_PKPdEviT_T9_T10_S7_lS9_S7_lS8_T11_S7_li
	.p2align	8
	.type	_ZL29rocblas_internal_gemmt_kernelIlLi16ELi32ELi8ELc67ELc78ELc85ELb0ELb0EdPKdPKS1_PKPdEviT_T9_T10_S7_lS9_S7_lS8_T11_S7_li,@function
_ZL29rocblas_internal_gemmt_kernelIlLi16ELi32ELi8ELc67ELc78ELc85ELb0ELb0EdPKdPKS1_PKPdEviT_T9_T10_S7_lS9_S7_lS8_T11_S7_li: ; @_ZL29rocblas_internal_gemmt_kernelIlLi16ELi32ELi8ELc67ELc78ELc85ELb0ELb0EdPKdPKS1_PKPdEviT_T9_T10_S7_lS9_S7_lS8_T11_S7_li
; %bb.0:
	s_load_dwordx8 s[36:43], s[4:5], 0x48
	s_waitcnt lgkmcnt(0)
	s_load_dwordx2 s[2:3], s[36:37], 0x0
	s_load_dwordx16 s[12:27], s[4:5], 0x8
	s_waitcnt lgkmcnt(0)
	v_cmp_neq_f64_e64 s0, s[2:3], 1.0
	s_load_dwordx2 s[10:11], s[14:15], 0x0
	s_and_b32 vcc_lo, exec_lo, s0
	s_cbranch_vccnz .LBB474_2
; %bb.1:
	s_waitcnt lgkmcnt(0)
	v_cmp_neq_f64_e64 s0, s[10:11], 0
	s_cmp_lg_u64 s[12:13], 0
	s_cselect_b32 s1, -1, 0
	s_and_b32 s0, s1, s0
.LBB474_2:
	s_andn2_b32 vcc_lo, exec_lo, s0
	s_cbranch_vccnz .LBB474_28
; %bb.3:
	s_waitcnt lgkmcnt(0)
	v_cmp_eq_f64_e64 s28, s[10:11], 0
	s_mov_b32 s9, 0
	v_mov_b32_e32 v8, 0
	s_lshl_b64 s[0:1], s[8:9], 3
	v_mov_b32_e32 v6, 0
	s_add_u32 s14, s38, s0
	s_addc_u32 s15, s39, s1
	s_load_dword s8, s[4:5], 0x0
	s_load_dwordx2 s[4:5], s[14:15], 0x0
	v_cmp_lt_i64_e64 s14, s[12:13], 1
	v_mov_b32_e32 v4, 0
	v_mov_b32_e32 v2, 0
	;; [unrolled: 1-line block ×6, first 2 shown]
	s_lshl_b32 s9, s6, 5
	s_or_b32 s6, s28, s14
	s_lshl_b32 s14, s7, 5
	s_and_b32 vcc_lo, exec_lo, s6
	s_cbranch_vccnz .LBB474_12
; %bb.4:
	s_add_u32 s6, s22, s0
	s_addc_u32 s7, s23, s1
	s_lshl_b64 s[22:23], s[26:27], 3
	s_load_dwordx2 s[6:7], s[6:7], 0x0
	v_lshl_add_u32 v12, v1, 4, v0
	v_and_b32_e32 v16, 7, v0
	v_mov_b32_e32 v2, 0
	v_mov_b32_e32 v4, 0
	;; [unrolled: 1-line block ×3, first 2 shown]
	v_lshrrev_b32_e32 v14, 3, v12
	v_and_b32_e32 v13, 31, v12
	v_lshlrev_b32_e32 v23, 3, v16
	v_mov_b32_e32 v8, 0
	v_lshlrev_b32_e32 v17, 3, v0
	v_add_nc_u32_e32 v15, s14, v14
	v_or_b32_e32 v20, s9, v13
	v_lshlrev_b32_e32 v24, 3, v13
	v_lshl_or_b32 v14, v14, 6, v23
	v_lshl_add_u32 v18, v1, 6, 0x800
	v_ashrrev_i32_e32 v19, 31, v15
	v_mul_lo_u32 v21, s25, v15
	v_mad_u64_u32 v[10:11], null, s24, v15, 0
	s_waitcnt lgkmcnt(0)
	s_add_u32 s15, s6, s22
	s_addc_u32 s22, s7, s23
	s_add_u32 s0, s16, s0
	s_addc_u32 s1, s17, s1
	v_mul_lo_u32 v22, s24, v19
	s_load_dwordx2 s[0:1], s[0:1], 0x0
	v_lshrrev_b32_e32 v19, 5, v12
	v_mul_lo_u32 v25, s19, v20
	v_mad_u64_u32 v[12:13], null, s18, v20, 0
	s_lshl_b64 s[6:7], s[20:21], 3
	v_mov_b32_e32 v3, 0
	v_add3_u32 v11, v11, v22, v21
	v_mov_b32_e32 v5, 0
	v_mov_b32_e32 v7, 0
	;; [unrolled: 1-line block ×3, first 2 shown]
	v_add_nc_u32_e32 v21, 0x800, v14
	v_lshlrev_b64 v[10:11], 3, v[10:11]
	v_add_co_u32 v22, vcc_lo, s15, v10
	s_waitcnt lgkmcnt(0)
	s_add_u32 s6, s0, s6
	s_addc_u32 s7, s1, s7
	s_ashr_i32 s0, s9, 31
	v_add_co_ci_u32_e64 v23, null, s22, v11, vcc_lo
	s_mul_i32 s1, s18, s0
	v_cmp_gt_i32_e64 s0, s8, v20
	v_add3_u32 v13, v13, s1, v25
	v_lshl_or_b32 v20, v19, 8, v24
	v_cmp_gt_i32_e64 s1, s8, v15
	v_mov_b32_e32 v11, 0
	v_lshlrev_b64 v[12:13], 3, v[12:13]
	v_add_co_u32 v24, vcc_lo, s6, v12
	v_add_co_ci_u32_e64 v25, null, s7, v13, vcc_lo
	s_mov_b64 s[6:7], 0
	s_branch .LBB474_6
.LBB474_5:                              ;   in Loop: Header=BB474_6 Depth=1
	s_or_b32 exec_lo, exec_lo, s15
	s_waitcnt vmcnt(0) lgkmcnt(0)
	ds_write_b64 v21, v[14:15]
	s_waitcnt lgkmcnt(0)
	s_barrier
	buffer_gl0_inv
	ds_read_b128 v[12:15], v18
	ds_read2_b64 v[26:29], v17 offset1:16
	ds_read_b128 v[30:33], v18 offset:1024
	ds_read_b128 v[34:37], v18 offset:16
	ds_read2_b64 v[38:41], v17 offset0:32 offset1:48
	ds_read_b128 v[42:45], v18 offset:1040
	s_add_u32 s6, s6, 8
	s_addc_u32 s7, s7, 0
	v_cmp_gt_i64_e64 s15, s[12:13], s[6:7]
	s_and_b32 vcc_lo, exec_lo, s15
	s_waitcnt lgkmcnt(4)
	v_fma_f64 v[8:9], v[26:27], v[12:13], v[8:9]
	v_fma_f64 v[6:7], v[28:29], v[12:13], v[6:7]
	s_waitcnt lgkmcnt(3)
	v_fma_f64 v[12:13], v[26:27], v[30:31], v[4:5]
	v_fma_f64 v[26:27], v[28:29], v[30:31], v[2:3]
	ds_read2_b64 v[2:5], v17 offset0:64 offset1:80
	s_waitcnt lgkmcnt(2)
	v_fma_f64 v[28:29], v[38:39], v[14:15], v[8:9]
	v_fma_f64 v[14:15], v[40:41], v[14:15], v[6:7]
	v_fma_f64 v[12:13], v[38:39], v[32:33], v[12:13]
	v_fma_f64 v[26:27], v[40:41], v[32:33], v[26:27]
	ds_read2_b64 v[6:9], v17 offset0:96 offset1:112
	s_waitcnt lgkmcnt(1)
	v_fma_f64 v[28:29], v[2:3], v[34:35], v[28:29]
	v_fma_f64 v[30:31], v[4:5], v[34:35], v[14:15]
	;; [unrolled: 1-line block ×4, first 2 shown]
	ds_read_b128 v[2:5], v18 offset:32
	ds_read2_b64 v[12:15], v17 offset0:128 offset1:144
	s_waitcnt lgkmcnt(2)
	v_fma_f64 v[38:39], v[6:7], v[36:37], v[28:29]
	v_fma_f64 v[40:41], v[8:9], v[36:37], v[30:31]
	;; [unrolled: 1-line block ×4, first 2 shown]
	ds_read_b128 v[6:9], v18 offset:1056
	ds_read_b128 v[26:29], v18 offset:48
	ds_read2_b64 v[30:33], v17 offset0:160 offset1:176
	ds_read_b128 v[34:37], v18 offset:1072
	s_waitcnt lgkmcnt(4)
	v_fma_f64 v[38:39], v[12:13], v[2:3], v[38:39]
	v_fma_f64 v[2:3], v[14:15], v[2:3], v[40:41]
	s_waitcnt lgkmcnt(3)
	v_fma_f64 v[40:41], v[12:13], v[6:7], v[42:43]
	v_fma_f64 v[6:7], v[14:15], v[6:7], v[44:45]
	ds_read2_b64 v[12:15], v17 offset0:192 offset1:208
	s_waitcnt lgkmcnt(2)
	v_fma_f64 v[38:39], v[30:31], v[4:5], v[38:39]
	v_fma_f64 v[2:3], v[32:33], v[4:5], v[2:3]
	;; [unrolled: 1-line block ×4, first 2 shown]
	ds_read2_b64 v[30:33], v17 offset0:224 offset1:240
	s_waitcnt lgkmcnt(0)
	s_barrier
	buffer_gl0_inv
	v_fma_f64 v[8:9], v[12:13], v[26:27], v[38:39]
	v_fma_f64 v[2:3], v[14:15], v[26:27], v[2:3]
	;; [unrolled: 1-line block ×8, first 2 shown]
	s_cbranch_vccz .LBB474_12
.LBB474_6:                              ; =>This Inner Loop Header: Depth=1
	v_mov_b32_e32 v12, 0
	v_mov_b32_e32 v13, 0
	s_and_saveexec_b32 s15, s0
	s_cbranch_execz .LBB474_10
; %bb.7:                                ;   in Loop: Header=BB474_6 Depth=1
	v_mov_b32_e32 v12, 0
	v_add_nc_u32_e32 v10, s6, v19
	v_mov_b32_e32 v13, 0
	s_mov_b32 s16, exec_lo
	v_cmpx_gt_u64_e64 s[12:13], v[10:11]
	s_cbranch_execz .LBB474_9
; %bb.8:                                ;   in Loop: Header=BB474_6 Depth=1
	v_lshlrev_b64 v[12:13], 3, v[10:11]
	v_add_co_u32 v12, vcc_lo, v24, v12
	v_add_co_ci_u32_e64 v13, null, v25, v13, vcc_lo
	flat_load_dwordx2 v[12:13], v[12:13]
.LBB474_9:                              ;   in Loop: Header=BB474_6 Depth=1
	s_or_b32 exec_lo, exec_lo, s16
.LBB474_10:                             ;   in Loop: Header=BB474_6 Depth=1
	s_or_b32 exec_lo, exec_lo, s15
	v_add_nc_u32_e32 v10, s6, v16
	v_mov_b32_e32 v14, 0
	v_mov_b32_e32 v15, 0
	s_waitcnt vmcnt(0) lgkmcnt(0)
	ds_write_b64 v20, v[12:13]
	v_cmp_gt_u64_e32 vcc_lo, s[12:13], v[10:11]
	s_and_b32 s16, vcc_lo, s1
	s_and_saveexec_b32 s15, s16
	s_cbranch_execz .LBB474_5
; %bb.11:                               ;   in Loop: Header=BB474_6 Depth=1
	v_lshlrev_b64 v[12:13], 3, v[10:11]
	v_add_co_u32 v12, vcc_lo, v22, v12
	v_add_co_ci_u32_e64 v13, null, v23, v13, vcc_lo
	flat_load_dwordx2 v[14:15], v[12:13]
	s_branch .LBB474_5
.LBB474_12:
	v_add_nc_u32_e32 v13, s14, v1
	v_cmp_neq_f64_e64 s6, s[2:3], 0
	v_add_nc_u32_e32 v0, s9, v0
	s_lshl_b64 s[0:1], s[42:43], 3
	s_waitcnt lgkmcnt(0)
	s_add_u32 s4, s4, s0
	v_ashrrev_i32_e32 v1, 31, v13
	v_mul_lo_u32 v12, s41, v13
	v_mad_u64_u32 v[10:11], null, s40, v13, 0
	s_addc_u32 s5, s5, s1
	v_mul_lo_u32 v1, s40, v1
	v_cmp_gt_i32_e64 s0, s8, v13
	v_cmp_le_i32_e32 vcc_lo, v0, v13
	s_and_b32 s7, s0, vcc_lo
	v_add3_u32 v11, v11, v1, v12
	v_ashrrev_i32_e32 v1, 31, v0
	v_cndmask_b32_e64 v12, 0, 1, s6
	v_lshlrev_b64 v[10:11], 3, v[10:11]
	v_add_co_u32 v14, s1, s4, v10
	v_add_co_ci_u32_e64 v15, null, s5, v11, s1
	s_and_saveexec_b32 s1, s7
	s_cbranch_execz .LBB474_16
; %bb.13:
	v_mul_f64 v[8:9], s[10:11], v[8:9]
	v_lshlrev_b64 v[10:11], 3, v[0:1]
	v_add_co_u32 v10, vcc_lo, v14, v10
	v_add_co_ci_u32_e64 v11, null, v15, v11, vcc_lo
	s_andn2_b32 vcc_lo, exec_lo, s6
	s_cbranch_vccnz .LBB474_15
; %bb.14:
	flat_load_dwordx2 v[16:17], v[10:11]
	s_waitcnt vmcnt(0) lgkmcnt(0)
	v_fma_f64 v[8:9], s[2:3], v[16:17], v[8:9]
.LBB474_15:
	flat_store_dwordx2 v[10:11], v[8:9]
.LBB474_16:
	s_or_b32 exec_lo, exec_lo, s1
	v_add_nc_u32_e32 v8, 16, v0
	v_cmp_le_i32_e32 vcc_lo, v8, v13
	v_ashrrev_i32_e32 v9, 31, v8
	s_and_b32 s0, s0, vcc_lo
	s_and_saveexec_b32 s1, s0
	s_cbranch_execz .LBB474_20
; %bb.17:
	v_mul_f64 v[6:7], s[10:11], v[6:7]
	v_lshlrev_b64 v[10:11], 3, v[8:9]
	v_cmp_ne_u32_e32 vcc_lo, 1, v12
	v_add_co_u32 v10, s0, v14, v10
	v_add_co_ci_u32_e64 v11, null, v15, v11, s0
	s_cbranch_vccnz .LBB474_19
; %bb.18:
	flat_load_dwordx2 v[14:15], v[10:11]
	s_waitcnt vmcnt(0) lgkmcnt(0)
	v_fma_f64 v[6:7], s[2:3], v[14:15], v[6:7]
.LBB474_19:
	flat_store_dwordx2 v[10:11], v[6:7]
.LBB474_20:
	s_or_b32 exec_lo, exec_lo, s1
	v_add_nc_u32_e32 v10, 16, v13
	v_ashrrev_i32_e32 v11, 31, v10
	v_mul_lo_u32 v13, s41, v10
	v_mad_u64_u32 v[6:7], null, s40, v10, 0
	v_cmp_gt_i32_e64 s0, s8, v10
	v_mul_lo_u32 v11, s40, v11
	v_cmp_le_i32_e32 vcc_lo, v0, v10
	v_add3_u32 v7, v7, v11, v13
	v_lshlrev_b64 v[6:7], 3, v[6:7]
	v_add_co_u32 v6, s1, s4, v6
	v_add_co_ci_u32_e64 v7, null, s5, v7, s1
	s_and_b32 s1, s0, vcc_lo
	s_and_saveexec_b32 s4, s1
	s_cbranch_execz .LBB474_24
; %bb.21:
	v_mul_f64 v[4:5], s[10:11], v[4:5]
	v_lshlrev_b64 v[0:1], 3, v[0:1]
	v_cmp_ne_u32_e32 vcc_lo, 1, v12
	v_add_co_u32 v0, s1, v6, v0
	v_add_co_ci_u32_e64 v1, null, v7, v1, s1
	s_cbranch_vccnz .LBB474_23
; %bb.22:
	flat_load_dwordx2 v[13:14], v[0:1]
	s_waitcnt vmcnt(0) lgkmcnt(0)
	v_fma_f64 v[4:5], s[2:3], v[13:14], v[4:5]
.LBB474_23:
	flat_store_dwordx2 v[0:1], v[4:5]
.LBB474_24:
	s_or_b32 exec_lo, exec_lo, s4
	v_cmp_le_i32_e32 vcc_lo, v8, v10
	s_and_b32 s0, s0, vcc_lo
	s_and_saveexec_b32 s1, s0
	s_cbranch_execz .LBB474_28
; %bb.25:
	v_mul_f64 v[0:1], s[10:11], v[2:3]
	v_lshlrev_b64 v[2:3], 3, v[8:9]
	v_cmp_ne_u32_e32 vcc_lo, 1, v12
	v_add_co_u32 v2, s0, v6, v2
	v_add_co_ci_u32_e64 v3, null, v7, v3, s0
	s_cbranch_vccnz .LBB474_27
; %bb.26:
	flat_load_dwordx2 v[4:5], v[2:3]
	s_waitcnt vmcnt(0) lgkmcnt(0)
	v_fma_f64 v[0:1], s[2:3], v[4:5], v[0:1]
.LBB474_27:
	flat_store_dwordx2 v[2:3], v[0:1]
.LBB474_28:
	s_endpgm
	.section	.rodata,"a",@progbits
	.p2align	6, 0x0
	.amdhsa_kernel _ZL29rocblas_internal_gemmt_kernelIlLi16ELi32ELi8ELc67ELc78ELc85ELb0ELb0EdPKdPKS1_PKPdEviT_T9_T10_S7_lS9_S7_lS8_T11_S7_li
		.amdhsa_group_segment_fixed_size 4096
		.amdhsa_private_segment_fixed_size 0
		.amdhsa_kernarg_size 108
		.amdhsa_user_sgpr_count 6
		.amdhsa_user_sgpr_private_segment_buffer 1
		.amdhsa_user_sgpr_dispatch_ptr 0
		.amdhsa_user_sgpr_queue_ptr 0
		.amdhsa_user_sgpr_kernarg_segment_ptr 1
		.amdhsa_user_sgpr_dispatch_id 0
		.amdhsa_user_sgpr_flat_scratch_init 0
		.amdhsa_user_sgpr_private_segment_size 0
		.amdhsa_wavefront_size32 1
		.amdhsa_uses_dynamic_stack 0
		.amdhsa_system_sgpr_private_segment_wavefront_offset 0
		.amdhsa_system_sgpr_workgroup_id_x 1
		.amdhsa_system_sgpr_workgroup_id_y 1
		.amdhsa_system_sgpr_workgroup_id_z 1
		.amdhsa_system_sgpr_workgroup_info 0
		.amdhsa_system_vgpr_workitem_id 1
		.amdhsa_next_free_vgpr 46
		.amdhsa_next_free_sgpr 44
		.amdhsa_reserve_vcc 1
		.amdhsa_reserve_flat_scratch 0
		.amdhsa_float_round_mode_32 0
		.amdhsa_float_round_mode_16_64 0
		.amdhsa_float_denorm_mode_32 3
		.amdhsa_float_denorm_mode_16_64 3
		.amdhsa_dx10_clamp 1
		.amdhsa_ieee_mode 1
		.amdhsa_fp16_overflow 0
		.amdhsa_workgroup_processor_mode 1
		.amdhsa_memory_ordered 1
		.amdhsa_forward_progress 1
		.amdhsa_shared_vgpr_count 0
		.amdhsa_exception_fp_ieee_invalid_op 0
		.amdhsa_exception_fp_denorm_src 0
		.amdhsa_exception_fp_ieee_div_zero 0
		.amdhsa_exception_fp_ieee_overflow 0
		.amdhsa_exception_fp_ieee_underflow 0
		.amdhsa_exception_fp_ieee_inexact 0
		.amdhsa_exception_int_div_zero 0
	.end_amdhsa_kernel
	.section	.text._ZL29rocblas_internal_gemmt_kernelIlLi16ELi32ELi8ELc67ELc78ELc85ELb0ELb0EdPKdPKS1_PKPdEviT_T9_T10_S7_lS9_S7_lS8_T11_S7_li,"axG",@progbits,_ZL29rocblas_internal_gemmt_kernelIlLi16ELi32ELi8ELc67ELc78ELc85ELb0ELb0EdPKdPKS1_PKPdEviT_T9_T10_S7_lS9_S7_lS8_T11_S7_li,comdat
.Lfunc_end474:
	.size	_ZL29rocblas_internal_gemmt_kernelIlLi16ELi32ELi8ELc67ELc78ELc85ELb0ELb0EdPKdPKS1_PKPdEviT_T9_T10_S7_lS9_S7_lS8_T11_S7_li, .Lfunc_end474-_ZL29rocblas_internal_gemmt_kernelIlLi16ELi32ELi8ELc67ELc78ELc85ELb0ELb0EdPKdPKS1_PKPdEviT_T9_T10_S7_lS9_S7_lS8_T11_S7_li
                                        ; -- End function
	.set _ZL29rocblas_internal_gemmt_kernelIlLi16ELi32ELi8ELc67ELc78ELc85ELb0ELb0EdPKdPKS1_PKPdEviT_T9_T10_S7_lS9_S7_lS8_T11_S7_li.num_vgpr, 46
	.set _ZL29rocblas_internal_gemmt_kernelIlLi16ELi32ELi8ELc67ELc78ELc85ELb0ELb0EdPKdPKS1_PKPdEviT_T9_T10_S7_lS9_S7_lS8_T11_S7_li.num_agpr, 0
	.set _ZL29rocblas_internal_gemmt_kernelIlLi16ELi32ELi8ELc67ELc78ELc85ELb0ELb0EdPKdPKS1_PKPdEviT_T9_T10_S7_lS9_S7_lS8_T11_S7_li.numbered_sgpr, 44
	.set _ZL29rocblas_internal_gemmt_kernelIlLi16ELi32ELi8ELc67ELc78ELc85ELb0ELb0EdPKdPKS1_PKPdEviT_T9_T10_S7_lS9_S7_lS8_T11_S7_li.num_named_barrier, 0
	.set _ZL29rocblas_internal_gemmt_kernelIlLi16ELi32ELi8ELc67ELc78ELc85ELb0ELb0EdPKdPKS1_PKPdEviT_T9_T10_S7_lS9_S7_lS8_T11_S7_li.private_seg_size, 0
	.set _ZL29rocblas_internal_gemmt_kernelIlLi16ELi32ELi8ELc67ELc78ELc85ELb0ELb0EdPKdPKS1_PKPdEviT_T9_T10_S7_lS9_S7_lS8_T11_S7_li.uses_vcc, 1
	.set _ZL29rocblas_internal_gemmt_kernelIlLi16ELi32ELi8ELc67ELc78ELc85ELb0ELb0EdPKdPKS1_PKPdEviT_T9_T10_S7_lS9_S7_lS8_T11_S7_li.uses_flat_scratch, 0
	.set _ZL29rocblas_internal_gemmt_kernelIlLi16ELi32ELi8ELc67ELc78ELc85ELb0ELb0EdPKdPKS1_PKPdEviT_T9_T10_S7_lS9_S7_lS8_T11_S7_li.has_dyn_sized_stack, 0
	.set _ZL29rocblas_internal_gemmt_kernelIlLi16ELi32ELi8ELc67ELc78ELc85ELb0ELb0EdPKdPKS1_PKPdEviT_T9_T10_S7_lS9_S7_lS8_T11_S7_li.has_recursion, 0
	.set _ZL29rocblas_internal_gemmt_kernelIlLi16ELi32ELi8ELc67ELc78ELc85ELb0ELb0EdPKdPKS1_PKPdEviT_T9_T10_S7_lS9_S7_lS8_T11_S7_li.has_indirect_call, 0
	.section	.AMDGPU.csdata,"",@progbits
; Kernel info:
; codeLenInByte = 1704
; TotalNumSgprs: 46
; NumVgprs: 46
; ScratchSize: 0
; MemoryBound: 0
; FloatMode: 240
; IeeeMode: 1
; LDSByteSize: 4096 bytes/workgroup (compile time only)
; SGPRBlocks: 0
; VGPRBlocks: 5
; NumSGPRsForWavesPerEU: 46
; NumVGPRsForWavesPerEU: 46
; Occupancy: 16
; WaveLimiterHint : 1
; COMPUTE_PGM_RSRC2:SCRATCH_EN: 0
; COMPUTE_PGM_RSRC2:USER_SGPR: 6
; COMPUTE_PGM_RSRC2:TRAP_HANDLER: 0
; COMPUTE_PGM_RSRC2:TGID_X_EN: 1
; COMPUTE_PGM_RSRC2:TGID_Y_EN: 1
; COMPUTE_PGM_RSRC2:TGID_Z_EN: 1
; COMPUTE_PGM_RSRC2:TIDIG_COMP_CNT: 1
	.section	.text._ZL29rocblas_internal_gemmt_kernelIlLi16ELi32ELi8ELc67ELc84ELc85ELb0ELb0EdPKdPKS1_PKPdEviT_T9_T10_S7_lS9_S7_lS8_T11_S7_li,"axG",@progbits,_ZL29rocblas_internal_gemmt_kernelIlLi16ELi32ELi8ELc67ELc84ELc85ELb0ELb0EdPKdPKS1_PKPdEviT_T9_T10_S7_lS9_S7_lS8_T11_S7_li,comdat
	.globl	_ZL29rocblas_internal_gemmt_kernelIlLi16ELi32ELi8ELc67ELc84ELc85ELb0ELb0EdPKdPKS1_PKPdEviT_T9_T10_S7_lS9_S7_lS8_T11_S7_li ; -- Begin function _ZL29rocblas_internal_gemmt_kernelIlLi16ELi32ELi8ELc67ELc84ELc85ELb0ELb0EdPKdPKS1_PKPdEviT_T9_T10_S7_lS9_S7_lS8_T11_S7_li
	.p2align	8
	.type	_ZL29rocblas_internal_gemmt_kernelIlLi16ELi32ELi8ELc67ELc84ELc85ELb0ELb0EdPKdPKS1_PKPdEviT_T9_T10_S7_lS9_S7_lS8_T11_S7_li,@function
_ZL29rocblas_internal_gemmt_kernelIlLi16ELi32ELi8ELc67ELc84ELc85ELb0ELb0EdPKdPKS1_PKPdEviT_T9_T10_S7_lS9_S7_lS8_T11_S7_li: ; @_ZL29rocblas_internal_gemmt_kernelIlLi16ELi32ELi8ELc67ELc84ELc85ELb0ELb0EdPKdPKS1_PKPdEviT_T9_T10_S7_lS9_S7_lS8_T11_S7_li
; %bb.0:
	s_load_dwordx8 s[36:43], s[4:5], 0x48
	s_waitcnt lgkmcnt(0)
	s_load_dwordx2 s[2:3], s[36:37], 0x0
	s_load_dwordx16 s[12:27], s[4:5], 0x8
	s_waitcnt lgkmcnt(0)
	v_cmp_neq_f64_e64 s0, s[2:3], 1.0
	s_load_dwordx2 s[10:11], s[14:15], 0x0
	s_and_b32 vcc_lo, exec_lo, s0
	s_cbranch_vccnz .LBB475_2
; %bb.1:
	s_waitcnt lgkmcnt(0)
	v_cmp_neq_f64_e64 s0, s[10:11], 0
	s_cmp_lg_u64 s[12:13], 0
	s_cselect_b32 s1, -1, 0
	s_and_b32 s0, s1, s0
.LBB475_2:
	s_andn2_b32 vcc_lo, exec_lo, s0
	s_cbranch_vccnz .LBB475_28
; %bb.3:
	s_waitcnt lgkmcnt(0)
	v_cmp_eq_f64_e64 s28, s[10:11], 0
	s_mov_b32 s9, 0
	v_mov_b32_e32 v8, 0
	s_lshl_b64 s[0:1], s[8:9], 3
	v_mov_b32_e32 v6, 0
	s_add_u32 s14, s38, s0
	s_addc_u32 s15, s39, s1
	s_load_dword s8, s[4:5], 0x0
	s_load_dwordx2 s[4:5], s[14:15], 0x0
	v_cmp_lt_i64_e64 s14, s[12:13], 1
	v_mov_b32_e32 v4, 0
	v_mov_b32_e32 v2, 0
	;; [unrolled: 1-line block ×6, first 2 shown]
	s_lshl_b32 s9, s6, 5
	s_or_b32 s6, s28, s14
	s_lshl_b32 s14, s7, 5
	s_and_b32 vcc_lo, exec_lo, s6
	s_cbranch_vccnz .LBB475_12
; %bb.4:
	s_add_u32 s6, s22, s0
	s_addc_u32 s7, s23, s1
	s_lshl_b64 s[22:23], s[26:27], 3
	s_load_dwordx2 s[6:7], s[6:7], 0x0
	v_lshl_add_u32 v10, v1, 4, v0
	v_and_b32_e32 v16, 7, v0
	v_mov_b32_e32 v2, 0
	v_mov_b32_e32 v4, 0
	;; [unrolled: 1-line block ×3, first 2 shown]
	v_and_b32_e32 v11, 31, v10
	v_lshrrev_b32_e32 v14, 3, v10
	v_lshrrev_b32_e32 v19, 5, v10
	v_lshlrev_b32_e32 v20, 3, v16
	v_mov_b32_e32 v8, 0
	v_or_b32_e32 v15, s9, v11
	v_add_nc_u32_e32 v10, s14, v14
	v_lshlrev_b32_e32 v21, 3, v11
	v_lshl_or_b32 v23, v14, 6, v20
	v_lshlrev_b32_e32 v17, 3, v0
	v_mul_lo_u32 v22, s19, v15
	v_mad_u64_u32 v[12:13], null, s18, v15, 0
	v_ashrrev_i32_e32 v11, 31, v10
	s_waitcnt lgkmcnt(0)
	s_add_u32 s15, s6, s22
	s_addc_u32 s22, s7, s23
	s_add_u32 s0, s16, s0
	s_addc_u32 s1, s17, s1
	s_lshl_b64 s[6:7], s[20:21], 3
	s_load_dwordx2 s[0:1], s[0:1], 0x0
	v_lshl_or_b32 v20, v19, 8, v21
	v_add_nc_u32_e32 v21, 0x800, v23
	v_lshl_add_u32 v18, v1, 6, 0x800
	v_mov_b32_e32 v3, 0
	v_mov_b32_e32 v5, 0
	;; [unrolled: 1-line block ×4, first 2 shown]
	s_waitcnt lgkmcnt(0)
	s_add_u32 s6, s0, s6
	s_addc_u32 s7, s1, s7
	s_ashr_i32 s0, s9, 31
	s_mul_i32 s1, s18, s0
	v_cmp_gt_i32_e64 s0, s8, v15
	v_add3_u32 v13, v13, s1, v22
	v_lshlrev_b64 v[14:15], 3, v[10:11]
	v_cmp_gt_i32_e64 s1, s8, v10
	v_lshlrev_b64 v[10:11], 3, v[12:13]
	v_add_co_u32 v22, vcc_lo, s15, v14
	v_add_co_ci_u32_e64 v23, null, s22, v15, vcc_lo
	v_add_co_u32 v24, vcc_lo, s6, v10
	v_add_co_ci_u32_e64 v25, null, s7, v11, vcc_lo
	v_mov_b32_e32 v11, 0
	s_mov_b64 s[6:7], 0
	s_branch .LBB475_6
.LBB475_5:                              ;   in Loop: Header=BB475_6 Depth=1
	s_or_b32 exec_lo, exec_lo, s15
	s_waitcnt vmcnt(0) lgkmcnt(0)
	ds_write_b64 v21, v[14:15]
	s_waitcnt lgkmcnt(0)
	s_barrier
	buffer_gl0_inv
	ds_read_b128 v[12:15], v18
	ds_read2_b64 v[26:29], v17 offset1:16
	ds_read_b128 v[30:33], v18 offset:1024
	ds_read_b128 v[34:37], v18 offset:16
	ds_read2_b64 v[38:41], v17 offset0:32 offset1:48
	ds_read_b128 v[42:45], v18 offset:1040
	s_add_u32 s6, s6, 8
	s_addc_u32 s7, s7, 0
	v_cmp_gt_i64_e64 s15, s[12:13], s[6:7]
	s_and_b32 vcc_lo, exec_lo, s15
	s_waitcnt lgkmcnt(4)
	v_fma_f64 v[8:9], v[26:27], v[12:13], v[8:9]
	v_fma_f64 v[6:7], v[28:29], v[12:13], v[6:7]
	s_waitcnt lgkmcnt(3)
	v_fma_f64 v[12:13], v[26:27], v[30:31], v[4:5]
	v_fma_f64 v[26:27], v[28:29], v[30:31], v[2:3]
	ds_read2_b64 v[2:5], v17 offset0:64 offset1:80
	s_waitcnt lgkmcnt(2)
	v_fma_f64 v[28:29], v[38:39], v[14:15], v[8:9]
	v_fma_f64 v[14:15], v[40:41], v[14:15], v[6:7]
	v_fma_f64 v[12:13], v[38:39], v[32:33], v[12:13]
	v_fma_f64 v[26:27], v[40:41], v[32:33], v[26:27]
	ds_read2_b64 v[6:9], v17 offset0:96 offset1:112
	s_waitcnt lgkmcnt(1)
	v_fma_f64 v[28:29], v[2:3], v[34:35], v[28:29]
	v_fma_f64 v[30:31], v[4:5], v[34:35], v[14:15]
	;; [unrolled: 1-line block ×4, first 2 shown]
	ds_read_b128 v[2:5], v18 offset:32
	ds_read2_b64 v[12:15], v17 offset0:128 offset1:144
	s_waitcnt lgkmcnt(2)
	v_fma_f64 v[38:39], v[6:7], v[36:37], v[28:29]
	v_fma_f64 v[40:41], v[8:9], v[36:37], v[30:31]
	;; [unrolled: 1-line block ×4, first 2 shown]
	ds_read_b128 v[6:9], v18 offset:1056
	ds_read_b128 v[26:29], v18 offset:48
	ds_read2_b64 v[30:33], v17 offset0:160 offset1:176
	ds_read_b128 v[34:37], v18 offset:1072
	s_waitcnt lgkmcnt(4)
	v_fma_f64 v[38:39], v[12:13], v[2:3], v[38:39]
	v_fma_f64 v[2:3], v[14:15], v[2:3], v[40:41]
	s_waitcnt lgkmcnt(3)
	v_fma_f64 v[40:41], v[12:13], v[6:7], v[42:43]
	v_fma_f64 v[6:7], v[14:15], v[6:7], v[44:45]
	ds_read2_b64 v[12:15], v17 offset0:192 offset1:208
	s_waitcnt lgkmcnt(2)
	v_fma_f64 v[38:39], v[30:31], v[4:5], v[38:39]
	v_fma_f64 v[2:3], v[32:33], v[4:5], v[2:3]
	;; [unrolled: 1-line block ×4, first 2 shown]
	ds_read2_b64 v[30:33], v17 offset0:224 offset1:240
	s_waitcnt lgkmcnt(0)
	s_barrier
	buffer_gl0_inv
	v_fma_f64 v[8:9], v[12:13], v[26:27], v[38:39]
	v_fma_f64 v[2:3], v[14:15], v[26:27], v[2:3]
	;; [unrolled: 1-line block ×8, first 2 shown]
	s_cbranch_vccz .LBB475_12
.LBB475_6:                              ; =>This Inner Loop Header: Depth=1
	v_mov_b32_e32 v12, 0
	v_mov_b32_e32 v13, 0
	s_and_saveexec_b32 s15, s0
	s_cbranch_execz .LBB475_10
; %bb.7:                                ;   in Loop: Header=BB475_6 Depth=1
	v_mov_b32_e32 v12, 0
	v_add_nc_u32_e32 v10, s6, v19
	v_mov_b32_e32 v13, 0
	s_mov_b32 s16, exec_lo
	v_cmpx_gt_u64_e64 s[12:13], v[10:11]
	s_cbranch_execz .LBB475_9
; %bb.8:                                ;   in Loop: Header=BB475_6 Depth=1
	v_lshlrev_b64 v[12:13], 3, v[10:11]
	v_add_co_u32 v12, vcc_lo, v24, v12
	v_add_co_ci_u32_e64 v13, null, v25, v13, vcc_lo
	flat_load_dwordx2 v[12:13], v[12:13]
.LBB475_9:                              ;   in Loop: Header=BB475_6 Depth=1
	s_or_b32 exec_lo, exec_lo, s16
.LBB475_10:                             ;   in Loop: Header=BB475_6 Depth=1
	s_or_b32 exec_lo, exec_lo, s15
	v_add_nc_u32_e32 v10, s6, v16
	v_mov_b32_e32 v14, 0
	v_mov_b32_e32 v15, 0
	s_waitcnt vmcnt(0) lgkmcnt(0)
	ds_write_b64 v20, v[12:13]
	v_cmp_gt_u64_e32 vcc_lo, s[12:13], v[10:11]
	s_and_b32 s16, vcc_lo, s1
	s_and_saveexec_b32 s15, s16
	s_cbranch_execz .LBB475_5
; %bb.11:                               ;   in Loop: Header=BB475_6 Depth=1
	v_mad_u64_u32 v[12:13], null, s24, v10, 0
	v_mad_u64_u32 v[13:14], null, s25, v10, v[13:14]
	v_lshlrev_b64 v[12:13], 3, v[12:13]
	v_add_co_u32 v12, vcc_lo, v22, v12
	v_add_co_ci_u32_e64 v13, null, v23, v13, vcc_lo
	flat_load_dwordx2 v[14:15], v[12:13]
	s_branch .LBB475_5
.LBB475_12:
	v_add_nc_u32_e32 v13, s14, v1
	v_cmp_neq_f64_e64 s6, s[2:3], 0
	v_add_nc_u32_e32 v0, s9, v0
	s_lshl_b64 s[0:1], s[42:43], 3
	s_waitcnt lgkmcnt(0)
	s_add_u32 s4, s4, s0
	v_ashrrev_i32_e32 v1, 31, v13
	v_mul_lo_u32 v12, s41, v13
	v_mad_u64_u32 v[10:11], null, s40, v13, 0
	s_addc_u32 s5, s5, s1
	v_mul_lo_u32 v1, s40, v1
	v_cmp_gt_i32_e64 s0, s8, v13
	v_cmp_le_i32_e32 vcc_lo, v0, v13
	s_and_b32 s7, s0, vcc_lo
	v_add3_u32 v11, v11, v1, v12
	v_ashrrev_i32_e32 v1, 31, v0
	v_cndmask_b32_e64 v12, 0, 1, s6
	v_lshlrev_b64 v[10:11], 3, v[10:11]
	v_add_co_u32 v14, s1, s4, v10
	v_add_co_ci_u32_e64 v15, null, s5, v11, s1
	s_and_saveexec_b32 s1, s7
	s_cbranch_execz .LBB475_16
; %bb.13:
	v_mul_f64 v[8:9], s[10:11], v[8:9]
	v_lshlrev_b64 v[10:11], 3, v[0:1]
	v_add_co_u32 v10, vcc_lo, v14, v10
	v_add_co_ci_u32_e64 v11, null, v15, v11, vcc_lo
	s_andn2_b32 vcc_lo, exec_lo, s6
	s_cbranch_vccnz .LBB475_15
; %bb.14:
	flat_load_dwordx2 v[16:17], v[10:11]
	s_waitcnt vmcnt(0) lgkmcnt(0)
	v_fma_f64 v[8:9], s[2:3], v[16:17], v[8:9]
.LBB475_15:
	flat_store_dwordx2 v[10:11], v[8:9]
.LBB475_16:
	s_or_b32 exec_lo, exec_lo, s1
	v_add_nc_u32_e32 v8, 16, v0
	v_cmp_le_i32_e32 vcc_lo, v8, v13
	v_ashrrev_i32_e32 v9, 31, v8
	s_and_b32 s0, s0, vcc_lo
	s_and_saveexec_b32 s1, s0
	s_cbranch_execz .LBB475_20
; %bb.17:
	v_mul_f64 v[6:7], s[10:11], v[6:7]
	v_lshlrev_b64 v[10:11], 3, v[8:9]
	v_cmp_ne_u32_e32 vcc_lo, 1, v12
	v_add_co_u32 v10, s0, v14, v10
	v_add_co_ci_u32_e64 v11, null, v15, v11, s0
	s_cbranch_vccnz .LBB475_19
; %bb.18:
	flat_load_dwordx2 v[14:15], v[10:11]
	s_waitcnt vmcnt(0) lgkmcnt(0)
	v_fma_f64 v[6:7], s[2:3], v[14:15], v[6:7]
.LBB475_19:
	flat_store_dwordx2 v[10:11], v[6:7]
.LBB475_20:
	s_or_b32 exec_lo, exec_lo, s1
	v_add_nc_u32_e32 v10, 16, v13
	v_ashrrev_i32_e32 v11, 31, v10
	v_mul_lo_u32 v13, s41, v10
	v_mad_u64_u32 v[6:7], null, s40, v10, 0
	v_cmp_gt_i32_e64 s0, s8, v10
	v_mul_lo_u32 v11, s40, v11
	v_cmp_le_i32_e32 vcc_lo, v0, v10
	v_add3_u32 v7, v7, v11, v13
	v_lshlrev_b64 v[6:7], 3, v[6:7]
	v_add_co_u32 v6, s1, s4, v6
	v_add_co_ci_u32_e64 v7, null, s5, v7, s1
	s_and_b32 s1, s0, vcc_lo
	s_and_saveexec_b32 s4, s1
	s_cbranch_execz .LBB475_24
; %bb.21:
	v_mul_f64 v[4:5], s[10:11], v[4:5]
	v_lshlrev_b64 v[0:1], 3, v[0:1]
	v_cmp_ne_u32_e32 vcc_lo, 1, v12
	v_add_co_u32 v0, s1, v6, v0
	v_add_co_ci_u32_e64 v1, null, v7, v1, s1
	s_cbranch_vccnz .LBB475_23
; %bb.22:
	flat_load_dwordx2 v[13:14], v[0:1]
	s_waitcnt vmcnt(0) lgkmcnt(0)
	v_fma_f64 v[4:5], s[2:3], v[13:14], v[4:5]
.LBB475_23:
	flat_store_dwordx2 v[0:1], v[4:5]
.LBB475_24:
	s_or_b32 exec_lo, exec_lo, s4
	v_cmp_le_i32_e32 vcc_lo, v8, v10
	s_and_b32 s0, s0, vcc_lo
	s_and_saveexec_b32 s1, s0
	s_cbranch_execz .LBB475_28
; %bb.25:
	v_mul_f64 v[0:1], s[10:11], v[2:3]
	v_lshlrev_b64 v[2:3], 3, v[8:9]
	v_cmp_ne_u32_e32 vcc_lo, 1, v12
	v_add_co_u32 v2, s0, v6, v2
	v_add_co_ci_u32_e64 v3, null, v7, v3, s0
	s_cbranch_vccnz .LBB475_27
; %bb.26:
	flat_load_dwordx2 v[4:5], v[2:3]
	s_waitcnt vmcnt(0) lgkmcnt(0)
	v_fma_f64 v[0:1], s[2:3], v[4:5], v[0:1]
.LBB475_27:
	flat_store_dwordx2 v[2:3], v[0:1]
.LBB475_28:
	s_endpgm
	.section	.rodata,"a",@progbits
	.p2align	6, 0x0
	.amdhsa_kernel _ZL29rocblas_internal_gemmt_kernelIlLi16ELi32ELi8ELc67ELc84ELc85ELb0ELb0EdPKdPKS1_PKPdEviT_T9_T10_S7_lS9_S7_lS8_T11_S7_li
		.amdhsa_group_segment_fixed_size 4096
		.amdhsa_private_segment_fixed_size 0
		.amdhsa_kernarg_size 108
		.amdhsa_user_sgpr_count 6
		.amdhsa_user_sgpr_private_segment_buffer 1
		.amdhsa_user_sgpr_dispatch_ptr 0
		.amdhsa_user_sgpr_queue_ptr 0
		.amdhsa_user_sgpr_kernarg_segment_ptr 1
		.amdhsa_user_sgpr_dispatch_id 0
		.amdhsa_user_sgpr_flat_scratch_init 0
		.amdhsa_user_sgpr_private_segment_size 0
		.amdhsa_wavefront_size32 1
		.amdhsa_uses_dynamic_stack 0
		.amdhsa_system_sgpr_private_segment_wavefront_offset 0
		.amdhsa_system_sgpr_workgroup_id_x 1
		.amdhsa_system_sgpr_workgroup_id_y 1
		.amdhsa_system_sgpr_workgroup_id_z 1
		.amdhsa_system_sgpr_workgroup_info 0
		.amdhsa_system_vgpr_workitem_id 1
		.amdhsa_next_free_vgpr 46
		.amdhsa_next_free_sgpr 44
		.amdhsa_reserve_vcc 1
		.amdhsa_reserve_flat_scratch 0
		.amdhsa_float_round_mode_32 0
		.amdhsa_float_round_mode_16_64 0
		.amdhsa_float_denorm_mode_32 3
		.amdhsa_float_denorm_mode_16_64 3
		.amdhsa_dx10_clamp 1
		.amdhsa_ieee_mode 1
		.amdhsa_fp16_overflow 0
		.amdhsa_workgroup_processor_mode 1
		.amdhsa_memory_ordered 1
		.amdhsa_forward_progress 1
		.amdhsa_shared_vgpr_count 0
		.amdhsa_exception_fp_ieee_invalid_op 0
		.amdhsa_exception_fp_denorm_src 0
		.amdhsa_exception_fp_ieee_div_zero 0
		.amdhsa_exception_fp_ieee_overflow 0
		.amdhsa_exception_fp_ieee_underflow 0
		.amdhsa_exception_fp_ieee_inexact 0
		.amdhsa_exception_int_div_zero 0
	.end_amdhsa_kernel
	.section	.text._ZL29rocblas_internal_gemmt_kernelIlLi16ELi32ELi8ELc67ELc84ELc85ELb0ELb0EdPKdPKS1_PKPdEviT_T9_T10_S7_lS9_S7_lS8_T11_S7_li,"axG",@progbits,_ZL29rocblas_internal_gemmt_kernelIlLi16ELi32ELi8ELc67ELc84ELc85ELb0ELb0EdPKdPKS1_PKPdEviT_T9_T10_S7_lS9_S7_lS8_T11_S7_li,comdat
.Lfunc_end475:
	.size	_ZL29rocblas_internal_gemmt_kernelIlLi16ELi32ELi8ELc67ELc84ELc85ELb0ELb0EdPKdPKS1_PKPdEviT_T9_T10_S7_lS9_S7_lS8_T11_S7_li, .Lfunc_end475-_ZL29rocblas_internal_gemmt_kernelIlLi16ELi32ELi8ELc67ELc84ELc85ELb0ELb0EdPKdPKS1_PKPdEviT_T9_T10_S7_lS9_S7_lS8_T11_S7_li
                                        ; -- End function
	.set _ZL29rocblas_internal_gemmt_kernelIlLi16ELi32ELi8ELc67ELc84ELc85ELb0ELb0EdPKdPKS1_PKPdEviT_T9_T10_S7_lS9_S7_lS8_T11_S7_li.num_vgpr, 46
	.set _ZL29rocblas_internal_gemmt_kernelIlLi16ELi32ELi8ELc67ELc84ELc85ELb0ELb0EdPKdPKS1_PKPdEviT_T9_T10_S7_lS9_S7_lS8_T11_S7_li.num_agpr, 0
	.set _ZL29rocblas_internal_gemmt_kernelIlLi16ELi32ELi8ELc67ELc84ELc85ELb0ELb0EdPKdPKS1_PKPdEviT_T9_T10_S7_lS9_S7_lS8_T11_S7_li.numbered_sgpr, 44
	.set _ZL29rocblas_internal_gemmt_kernelIlLi16ELi32ELi8ELc67ELc84ELc85ELb0ELb0EdPKdPKS1_PKPdEviT_T9_T10_S7_lS9_S7_lS8_T11_S7_li.num_named_barrier, 0
	.set _ZL29rocblas_internal_gemmt_kernelIlLi16ELi32ELi8ELc67ELc84ELc85ELb0ELb0EdPKdPKS1_PKPdEviT_T9_T10_S7_lS9_S7_lS8_T11_S7_li.private_seg_size, 0
	.set _ZL29rocblas_internal_gemmt_kernelIlLi16ELi32ELi8ELc67ELc84ELc85ELb0ELb0EdPKdPKS1_PKPdEviT_T9_T10_S7_lS9_S7_lS8_T11_S7_li.uses_vcc, 1
	.set _ZL29rocblas_internal_gemmt_kernelIlLi16ELi32ELi8ELc67ELc84ELc85ELb0ELb0EdPKdPKS1_PKPdEviT_T9_T10_S7_lS9_S7_lS8_T11_S7_li.uses_flat_scratch, 0
	.set _ZL29rocblas_internal_gemmt_kernelIlLi16ELi32ELi8ELc67ELc84ELc85ELb0ELb0EdPKdPKS1_PKPdEviT_T9_T10_S7_lS9_S7_lS8_T11_S7_li.has_dyn_sized_stack, 0
	.set _ZL29rocblas_internal_gemmt_kernelIlLi16ELi32ELi8ELc67ELc84ELc85ELb0ELb0EdPKdPKS1_PKPdEviT_T9_T10_S7_lS9_S7_lS8_T11_S7_li.has_recursion, 0
	.set _ZL29rocblas_internal_gemmt_kernelIlLi16ELi32ELi8ELc67ELc84ELc85ELb0ELb0EdPKdPKS1_PKPdEviT_T9_T10_S7_lS9_S7_lS8_T11_S7_li.has_indirect_call, 0
	.section	.AMDGPU.csdata,"",@progbits
; Kernel info:
; codeLenInByte = 1688
; TotalNumSgprs: 46
; NumVgprs: 46
; ScratchSize: 0
; MemoryBound: 0
; FloatMode: 240
; IeeeMode: 1
; LDSByteSize: 4096 bytes/workgroup (compile time only)
; SGPRBlocks: 0
; VGPRBlocks: 5
; NumSGPRsForWavesPerEU: 46
; NumVGPRsForWavesPerEU: 46
; Occupancy: 16
; WaveLimiterHint : 1
; COMPUTE_PGM_RSRC2:SCRATCH_EN: 0
; COMPUTE_PGM_RSRC2:USER_SGPR: 6
; COMPUTE_PGM_RSRC2:TRAP_HANDLER: 0
; COMPUTE_PGM_RSRC2:TGID_X_EN: 1
; COMPUTE_PGM_RSRC2:TGID_Y_EN: 1
; COMPUTE_PGM_RSRC2:TGID_Z_EN: 1
; COMPUTE_PGM_RSRC2:TIDIG_COMP_CNT: 1
	.section	.text._ZL29rocblas_internal_gemmt_kernelIlLi16ELi32ELi8ELc67ELc67ELc85ELb0ELb0EdPKdPKS1_PKPdEviT_T9_T10_S7_lS9_S7_lS8_T11_S7_li,"axG",@progbits,_ZL29rocblas_internal_gemmt_kernelIlLi16ELi32ELi8ELc67ELc67ELc85ELb0ELb0EdPKdPKS1_PKPdEviT_T9_T10_S7_lS9_S7_lS8_T11_S7_li,comdat
	.globl	_ZL29rocblas_internal_gemmt_kernelIlLi16ELi32ELi8ELc67ELc67ELc85ELb0ELb0EdPKdPKS1_PKPdEviT_T9_T10_S7_lS9_S7_lS8_T11_S7_li ; -- Begin function _ZL29rocblas_internal_gemmt_kernelIlLi16ELi32ELi8ELc67ELc67ELc85ELb0ELb0EdPKdPKS1_PKPdEviT_T9_T10_S7_lS9_S7_lS8_T11_S7_li
	.p2align	8
	.type	_ZL29rocblas_internal_gemmt_kernelIlLi16ELi32ELi8ELc67ELc67ELc85ELb0ELb0EdPKdPKS1_PKPdEviT_T9_T10_S7_lS9_S7_lS8_T11_S7_li,@function
_ZL29rocblas_internal_gemmt_kernelIlLi16ELi32ELi8ELc67ELc67ELc85ELb0ELb0EdPKdPKS1_PKPdEviT_T9_T10_S7_lS9_S7_lS8_T11_S7_li: ; @_ZL29rocblas_internal_gemmt_kernelIlLi16ELi32ELi8ELc67ELc67ELc85ELb0ELb0EdPKdPKS1_PKPdEviT_T9_T10_S7_lS9_S7_lS8_T11_S7_li
; %bb.0:
	s_load_dwordx8 s[36:43], s[4:5], 0x48
	s_waitcnt lgkmcnt(0)
	s_load_dwordx2 s[2:3], s[36:37], 0x0
	s_load_dwordx16 s[12:27], s[4:5], 0x8
	s_waitcnt lgkmcnt(0)
	v_cmp_neq_f64_e64 s0, s[2:3], 1.0
	s_load_dwordx2 s[10:11], s[14:15], 0x0
	s_and_b32 vcc_lo, exec_lo, s0
	s_cbranch_vccnz .LBB476_2
; %bb.1:
	s_waitcnt lgkmcnt(0)
	v_cmp_neq_f64_e64 s0, s[10:11], 0
	s_cmp_lg_u64 s[12:13], 0
	s_cselect_b32 s1, -1, 0
	s_and_b32 s0, s1, s0
.LBB476_2:
	s_andn2_b32 vcc_lo, exec_lo, s0
	s_cbranch_vccnz .LBB476_28
; %bb.3:
	s_waitcnt lgkmcnt(0)
	v_cmp_eq_f64_e64 s28, s[10:11], 0
	s_mov_b32 s9, 0
	v_mov_b32_e32 v8, 0
	s_lshl_b64 s[0:1], s[8:9], 3
	v_mov_b32_e32 v6, 0
	s_add_u32 s14, s38, s0
	s_addc_u32 s15, s39, s1
	s_load_dword s8, s[4:5], 0x0
	s_load_dwordx2 s[4:5], s[14:15], 0x0
	v_cmp_lt_i64_e64 s14, s[12:13], 1
	v_mov_b32_e32 v4, 0
	v_mov_b32_e32 v2, 0
	;; [unrolled: 1-line block ×6, first 2 shown]
	s_lshl_b32 s9, s6, 5
	s_or_b32 s6, s28, s14
	s_lshl_b32 s14, s7, 5
	s_and_b32 vcc_lo, exec_lo, s6
	s_cbranch_vccnz .LBB476_12
; %bb.4:
	s_add_u32 s6, s22, s0
	s_addc_u32 s7, s23, s1
	s_lshl_b64 s[22:23], s[26:27], 3
	s_load_dwordx2 s[6:7], s[6:7], 0x0
	v_lshl_add_u32 v10, v1, 4, v0
	v_and_b32_e32 v16, 7, v0
	v_mov_b32_e32 v2, 0
	v_mov_b32_e32 v4, 0
	v_mov_b32_e32 v6, 0
	v_and_b32_e32 v11, 31, v10
	v_lshrrev_b32_e32 v14, 3, v10
	v_lshrrev_b32_e32 v19, 5, v10
	v_lshlrev_b32_e32 v20, 3, v16
	v_mov_b32_e32 v8, 0
	v_or_b32_e32 v15, s9, v11
	v_add_nc_u32_e32 v10, s14, v14
	v_lshlrev_b32_e32 v21, 3, v11
	v_lshl_or_b32 v23, v14, 6, v20
	v_lshlrev_b32_e32 v17, 3, v0
	v_mul_lo_u32 v22, s19, v15
	v_mad_u64_u32 v[12:13], null, s18, v15, 0
	v_ashrrev_i32_e32 v11, 31, v10
	s_waitcnt lgkmcnt(0)
	s_add_u32 s15, s6, s22
	s_addc_u32 s22, s7, s23
	s_add_u32 s0, s16, s0
	s_addc_u32 s1, s17, s1
	s_lshl_b64 s[6:7], s[20:21], 3
	s_load_dwordx2 s[0:1], s[0:1], 0x0
	v_lshl_or_b32 v20, v19, 8, v21
	v_add_nc_u32_e32 v21, 0x800, v23
	v_lshl_add_u32 v18, v1, 6, 0x800
	v_mov_b32_e32 v3, 0
	v_mov_b32_e32 v5, 0
	;; [unrolled: 1-line block ×4, first 2 shown]
	s_waitcnt lgkmcnt(0)
	s_add_u32 s6, s0, s6
	s_addc_u32 s7, s1, s7
	s_ashr_i32 s0, s9, 31
	s_mul_i32 s1, s18, s0
	v_cmp_gt_i32_e64 s0, s8, v15
	v_add3_u32 v13, v13, s1, v22
	v_lshlrev_b64 v[14:15], 3, v[10:11]
	v_cmp_gt_i32_e64 s1, s8, v10
	v_lshlrev_b64 v[10:11], 3, v[12:13]
	v_add_co_u32 v22, vcc_lo, s15, v14
	v_add_co_ci_u32_e64 v23, null, s22, v15, vcc_lo
	v_add_co_u32 v24, vcc_lo, s6, v10
	v_add_co_ci_u32_e64 v25, null, s7, v11, vcc_lo
	v_mov_b32_e32 v11, 0
	s_mov_b64 s[6:7], 0
	s_branch .LBB476_6
.LBB476_5:                              ;   in Loop: Header=BB476_6 Depth=1
	s_or_b32 exec_lo, exec_lo, s15
	s_waitcnt vmcnt(0) lgkmcnt(0)
	ds_write_b64 v21, v[14:15]
	s_waitcnt lgkmcnt(0)
	s_barrier
	buffer_gl0_inv
	ds_read_b128 v[12:15], v18
	ds_read2_b64 v[26:29], v17 offset1:16
	ds_read_b128 v[30:33], v18 offset:1024
	ds_read_b128 v[34:37], v18 offset:16
	ds_read2_b64 v[38:41], v17 offset0:32 offset1:48
	ds_read_b128 v[42:45], v18 offset:1040
	s_add_u32 s6, s6, 8
	s_addc_u32 s7, s7, 0
	v_cmp_gt_i64_e64 s15, s[12:13], s[6:7]
	s_and_b32 vcc_lo, exec_lo, s15
	s_waitcnt lgkmcnt(4)
	v_fma_f64 v[8:9], v[26:27], v[12:13], v[8:9]
	v_fma_f64 v[6:7], v[28:29], v[12:13], v[6:7]
	s_waitcnt lgkmcnt(3)
	v_fma_f64 v[12:13], v[26:27], v[30:31], v[4:5]
	v_fma_f64 v[26:27], v[28:29], v[30:31], v[2:3]
	ds_read2_b64 v[2:5], v17 offset0:64 offset1:80
	s_waitcnt lgkmcnt(2)
	v_fma_f64 v[28:29], v[38:39], v[14:15], v[8:9]
	v_fma_f64 v[14:15], v[40:41], v[14:15], v[6:7]
	;; [unrolled: 1-line block ×4, first 2 shown]
	ds_read2_b64 v[6:9], v17 offset0:96 offset1:112
	s_waitcnt lgkmcnt(1)
	v_fma_f64 v[28:29], v[2:3], v[34:35], v[28:29]
	v_fma_f64 v[30:31], v[4:5], v[34:35], v[14:15]
	;; [unrolled: 1-line block ×4, first 2 shown]
	ds_read_b128 v[2:5], v18 offset:32
	ds_read2_b64 v[12:15], v17 offset0:128 offset1:144
	s_waitcnt lgkmcnt(2)
	v_fma_f64 v[38:39], v[6:7], v[36:37], v[28:29]
	v_fma_f64 v[40:41], v[8:9], v[36:37], v[30:31]
	v_fma_f64 v[42:43], v[6:7], v[44:45], v[32:33]
	v_fma_f64 v[44:45], v[8:9], v[44:45], v[26:27]
	ds_read_b128 v[6:9], v18 offset:1056
	ds_read_b128 v[26:29], v18 offset:48
	ds_read2_b64 v[30:33], v17 offset0:160 offset1:176
	ds_read_b128 v[34:37], v18 offset:1072
	s_waitcnt lgkmcnt(4)
	v_fma_f64 v[38:39], v[12:13], v[2:3], v[38:39]
	v_fma_f64 v[2:3], v[14:15], v[2:3], v[40:41]
	s_waitcnt lgkmcnt(3)
	v_fma_f64 v[40:41], v[12:13], v[6:7], v[42:43]
	v_fma_f64 v[6:7], v[14:15], v[6:7], v[44:45]
	ds_read2_b64 v[12:15], v17 offset0:192 offset1:208
	s_waitcnt lgkmcnt(2)
	v_fma_f64 v[38:39], v[30:31], v[4:5], v[38:39]
	v_fma_f64 v[2:3], v[32:33], v[4:5], v[2:3]
	;; [unrolled: 1-line block ×4, first 2 shown]
	ds_read2_b64 v[30:33], v17 offset0:224 offset1:240
	s_waitcnt lgkmcnt(0)
	s_barrier
	buffer_gl0_inv
	v_fma_f64 v[8:9], v[12:13], v[26:27], v[38:39]
	v_fma_f64 v[2:3], v[14:15], v[26:27], v[2:3]
	;; [unrolled: 1-line block ×8, first 2 shown]
	s_cbranch_vccz .LBB476_12
.LBB476_6:                              ; =>This Inner Loop Header: Depth=1
	v_mov_b32_e32 v12, 0
	v_mov_b32_e32 v13, 0
	s_and_saveexec_b32 s15, s0
	s_cbranch_execz .LBB476_10
; %bb.7:                                ;   in Loop: Header=BB476_6 Depth=1
	v_mov_b32_e32 v12, 0
	v_add_nc_u32_e32 v10, s6, v19
	v_mov_b32_e32 v13, 0
	s_mov_b32 s16, exec_lo
	v_cmpx_gt_u64_e64 s[12:13], v[10:11]
	s_cbranch_execz .LBB476_9
; %bb.8:                                ;   in Loop: Header=BB476_6 Depth=1
	v_lshlrev_b64 v[12:13], 3, v[10:11]
	v_add_co_u32 v12, vcc_lo, v24, v12
	v_add_co_ci_u32_e64 v13, null, v25, v13, vcc_lo
	flat_load_dwordx2 v[12:13], v[12:13]
.LBB476_9:                              ;   in Loop: Header=BB476_6 Depth=1
	s_or_b32 exec_lo, exec_lo, s16
.LBB476_10:                             ;   in Loop: Header=BB476_6 Depth=1
	s_or_b32 exec_lo, exec_lo, s15
	v_add_nc_u32_e32 v10, s6, v16
	v_mov_b32_e32 v14, 0
	v_mov_b32_e32 v15, 0
	s_waitcnt vmcnt(0) lgkmcnt(0)
	ds_write_b64 v20, v[12:13]
	v_cmp_gt_u64_e32 vcc_lo, s[12:13], v[10:11]
	s_and_b32 s16, vcc_lo, s1
	s_and_saveexec_b32 s15, s16
	s_cbranch_execz .LBB476_5
; %bb.11:                               ;   in Loop: Header=BB476_6 Depth=1
	v_mad_u64_u32 v[12:13], null, s24, v10, 0
	v_mad_u64_u32 v[13:14], null, s25, v10, v[13:14]
	v_lshlrev_b64 v[12:13], 3, v[12:13]
	v_add_co_u32 v12, vcc_lo, v22, v12
	v_add_co_ci_u32_e64 v13, null, v23, v13, vcc_lo
	flat_load_dwordx2 v[14:15], v[12:13]
	s_branch .LBB476_5
.LBB476_12:
	v_add_nc_u32_e32 v13, s14, v1
	v_cmp_neq_f64_e64 s6, s[2:3], 0
	v_add_nc_u32_e32 v0, s9, v0
	s_lshl_b64 s[0:1], s[42:43], 3
	s_waitcnt lgkmcnt(0)
	s_add_u32 s4, s4, s0
	v_ashrrev_i32_e32 v1, 31, v13
	v_mul_lo_u32 v12, s41, v13
	v_mad_u64_u32 v[10:11], null, s40, v13, 0
	s_addc_u32 s5, s5, s1
	v_mul_lo_u32 v1, s40, v1
	v_cmp_gt_i32_e64 s0, s8, v13
	v_cmp_le_i32_e32 vcc_lo, v0, v13
	s_and_b32 s7, s0, vcc_lo
	v_add3_u32 v11, v11, v1, v12
	v_ashrrev_i32_e32 v1, 31, v0
	v_cndmask_b32_e64 v12, 0, 1, s6
	v_lshlrev_b64 v[10:11], 3, v[10:11]
	v_add_co_u32 v14, s1, s4, v10
	v_add_co_ci_u32_e64 v15, null, s5, v11, s1
	s_and_saveexec_b32 s1, s7
	s_cbranch_execz .LBB476_16
; %bb.13:
	v_mul_f64 v[8:9], s[10:11], v[8:9]
	v_lshlrev_b64 v[10:11], 3, v[0:1]
	v_add_co_u32 v10, vcc_lo, v14, v10
	v_add_co_ci_u32_e64 v11, null, v15, v11, vcc_lo
	s_andn2_b32 vcc_lo, exec_lo, s6
	s_cbranch_vccnz .LBB476_15
; %bb.14:
	flat_load_dwordx2 v[16:17], v[10:11]
	s_waitcnt vmcnt(0) lgkmcnt(0)
	v_fma_f64 v[8:9], s[2:3], v[16:17], v[8:9]
.LBB476_15:
	flat_store_dwordx2 v[10:11], v[8:9]
.LBB476_16:
	s_or_b32 exec_lo, exec_lo, s1
	v_add_nc_u32_e32 v8, 16, v0
	v_cmp_le_i32_e32 vcc_lo, v8, v13
	v_ashrrev_i32_e32 v9, 31, v8
	s_and_b32 s0, s0, vcc_lo
	s_and_saveexec_b32 s1, s0
	s_cbranch_execz .LBB476_20
; %bb.17:
	v_mul_f64 v[6:7], s[10:11], v[6:7]
	v_lshlrev_b64 v[10:11], 3, v[8:9]
	v_cmp_ne_u32_e32 vcc_lo, 1, v12
	v_add_co_u32 v10, s0, v14, v10
	v_add_co_ci_u32_e64 v11, null, v15, v11, s0
	s_cbranch_vccnz .LBB476_19
; %bb.18:
	flat_load_dwordx2 v[14:15], v[10:11]
	s_waitcnt vmcnt(0) lgkmcnt(0)
	v_fma_f64 v[6:7], s[2:3], v[14:15], v[6:7]
.LBB476_19:
	flat_store_dwordx2 v[10:11], v[6:7]
.LBB476_20:
	s_or_b32 exec_lo, exec_lo, s1
	v_add_nc_u32_e32 v10, 16, v13
	v_ashrrev_i32_e32 v11, 31, v10
	v_mul_lo_u32 v13, s41, v10
	v_mad_u64_u32 v[6:7], null, s40, v10, 0
	v_cmp_gt_i32_e64 s0, s8, v10
	v_mul_lo_u32 v11, s40, v11
	v_cmp_le_i32_e32 vcc_lo, v0, v10
	v_add3_u32 v7, v7, v11, v13
	v_lshlrev_b64 v[6:7], 3, v[6:7]
	v_add_co_u32 v6, s1, s4, v6
	v_add_co_ci_u32_e64 v7, null, s5, v7, s1
	s_and_b32 s1, s0, vcc_lo
	s_and_saveexec_b32 s4, s1
	s_cbranch_execz .LBB476_24
; %bb.21:
	v_mul_f64 v[4:5], s[10:11], v[4:5]
	v_lshlrev_b64 v[0:1], 3, v[0:1]
	v_cmp_ne_u32_e32 vcc_lo, 1, v12
	v_add_co_u32 v0, s1, v6, v0
	v_add_co_ci_u32_e64 v1, null, v7, v1, s1
	s_cbranch_vccnz .LBB476_23
; %bb.22:
	flat_load_dwordx2 v[13:14], v[0:1]
	s_waitcnt vmcnt(0) lgkmcnt(0)
	v_fma_f64 v[4:5], s[2:3], v[13:14], v[4:5]
.LBB476_23:
	flat_store_dwordx2 v[0:1], v[4:5]
.LBB476_24:
	s_or_b32 exec_lo, exec_lo, s4
	v_cmp_le_i32_e32 vcc_lo, v8, v10
	s_and_b32 s0, s0, vcc_lo
	s_and_saveexec_b32 s1, s0
	s_cbranch_execz .LBB476_28
; %bb.25:
	v_mul_f64 v[0:1], s[10:11], v[2:3]
	v_lshlrev_b64 v[2:3], 3, v[8:9]
	v_cmp_ne_u32_e32 vcc_lo, 1, v12
	v_add_co_u32 v2, s0, v6, v2
	v_add_co_ci_u32_e64 v3, null, v7, v3, s0
	s_cbranch_vccnz .LBB476_27
; %bb.26:
	flat_load_dwordx2 v[4:5], v[2:3]
	s_waitcnt vmcnt(0) lgkmcnt(0)
	v_fma_f64 v[0:1], s[2:3], v[4:5], v[0:1]
.LBB476_27:
	flat_store_dwordx2 v[2:3], v[0:1]
.LBB476_28:
	s_endpgm
	.section	.rodata,"a",@progbits
	.p2align	6, 0x0
	.amdhsa_kernel _ZL29rocblas_internal_gemmt_kernelIlLi16ELi32ELi8ELc67ELc67ELc85ELb0ELb0EdPKdPKS1_PKPdEviT_T9_T10_S7_lS9_S7_lS8_T11_S7_li
		.amdhsa_group_segment_fixed_size 4096
		.amdhsa_private_segment_fixed_size 0
		.amdhsa_kernarg_size 108
		.amdhsa_user_sgpr_count 6
		.amdhsa_user_sgpr_private_segment_buffer 1
		.amdhsa_user_sgpr_dispatch_ptr 0
		.amdhsa_user_sgpr_queue_ptr 0
		.amdhsa_user_sgpr_kernarg_segment_ptr 1
		.amdhsa_user_sgpr_dispatch_id 0
		.amdhsa_user_sgpr_flat_scratch_init 0
		.amdhsa_user_sgpr_private_segment_size 0
		.amdhsa_wavefront_size32 1
		.amdhsa_uses_dynamic_stack 0
		.amdhsa_system_sgpr_private_segment_wavefront_offset 0
		.amdhsa_system_sgpr_workgroup_id_x 1
		.amdhsa_system_sgpr_workgroup_id_y 1
		.amdhsa_system_sgpr_workgroup_id_z 1
		.amdhsa_system_sgpr_workgroup_info 0
		.amdhsa_system_vgpr_workitem_id 1
		.amdhsa_next_free_vgpr 46
		.amdhsa_next_free_sgpr 44
		.amdhsa_reserve_vcc 1
		.amdhsa_reserve_flat_scratch 0
		.amdhsa_float_round_mode_32 0
		.amdhsa_float_round_mode_16_64 0
		.amdhsa_float_denorm_mode_32 3
		.amdhsa_float_denorm_mode_16_64 3
		.amdhsa_dx10_clamp 1
		.amdhsa_ieee_mode 1
		.amdhsa_fp16_overflow 0
		.amdhsa_workgroup_processor_mode 1
		.amdhsa_memory_ordered 1
		.amdhsa_forward_progress 1
		.amdhsa_shared_vgpr_count 0
		.amdhsa_exception_fp_ieee_invalid_op 0
		.amdhsa_exception_fp_denorm_src 0
		.amdhsa_exception_fp_ieee_div_zero 0
		.amdhsa_exception_fp_ieee_overflow 0
		.amdhsa_exception_fp_ieee_underflow 0
		.amdhsa_exception_fp_ieee_inexact 0
		.amdhsa_exception_int_div_zero 0
	.end_amdhsa_kernel
	.section	.text._ZL29rocblas_internal_gemmt_kernelIlLi16ELi32ELi8ELc67ELc67ELc85ELb0ELb0EdPKdPKS1_PKPdEviT_T9_T10_S7_lS9_S7_lS8_T11_S7_li,"axG",@progbits,_ZL29rocblas_internal_gemmt_kernelIlLi16ELi32ELi8ELc67ELc67ELc85ELb0ELb0EdPKdPKS1_PKPdEviT_T9_T10_S7_lS9_S7_lS8_T11_S7_li,comdat
.Lfunc_end476:
	.size	_ZL29rocblas_internal_gemmt_kernelIlLi16ELi32ELi8ELc67ELc67ELc85ELb0ELb0EdPKdPKS1_PKPdEviT_T9_T10_S7_lS9_S7_lS8_T11_S7_li, .Lfunc_end476-_ZL29rocblas_internal_gemmt_kernelIlLi16ELi32ELi8ELc67ELc67ELc85ELb0ELb0EdPKdPKS1_PKPdEviT_T9_T10_S7_lS9_S7_lS8_T11_S7_li
                                        ; -- End function
	.set _ZL29rocblas_internal_gemmt_kernelIlLi16ELi32ELi8ELc67ELc67ELc85ELb0ELb0EdPKdPKS1_PKPdEviT_T9_T10_S7_lS9_S7_lS8_T11_S7_li.num_vgpr, 46
	.set _ZL29rocblas_internal_gemmt_kernelIlLi16ELi32ELi8ELc67ELc67ELc85ELb0ELb0EdPKdPKS1_PKPdEviT_T9_T10_S7_lS9_S7_lS8_T11_S7_li.num_agpr, 0
	.set _ZL29rocblas_internal_gemmt_kernelIlLi16ELi32ELi8ELc67ELc67ELc85ELb0ELb0EdPKdPKS1_PKPdEviT_T9_T10_S7_lS9_S7_lS8_T11_S7_li.numbered_sgpr, 44
	.set _ZL29rocblas_internal_gemmt_kernelIlLi16ELi32ELi8ELc67ELc67ELc85ELb0ELb0EdPKdPKS1_PKPdEviT_T9_T10_S7_lS9_S7_lS8_T11_S7_li.num_named_barrier, 0
	.set _ZL29rocblas_internal_gemmt_kernelIlLi16ELi32ELi8ELc67ELc67ELc85ELb0ELb0EdPKdPKS1_PKPdEviT_T9_T10_S7_lS9_S7_lS8_T11_S7_li.private_seg_size, 0
	.set _ZL29rocblas_internal_gemmt_kernelIlLi16ELi32ELi8ELc67ELc67ELc85ELb0ELb0EdPKdPKS1_PKPdEviT_T9_T10_S7_lS9_S7_lS8_T11_S7_li.uses_vcc, 1
	.set _ZL29rocblas_internal_gemmt_kernelIlLi16ELi32ELi8ELc67ELc67ELc85ELb0ELb0EdPKdPKS1_PKPdEviT_T9_T10_S7_lS9_S7_lS8_T11_S7_li.uses_flat_scratch, 0
	.set _ZL29rocblas_internal_gemmt_kernelIlLi16ELi32ELi8ELc67ELc67ELc85ELb0ELb0EdPKdPKS1_PKPdEviT_T9_T10_S7_lS9_S7_lS8_T11_S7_li.has_dyn_sized_stack, 0
	.set _ZL29rocblas_internal_gemmt_kernelIlLi16ELi32ELi8ELc67ELc67ELc85ELb0ELb0EdPKdPKS1_PKPdEviT_T9_T10_S7_lS9_S7_lS8_T11_S7_li.has_recursion, 0
	.set _ZL29rocblas_internal_gemmt_kernelIlLi16ELi32ELi8ELc67ELc67ELc85ELb0ELb0EdPKdPKS1_PKPdEviT_T9_T10_S7_lS9_S7_lS8_T11_S7_li.has_indirect_call, 0
	.section	.AMDGPU.csdata,"",@progbits
; Kernel info:
; codeLenInByte = 1688
; TotalNumSgprs: 46
; NumVgprs: 46
; ScratchSize: 0
; MemoryBound: 0
; FloatMode: 240
; IeeeMode: 1
; LDSByteSize: 4096 bytes/workgroup (compile time only)
; SGPRBlocks: 0
; VGPRBlocks: 5
; NumSGPRsForWavesPerEU: 46
; NumVGPRsForWavesPerEU: 46
; Occupancy: 16
; WaveLimiterHint : 1
; COMPUTE_PGM_RSRC2:SCRATCH_EN: 0
; COMPUTE_PGM_RSRC2:USER_SGPR: 6
; COMPUTE_PGM_RSRC2:TRAP_HANDLER: 0
; COMPUTE_PGM_RSRC2:TGID_X_EN: 1
; COMPUTE_PGM_RSRC2:TGID_Y_EN: 1
; COMPUTE_PGM_RSRC2:TGID_Z_EN: 1
; COMPUTE_PGM_RSRC2:TIDIG_COMP_CNT: 1
	.section	.text._ZL29rocblas_internal_gemmt_kernelIlLi16ELi32ELi8ELc78ELc78ELc76ELb0ELb0EdPKdPKS1_PKPdEviT_T9_T10_S7_lS9_S7_lS8_T11_S7_li,"axG",@progbits,_ZL29rocblas_internal_gemmt_kernelIlLi16ELi32ELi8ELc78ELc78ELc76ELb0ELb0EdPKdPKS1_PKPdEviT_T9_T10_S7_lS9_S7_lS8_T11_S7_li,comdat
	.globl	_ZL29rocblas_internal_gemmt_kernelIlLi16ELi32ELi8ELc78ELc78ELc76ELb0ELb0EdPKdPKS1_PKPdEviT_T9_T10_S7_lS9_S7_lS8_T11_S7_li ; -- Begin function _ZL29rocblas_internal_gemmt_kernelIlLi16ELi32ELi8ELc78ELc78ELc76ELb0ELb0EdPKdPKS1_PKPdEviT_T9_T10_S7_lS9_S7_lS8_T11_S7_li
	.p2align	8
	.type	_ZL29rocblas_internal_gemmt_kernelIlLi16ELi32ELi8ELc78ELc78ELc76ELb0ELb0EdPKdPKS1_PKPdEviT_T9_T10_S7_lS9_S7_lS8_T11_S7_li,@function
_ZL29rocblas_internal_gemmt_kernelIlLi16ELi32ELi8ELc78ELc78ELc76ELb0ELb0EdPKdPKS1_PKPdEviT_T9_T10_S7_lS9_S7_lS8_T11_S7_li: ; @_ZL29rocblas_internal_gemmt_kernelIlLi16ELi32ELi8ELc78ELc78ELc76ELb0ELb0EdPKdPKS1_PKPdEviT_T9_T10_S7_lS9_S7_lS8_T11_S7_li
; %bb.0:
	s_load_dwordx8 s[36:43], s[4:5], 0x48
	s_waitcnt lgkmcnt(0)
	s_load_dwordx2 s[10:11], s[36:37], 0x0
	s_load_dwordx16 s[12:27], s[4:5], 0x8
	s_waitcnt lgkmcnt(0)
	v_cmp_neq_f64_e64 s0, s[10:11], 1.0
	s_load_dwordx2 s[14:15], s[14:15], 0x0
	s_and_b32 vcc_lo, exec_lo, s0
	s_cbranch_vccnz .LBB477_2
; %bb.1:
	s_waitcnt lgkmcnt(0)
	v_cmp_neq_f64_e64 s0, s[14:15], 0
	s_cmp_lg_u64 s[12:13], 0
	s_cselect_b32 s1, -1, 0
	s_and_b32 s0, s1, s0
.LBB477_2:
	s_andn2_b32 vcc_lo, exec_lo, s0
	s_cbranch_vccnz .LBB477_28
; %bb.3:
	s_waitcnt lgkmcnt(0)
	v_cmp_eq_f64_e64 s28, s[14:15], 0
	s_mov_b32 s9, 0
	v_mov_b32_e32 v8, 0
	s_lshl_b64 s[0:1], s[8:9], 3
	v_mov_b32_e32 v6, 0
	s_add_u32 s2, s38, s0
	s_addc_u32 s3, s39, s1
	s_load_dword s8, s[4:5], 0x0
	s_load_dwordx2 s[2:3], s[2:3], 0x0
	v_cmp_lt_i64_e64 s4, s[12:13], 1
	v_mov_b32_e32 v4, 0
	v_mov_b32_e32 v2, 0
	;; [unrolled: 1-line block ×6, first 2 shown]
	s_lshl_b32 s6, s6, 5
	s_lshl_b32 s7, s7, 5
	s_or_b32 s4, s28, s4
	s_and_b32 vcc_lo, exec_lo, s4
	s_cbranch_vccnz .LBB477_12
; %bb.4:
	s_add_u32 s4, s22, s0
	s_addc_u32 s5, s23, s1
	v_lshl_add_u32 v13, v1, 4, v0
	s_load_dwordx2 s[4:5], s[4:5], 0x0
	s_lshl_b64 s[22:23], s[26:27], 3
	v_and_b32_e32 v16, 7, v0
	v_mov_b32_e32 v2, 0
	v_lshrrev_b32_e32 v14, 3, v13
	v_and_b32_e32 v20, 31, v13
	v_lshrrev_b32_e32 v19, 5, v13
	v_lshlrev_b32_e32 v23, 3, v16
	v_mov_b32_e32 v4, 0
	v_add_nc_u32_e32 v15, s7, v14
	v_or_b32_e32 v12, s6, v20
	v_lshlrev_b32_e32 v20, 3, v20
	v_lshl_or_b32 v14, v14, 6, v23
	v_mov_b32_e32 v8, 0
	v_ashrrev_i32_e32 v6, 31, v15
	v_mul_lo_u32 v21, s25, v15
	v_mad_u64_u32 v[10:11], null, s24, v15, 0
	v_ashrrev_i32_e32 v13, 31, v12
	v_mul_lo_u32 v22, s24, v6
	s_waitcnt lgkmcnt(0)
	s_add_u32 s9, s4, s22
	s_addc_u32 s22, s5, s23
	s_add_u32 s0, s16, s0
	s_addc_u32 s1, s17, s1
	s_lshl_b64 s[16:17], s[20:21], 3
	s_load_dwordx2 s[4:5], s[0:1], 0x0
	v_cmp_gt_i32_e64 s0, s8, v12
	v_add3_u32 v11, v11, v22, v21
	v_lshlrev_b64 v[12:13], 3, v[12:13]
	v_mov_b32_e32 v6, 0
	v_lshlrev_b32_e32 v17, 3, v0
	v_lshl_add_u32 v18, v1, 6, 0x800
	v_lshlrev_b64 v[10:11], 3, v[10:11]
	v_mov_b32_e32 v3, 0
	v_mov_b32_e32 v5, 0
	;; [unrolled: 1-line block ×4, first 2 shown]
	v_lshl_or_b32 v20, v19, 8, v20
	v_add_co_u32 v22, vcc_lo, s9, v10
	v_add_co_ci_u32_e64 v23, null, s22, v11, vcc_lo
	v_cmp_gt_i32_e64 s1, s8, v15
	v_add_nc_u32_e32 v21, 0x800, v14
	v_mov_b32_e32 v11, 0
	s_waitcnt lgkmcnt(0)
	s_add_u32 s4, s4, s16
	s_addc_u32 s5, s5, s17
	v_add_co_u32 v24, vcc_lo, s4, v12
	v_add_co_ci_u32_e64 v25, null, s5, v13, vcc_lo
	s_mov_b64 s[4:5], 0
	s_branch .LBB477_6
.LBB477_5:                              ;   in Loop: Header=BB477_6 Depth=1
	s_or_b32 exec_lo, exec_lo, s9
	s_waitcnt vmcnt(0) lgkmcnt(0)
	ds_write_b64 v21, v[14:15]
	s_waitcnt lgkmcnt(0)
	s_barrier
	buffer_gl0_inv
	ds_read_b128 v[12:15], v18
	ds_read2_b64 v[26:29], v17 offset1:16
	ds_read_b128 v[30:33], v18 offset:1024
	ds_read_b128 v[34:37], v18 offset:16
	ds_read2_b64 v[38:41], v17 offset0:32 offset1:48
	ds_read_b128 v[42:45], v18 offset:1040
	s_add_u32 s4, s4, 8
	s_addc_u32 s5, s5, 0
	v_cmp_gt_i64_e64 s9, s[12:13], s[4:5]
	s_and_b32 vcc_lo, exec_lo, s9
	s_waitcnt lgkmcnt(4)
	v_fma_f64 v[8:9], v[26:27], v[12:13], v[8:9]
	v_fma_f64 v[6:7], v[28:29], v[12:13], v[6:7]
	s_waitcnt lgkmcnt(3)
	v_fma_f64 v[12:13], v[26:27], v[30:31], v[4:5]
	v_fma_f64 v[26:27], v[28:29], v[30:31], v[2:3]
	ds_read2_b64 v[2:5], v17 offset0:64 offset1:80
	s_waitcnt lgkmcnt(2)
	v_fma_f64 v[28:29], v[38:39], v[14:15], v[8:9]
	v_fma_f64 v[14:15], v[40:41], v[14:15], v[6:7]
	;; [unrolled: 1-line block ×4, first 2 shown]
	ds_read2_b64 v[6:9], v17 offset0:96 offset1:112
	s_waitcnt lgkmcnt(1)
	v_fma_f64 v[28:29], v[2:3], v[34:35], v[28:29]
	v_fma_f64 v[30:31], v[4:5], v[34:35], v[14:15]
	;; [unrolled: 1-line block ×4, first 2 shown]
	ds_read_b128 v[2:5], v18 offset:32
	ds_read2_b64 v[12:15], v17 offset0:128 offset1:144
	s_waitcnt lgkmcnt(2)
	v_fma_f64 v[38:39], v[6:7], v[36:37], v[28:29]
	v_fma_f64 v[40:41], v[8:9], v[36:37], v[30:31]
	;; [unrolled: 1-line block ×4, first 2 shown]
	ds_read_b128 v[6:9], v18 offset:1056
	ds_read_b128 v[26:29], v18 offset:48
	ds_read2_b64 v[30:33], v17 offset0:160 offset1:176
	ds_read_b128 v[34:37], v18 offset:1072
	s_waitcnt lgkmcnt(4)
	v_fma_f64 v[38:39], v[12:13], v[2:3], v[38:39]
	v_fma_f64 v[2:3], v[14:15], v[2:3], v[40:41]
	s_waitcnt lgkmcnt(3)
	v_fma_f64 v[40:41], v[12:13], v[6:7], v[42:43]
	v_fma_f64 v[6:7], v[14:15], v[6:7], v[44:45]
	ds_read2_b64 v[12:15], v17 offset0:192 offset1:208
	s_waitcnt lgkmcnt(2)
	v_fma_f64 v[38:39], v[30:31], v[4:5], v[38:39]
	v_fma_f64 v[2:3], v[32:33], v[4:5], v[2:3]
	;; [unrolled: 1-line block ×4, first 2 shown]
	ds_read2_b64 v[30:33], v17 offset0:224 offset1:240
	s_waitcnt lgkmcnt(0)
	s_barrier
	buffer_gl0_inv
	v_fma_f64 v[8:9], v[12:13], v[26:27], v[38:39]
	v_fma_f64 v[2:3], v[14:15], v[26:27], v[2:3]
	;; [unrolled: 1-line block ×8, first 2 shown]
	s_cbranch_vccz .LBB477_12
.LBB477_6:                              ; =>This Inner Loop Header: Depth=1
	v_mov_b32_e32 v12, 0
	v_mov_b32_e32 v13, 0
	s_and_saveexec_b32 s9, s0
	s_cbranch_execz .LBB477_10
; %bb.7:                                ;   in Loop: Header=BB477_6 Depth=1
	v_mov_b32_e32 v12, 0
	v_add_nc_u32_e32 v10, s4, v19
	v_mov_b32_e32 v13, 0
	s_mov_b32 s16, exec_lo
	v_cmpx_gt_u64_e64 s[12:13], v[10:11]
	s_cbranch_execz .LBB477_9
; %bb.8:                                ;   in Loop: Header=BB477_6 Depth=1
	v_mad_u64_u32 v[12:13], null, s18, v10, 0
	v_mad_u64_u32 v[13:14], null, s19, v10, v[13:14]
	v_lshlrev_b64 v[12:13], 3, v[12:13]
	v_add_co_u32 v12, vcc_lo, v24, v12
	v_add_co_ci_u32_e64 v13, null, v25, v13, vcc_lo
	flat_load_dwordx2 v[12:13], v[12:13]
.LBB477_9:                              ;   in Loop: Header=BB477_6 Depth=1
	s_or_b32 exec_lo, exec_lo, s16
.LBB477_10:                             ;   in Loop: Header=BB477_6 Depth=1
	s_or_b32 exec_lo, exec_lo, s9
	v_add_nc_u32_e32 v10, s4, v16
	v_mov_b32_e32 v14, 0
	v_mov_b32_e32 v15, 0
	s_waitcnt vmcnt(0) lgkmcnt(0)
	ds_write_b64 v20, v[12:13]
	v_cmp_gt_u64_e32 vcc_lo, s[12:13], v[10:11]
	s_and_b32 s16, vcc_lo, s1
	s_and_saveexec_b32 s9, s16
	s_cbranch_execz .LBB477_5
; %bb.11:                               ;   in Loop: Header=BB477_6 Depth=1
	v_lshlrev_b64 v[12:13], 3, v[10:11]
	v_add_co_u32 v12, vcc_lo, v22, v12
	v_add_co_ci_u32_e64 v13, null, v23, v13, vcc_lo
	flat_load_dwordx2 v[14:15], v[12:13]
	s_branch .LBB477_5
.LBB477_12:
	v_add_nc_u32_e32 v13, s7, v1
	s_lshl_b64 s[0:1], s[42:43], 3
	v_add_nc_u32_e32 v0, s6, v0
	s_waitcnt lgkmcnt(0)
	s_add_u32 s4, s2, s0
	v_cmp_neq_f64_e64 s2, s[10:11], 0
	v_ashrrev_i32_e32 v1, 31, v13
	v_mul_lo_u32 v12, s41, v13
	v_mad_u64_u32 v[10:11], null, s40, v13, 0
	s_addc_u32 s3, s3, s1
	v_mul_lo_u32 v1, s40, v1
	v_cmp_le_i32_e32 vcc_lo, v13, v0
	v_cmp_gt_i32_e64 s0, s8, v0
	s_and_b32 s5, vcc_lo, s0
	v_add3_u32 v11, v11, v1, v12
	v_ashrrev_i32_e32 v1, 31, v0
	v_lshlrev_b64 v[10:11], 3, v[10:11]
	v_cndmask_b32_e64 v12, 0, 1, s2
	v_add_co_u32 v14, s1, s4, v10
	v_add_co_ci_u32_e64 v15, null, s3, v11, s1
	s_and_saveexec_b32 s1, s5
	s_cbranch_execz .LBB477_16
; %bb.13:
	v_mul_f64 v[8:9], s[14:15], v[8:9]
	v_lshlrev_b64 v[10:11], 3, v[0:1]
	v_add_co_u32 v10, vcc_lo, v14, v10
	v_add_co_ci_u32_e64 v11, null, v15, v11, vcc_lo
	s_andn2_b32 vcc_lo, exec_lo, s2
	s_cbranch_vccnz .LBB477_15
; %bb.14:
	flat_load_dwordx2 v[16:17], v[10:11]
	s_waitcnt vmcnt(0) lgkmcnt(0)
	v_fma_f64 v[8:9], s[10:11], v[16:17], v[8:9]
.LBB477_15:
	flat_store_dwordx2 v[10:11], v[8:9]
.LBB477_16:
	s_or_b32 exec_lo, exec_lo, s1
	v_add_nc_u32_e32 v8, 16, v0
	v_cmp_le_i32_e32 vcc_lo, v13, v8
	v_cmp_gt_i32_e64 s1, s8, v8
	v_ashrrev_i32_e32 v9, 31, v8
	s_and_b32 s2, vcc_lo, s1
	s_and_saveexec_b32 s5, s2
	s_cbranch_execz .LBB477_20
; %bb.17:
	v_mul_f64 v[6:7], s[14:15], v[6:7]
	v_lshlrev_b64 v[10:11], 3, v[8:9]
	v_cmp_ne_u32_e32 vcc_lo, 1, v12
	v_add_co_u32 v10, s2, v14, v10
	v_add_co_ci_u32_e64 v11, null, v15, v11, s2
	s_cbranch_vccnz .LBB477_19
; %bb.18:
	flat_load_dwordx2 v[14:15], v[10:11]
	s_waitcnt vmcnt(0) lgkmcnt(0)
	v_fma_f64 v[6:7], s[10:11], v[14:15], v[6:7]
.LBB477_19:
	flat_store_dwordx2 v[10:11], v[6:7]
.LBB477_20:
	s_or_b32 exec_lo, exec_lo, s5
	v_add_nc_u32_e32 v10, 16, v13
	v_ashrrev_i32_e32 v11, 31, v10
	v_mul_lo_u32 v13, s41, v10
	v_mad_u64_u32 v[6:7], null, s40, v10, 0
	v_cmp_le_i32_e32 vcc_lo, v10, v0
	v_mul_lo_u32 v11, s40, v11
	s_and_b32 s0, vcc_lo, s0
	v_add3_u32 v7, v7, v11, v13
	v_lshlrev_b64 v[6:7], 3, v[6:7]
	v_add_co_u32 v6, s2, s4, v6
	v_add_co_ci_u32_e64 v7, null, s3, v7, s2
	s_and_saveexec_b32 s2, s0
	s_cbranch_execz .LBB477_24
; %bb.21:
	v_mul_f64 v[4:5], s[14:15], v[4:5]
	v_lshlrev_b64 v[0:1], 3, v[0:1]
	v_cmp_ne_u32_e32 vcc_lo, 1, v12
	v_add_co_u32 v0, s0, v6, v0
	v_add_co_ci_u32_e64 v1, null, v7, v1, s0
	s_cbranch_vccnz .LBB477_23
; %bb.22:
	flat_load_dwordx2 v[13:14], v[0:1]
	s_waitcnt vmcnt(0) lgkmcnt(0)
	v_fma_f64 v[4:5], s[10:11], v[13:14], v[4:5]
.LBB477_23:
	flat_store_dwordx2 v[0:1], v[4:5]
.LBB477_24:
	s_or_b32 exec_lo, exec_lo, s2
	v_cmp_le_i32_e32 vcc_lo, v10, v8
	s_and_b32 s0, vcc_lo, s1
	s_and_saveexec_b32 s1, s0
	s_cbranch_execz .LBB477_28
; %bb.25:
	v_mul_f64 v[0:1], s[14:15], v[2:3]
	v_lshlrev_b64 v[2:3], 3, v[8:9]
	v_cmp_ne_u32_e32 vcc_lo, 1, v12
	v_add_co_u32 v2, s0, v6, v2
	v_add_co_ci_u32_e64 v3, null, v7, v3, s0
	s_cbranch_vccnz .LBB477_27
; %bb.26:
	flat_load_dwordx2 v[4:5], v[2:3]
	s_waitcnt vmcnt(0) lgkmcnt(0)
	v_fma_f64 v[0:1], s[10:11], v[4:5], v[0:1]
.LBB477_27:
	flat_store_dwordx2 v[2:3], v[0:1]
.LBB477_28:
	s_endpgm
	.section	.rodata,"a",@progbits
	.p2align	6, 0x0
	.amdhsa_kernel _ZL29rocblas_internal_gemmt_kernelIlLi16ELi32ELi8ELc78ELc78ELc76ELb0ELb0EdPKdPKS1_PKPdEviT_T9_T10_S7_lS9_S7_lS8_T11_S7_li
		.amdhsa_group_segment_fixed_size 4096
		.amdhsa_private_segment_fixed_size 0
		.amdhsa_kernarg_size 108
		.amdhsa_user_sgpr_count 6
		.amdhsa_user_sgpr_private_segment_buffer 1
		.amdhsa_user_sgpr_dispatch_ptr 0
		.amdhsa_user_sgpr_queue_ptr 0
		.amdhsa_user_sgpr_kernarg_segment_ptr 1
		.amdhsa_user_sgpr_dispatch_id 0
		.amdhsa_user_sgpr_flat_scratch_init 0
		.amdhsa_user_sgpr_private_segment_size 0
		.amdhsa_wavefront_size32 1
		.amdhsa_uses_dynamic_stack 0
		.amdhsa_system_sgpr_private_segment_wavefront_offset 0
		.amdhsa_system_sgpr_workgroup_id_x 1
		.amdhsa_system_sgpr_workgroup_id_y 1
		.amdhsa_system_sgpr_workgroup_id_z 1
		.amdhsa_system_sgpr_workgroup_info 0
		.amdhsa_system_vgpr_workitem_id 1
		.amdhsa_next_free_vgpr 46
		.amdhsa_next_free_sgpr 44
		.amdhsa_reserve_vcc 1
		.amdhsa_reserve_flat_scratch 0
		.amdhsa_float_round_mode_32 0
		.amdhsa_float_round_mode_16_64 0
		.amdhsa_float_denorm_mode_32 3
		.amdhsa_float_denorm_mode_16_64 3
		.amdhsa_dx10_clamp 1
		.amdhsa_ieee_mode 1
		.amdhsa_fp16_overflow 0
		.amdhsa_workgroup_processor_mode 1
		.amdhsa_memory_ordered 1
		.amdhsa_forward_progress 1
		.amdhsa_shared_vgpr_count 0
		.amdhsa_exception_fp_ieee_invalid_op 0
		.amdhsa_exception_fp_denorm_src 0
		.amdhsa_exception_fp_ieee_div_zero 0
		.amdhsa_exception_fp_ieee_overflow 0
		.amdhsa_exception_fp_ieee_underflow 0
		.amdhsa_exception_fp_ieee_inexact 0
		.amdhsa_exception_int_div_zero 0
	.end_amdhsa_kernel
	.section	.text._ZL29rocblas_internal_gemmt_kernelIlLi16ELi32ELi8ELc78ELc78ELc76ELb0ELb0EdPKdPKS1_PKPdEviT_T9_T10_S7_lS9_S7_lS8_T11_S7_li,"axG",@progbits,_ZL29rocblas_internal_gemmt_kernelIlLi16ELi32ELi8ELc78ELc78ELc76ELb0ELb0EdPKdPKS1_PKPdEviT_T9_T10_S7_lS9_S7_lS8_T11_S7_li,comdat
.Lfunc_end477:
	.size	_ZL29rocblas_internal_gemmt_kernelIlLi16ELi32ELi8ELc78ELc78ELc76ELb0ELb0EdPKdPKS1_PKPdEviT_T9_T10_S7_lS9_S7_lS8_T11_S7_li, .Lfunc_end477-_ZL29rocblas_internal_gemmt_kernelIlLi16ELi32ELi8ELc78ELc78ELc76ELb0ELb0EdPKdPKS1_PKPdEviT_T9_T10_S7_lS9_S7_lS8_T11_S7_li
                                        ; -- End function
	.set _ZL29rocblas_internal_gemmt_kernelIlLi16ELi32ELi8ELc78ELc78ELc76ELb0ELb0EdPKdPKS1_PKPdEviT_T9_T10_S7_lS9_S7_lS8_T11_S7_li.num_vgpr, 46
	.set _ZL29rocblas_internal_gemmt_kernelIlLi16ELi32ELi8ELc78ELc78ELc76ELb0ELb0EdPKdPKS1_PKPdEviT_T9_T10_S7_lS9_S7_lS8_T11_S7_li.num_agpr, 0
	.set _ZL29rocblas_internal_gemmt_kernelIlLi16ELi32ELi8ELc78ELc78ELc76ELb0ELb0EdPKdPKS1_PKPdEviT_T9_T10_S7_lS9_S7_lS8_T11_S7_li.numbered_sgpr, 44
	.set _ZL29rocblas_internal_gemmt_kernelIlLi16ELi32ELi8ELc78ELc78ELc76ELb0ELb0EdPKdPKS1_PKPdEviT_T9_T10_S7_lS9_S7_lS8_T11_S7_li.num_named_barrier, 0
	.set _ZL29rocblas_internal_gemmt_kernelIlLi16ELi32ELi8ELc78ELc78ELc76ELb0ELb0EdPKdPKS1_PKPdEviT_T9_T10_S7_lS9_S7_lS8_T11_S7_li.private_seg_size, 0
	.set _ZL29rocblas_internal_gemmt_kernelIlLi16ELi32ELi8ELc78ELc78ELc76ELb0ELb0EdPKdPKS1_PKPdEviT_T9_T10_S7_lS9_S7_lS8_T11_S7_li.uses_vcc, 1
	.set _ZL29rocblas_internal_gemmt_kernelIlLi16ELi32ELi8ELc78ELc78ELc76ELb0ELb0EdPKdPKS1_PKPdEviT_T9_T10_S7_lS9_S7_lS8_T11_S7_li.uses_flat_scratch, 0
	.set _ZL29rocblas_internal_gemmt_kernelIlLi16ELi32ELi8ELc78ELc78ELc76ELb0ELb0EdPKdPKS1_PKPdEviT_T9_T10_S7_lS9_S7_lS8_T11_S7_li.has_dyn_sized_stack, 0
	.set _ZL29rocblas_internal_gemmt_kernelIlLi16ELi32ELi8ELc78ELc78ELc76ELb0ELb0EdPKdPKS1_PKPdEviT_T9_T10_S7_lS9_S7_lS8_T11_S7_li.has_recursion, 0
	.set _ZL29rocblas_internal_gemmt_kernelIlLi16ELi32ELi8ELc78ELc78ELc76ELb0ELb0EdPKdPKS1_PKPdEviT_T9_T10_S7_lS9_S7_lS8_T11_S7_li.has_indirect_call, 0
	.section	.AMDGPU.csdata,"",@progbits
; Kernel info:
; codeLenInByte = 1692
; TotalNumSgprs: 46
; NumVgprs: 46
; ScratchSize: 0
; MemoryBound: 0
; FloatMode: 240
; IeeeMode: 1
; LDSByteSize: 4096 bytes/workgroup (compile time only)
; SGPRBlocks: 0
; VGPRBlocks: 5
; NumSGPRsForWavesPerEU: 46
; NumVGPRsForWavesPerEU: 46
; Occupancy: 16
; WaveLimiterHint : 1
; COMPUTE_PGM_RSRC2:SCRATCH_EN: 0
; COMPUTE_PGM_RSRC2:USER_SGPR: 6
; COMPUTE_PGM_RSRC2:TRAP_HANDLER: 0
; COMPUTE_PGM_RSRC2:TGID_X_EN: 1
; COMPUTE_PGM_RSRC2:TGID_Y_EN: 1
; COMPUTE_PGM_RSRC2:TGID_Z_EN: 1
; COMPUTE_PGM_RSRC2:TIDIG_COMP_CNT: 1
	.section	.text._ZL29rocblas_internal_gemmt_kernelIlLi16ELi32ELi8ELc78ELc84ELc76ELb0ELb0EdPKdPKS1_PKPdEviT_T9_T10_S7_lS9_S7_lS8_T11_S7_li,"axG",@progbits,_ZL29rocblas_internal_gemmt_kernelIlLi16ELi32ELi8ELc78ELc84ELc76ELb0ELb0EdPKdPKS1_PKPdEviT_T9_T10_S7_lS9_S7_lS8_T11_S7_li,comdat
	.globl	_ZL29rocblas_internal_gemmt_kernelIlLi16ELi32ELi8ELc78ELc84ELc76ELb0ELb0EdPKdPKS1_PKPdEviT_T9_T10_S7_lS9_S7_lS8_T11_S7_li ; -- Begin function _ZL29rocblas_internal_gemmt_kernelIlLi16ELi32ELi8ELc78ELc84ELc76ELb0ELb0EdPKdPKS1_PKPdEviT_T9_T10_S7_lS9_S7_lS8_T11_S7_li
	.p2align	8
	.type	_ZL29rocblas_internal_gemmt_kernelIlLi16ELi32ELi8ELc78ELc84ELc76ELb0ELb0EdPKdPKS1_PKPdEviT_T9_T10_S7_lS9_S7_lS8_T11_S7_li,@function
_ZL29rocblas_internal_gemmt_kernelIlLi16ELi32ELi8ELc78ELc84ELc76ELb0ELb0EdPKdPKS1_PKPdEviT_T9_T10_S7_lS9_S7_lS8_T11_S7_li: ; @_ZL29rocblas_internal_gemmt_kernelIlLi16ELi32ELi8ELc78ELc84ELc76ELb0ELb0EdPKdPKS1_PKPdEviT_T9_T10_S7_lS9_S7_lS8_T11_S7_li
; %bb.0:
	s_load_dwordx8 s[36:43], s[4:5], 0x48
	s_waitcnt lgkmcnt(0)
	s_load_dwordx2 s[10:11], s[36:37], 0x0
	s_load_dwordx16 s[12:27], s[4:5], 0x8
	s_waitcnt lgkmcnt(0)
	v_cmp_neq_f64_e64 s0, s[10:11], 1.0
	s_load_dwordx2 s[14:15], s[14:15], 0x0
	s_and_b32 vcc_lo, exec_lo, s0
	s_cbranch_vccnz .LBB478_2
; %bb.1:
	s_waitcnt lgkmcnt(0)
	v_cmp_neq_f64_e64 s0, s[14:15], 0
	s_cmp_lg_u64 s[12:13], 0
	s_cselect_b32 s1, -1, 0
	s_and_b32 s0, s1, s0
.LBB478_2:
	s_andn2_b32 vcc_lo, exec_lo, s0
	s_cbranch_vccnz .LBB478_28
; %bb.3:
	s_waitcnt lgkmcnt(0)
	v_cmp_eq_f64_e64 s28, s[14:15], 0
	s_mov_b32 s9, 0
	v_mov_b32_e32 v8, 0
	s_lshl_b64 s[0:1], s[8:9], 3
	v_mov_b32_e32 v6, 0
	s_add_u32 s2, s38, s0
	s_addc_u32 s3, s39, s1
	s_load_dword s8, s[4:5], 0x0
	s_load_dwordx2 s[2:3], s[2:3], 0x0
	v_cmp_lt_i64_e64 s4, s[12:13], 1
	v_mov_b32_e32 v4, 0
	v_mov_b32_e32 v2, 0
	;; [unrolled: 1-line block ×6, first 2 shown]
	s_lshl_b32 s6, s6, 5
	s_lshl_b32 s7, s7, 5
	s_or_b32 s4, s28, s4
	s_and_b32 vcc_lo, exec_lo, s4
	s_cbranch_vccnz .LBB478_12
; %bb.4:
	s_add_u32 s4, s22, s0
	s_addc_u32 s5, s23, s1
	s_lshl_b64 s[22:23], s[26:27], 3
	s_load_dwordx2 s[4:5], s[4:5], 0x0
	v_lshl_add_u32 v11, v1, 4, v0
	v_and_b32_e32 v16, 7, v0
	v_mov_b32_e32 v2, 0
	v_mov_b32_e32 v4, 0
	;; [unrolled: 1-line block ×3, first 2 shown]
	v_lshrrev_b32_e32 v13, 3, v11
	v_and_b32_e32 v14, 31, v11
	v_lshlrev_b32_e32 v15, 3, v16
	v_lshrrev_b32_e32 v19, 5, v11
	v_mov_b32_e32 v8, 0
	v_add_nc_u32_e32 v10, s7, v13
	v_or_b32_e32 v12, s6, v14
	v_lshlrev_b32_e32 v14, 3, v14
	v_lshl_or_b32 v21, v13, 6, v15
	v_lshlrev_b32_e32 v17, 3, v0
	v_ashrrev_i32_e32 v11, 31, v10
	v_ashrrev_i32_e32 v13, 31, v12
	v_lshl_or_b32 v20, v19, 8, v14
	v_lshl_add_u32 v18, v1, 6, 0x800
	s_waitcnt lgkmcnt(0)
	s_add_u32 s9, s4, s22
	s_addc_u32 s22, s5, s23
	s_add_u32 s0, s16, s0
	s_addc_u32 s1, s17, s1
	v_lshlrev_b64 v[14:15], 3, v[10:11]
	s_load_dwordx2 s[4:5], s[0:1], 0x0
	v_cmp_gt_i32_e64 s1, s8, v10
	v_lshlrev_b64 v[10:11], 3, v[12:13]
	s_lshl_b64 s[16:17], s[20:21], 3
	v_mov_b32_e32 v3, 0
	v_add_co_u32 v22, vcc_lo, s9, v14
	v_add_co_ci_u32_e64 v23, null, s22, v15, vcc_lo
	v_mov_b32_e32 v5, 0
	v_mov_b32_e32 v7, 0
	;; [unrolled: 1-line block ×3, first 2 shown]
	v_cmp_gt_i32_e64 s0, s8, v12
	v_add_nc_u32_e32 v21, 0x800, v21
	s_waitcnt lgkmcnt(0)
	s_add_u32 s4, s4, s16
	s_addc_u32 s5, s5, s17
	v_add_co_u32 v24, vcc_lo, s4, v10
	v_add_co_ci_u32_e64 v25, null, s5, v11, vcc_lo
	v_mov_b32_e32 v11, 0
	s_mov_b64 s[4:5], 0
	s_branch .LBB478_6
.LBB478_5:                              ;   in Loop: Header=BB478_6 Depth=1
	s_or_b32 exec_lo, exec_lo, s9
	s_waitcnt vmcnt(0) lgkmcnt(0)
	ds_write_b64 v21, v[14:15]
	s_waitcnt lgkmcnt(0)
	s_barrier
	buffer_gl0_inv
	ds_read_b128 v[12:15], v18
	ds_read2_b64 v[26:29], v17 offset1:16
	ds_read_b128 v[30:33], v18 offset:1024
	ds_read_b128 v[34:37], v18 offset:16
	ds_read2_b64 v[38:41], v17 offset0:32 offset1:48
	ds_read_b128 v[42:45], v18 offset:1040
	s_add_u32 s4, s4, 8
	s_addc_u32 s5, s5, 0
	v_cmp_gt_i64_e64 s9, s[12:13], s[4:5]
	s_and_b32 vcc_lo, exec_lo, s9
	s_waitcnt lgkmcnt(4)
	v_fma_f64 v[8:9], v[26:27], v[12:13], v[8:9]
	v_fma_f64 v[6:7], v[28:29], v[12:13], v[6:7]
	s_waitcnt lgkmcnt(3)
	v_fma_f64 v[12:13], v[26:27], v[30:31], v[4:5]
	v_fma_f64 v[26:27], v[28:29], v[30:31], v[2:3]
	ds_read2_b64 v[2:5], v17 offset0:64 offset1:80
	s_waitcnt lgkmcnt(2)
	v_fma_f64 v[28:29], v[38:39], v[14:15], v[8:9]
	v_fma_f64 v[14:15], v[40:41], v[14:15], v[6:7]
	v_fma_f64 v[12:13], v[38:39], v[32:33], v[12:13]
	v_fma_f64 v[26:27], v[40:41], v[32:33], v[26:27]
	ds_read2_b64 v[6:9], v17 offset0:96 offset1:112
	s_waitcnt lgkmcnt(1)
	v_fma_f64 v[28:29], v[2:3], v[34:35], v[28:29]
	v_fma_f64 v[30:31], v[4:5], v[34:35], v[14:15]
	;; [unrolled: 1-line block ×4, first 2 shown]
	ds_read_b128 v[2:5], v18 offset:32
	ds_read2_b64 v[12:15], v17 offset0:128 offset1:144
	s_waitcnt lgkmcnt(2)
	v_fma_f64 v[38:39], v[6:7], v[36:37], v[28:29]
	v_fma_f64 v[40:41], v[8:9], v[36:37], v[30:31]
	;; [unrolled: 1-line block ×4, first 2 shown]
	ds_read_b128 v[6:9], v18 offset:1056
	ds_read_b128 v[26:29], v18 offset:48
	ds_read2_b64 v[30:33], v17 offset0:160 offset1:176
	ds_read_b128 v[34:37], v18 offset:1072
	s_waitcnt lgkmcnt(4)
	v_fma_f64 v[38:39], v[12:13], v[2:3], v[38:39]
	v_fma_f64 v[2:3], v[14:15], v[2:3], v[40:41]
	s_waitcnt lgkmcnt(3)
	v_fma_f64 v[40:41], v[12:13], v[6:7], v[42:43]
	v_fma_f64 v[6:7], v[14:15], v[6:7], v[44:45]
	ds_read2_b64 v[12:15], v17 offset0:192 offset1:208
	s_waitcnt lgkmcnt(2)
	v_fma_f64 v[38:39], v[30:31], v[4:5], v[38:39]
	v_fma_f64 v[2:3], v[32:33], v[4:5], v[2:3]
	;; [unrolled: 1-line block ×4, first 2 shown]
	ds_read2_b64 v[30:33], v17 offset0:224 offset1:240
	s_waitcnt lgkmcnt(0)
	s_barrier
	buffer_gl0_inv
	v_fma_f64 v[8:9], v[12:13], v[26:27], v[38:39]
	v_fma_f64 v[2:3], v[14:15], v[26:27], v[2:3]
	;; [unrolled: 1-line block ×8, first 2 shown]
	s_cbranch_vccz .LBB478_12
.LBB478_6:                              ; =>This Inner Loop Header: Depth=1
	v_mov_b32_e32 v12, 0
	v_mov_b32_e32 v13, 0
	s_and_saveexec_b32 s9, s0
	s_cbranch_execz .LBB478_10
; %bb.7:                                ;   in Loop: Header=BB478_6 Depth=1
	v_mov_b32_e32 v12, 0
	v_add_nc_u32_e32 v10, s4, v19
	v_mov_b32_e32 v13, 0
	s_mov_b32 s16, exec_lo
	v_cmpx_gt_u64_e64 s[12:13], v[10:11]
	s_cbranch_execz .LBB478_9
; %bb.8:                                ;   in Loop: Header=BB478_6 Depth=1
	v_mad_u64_u32 v[12:13], null, s18, v10, 0
	v_mad_u64_u32 v[13:14], null, s19, v10, v[13:14]
	v_lshlrev_b64 v[12:13], 3, v[12:13]
	v_add_co_u32 v12, vcc_lo, v24, v12
	v_add_co_ci_u32_e64 v13, null, v25, v13, vcc_lo
	flat_load_dwordx2 v[12:13], v[12:13]
.LBB478_9:                              ;   in Loop: Header=BB478_6 Depth=1
	s_or_b32 exec_lo, exec_lo, s16
.LBB478_10:                             ;   in Loop: Header=BB478_6 Depth=1
	s_or_b32 exec_lo, exec_lo, s9
	v_add_nc_u32_e32 v10, s4, v16
	v_mov_b32_e32 v14, 0
	v_mov_b32_e32 v15, 0
	s_waitcnt vmcnt(0) lgkmcnt(0)
	ds_write_b64 v20, v[12:13]
	v_cmp_gt_u64_e32 vcc_lo, s[12:13], v[10:11]
	s_and_b32 s16, vcc_lo, s1
	s_and_saveexec_b32 s9, s16
	s_cbranch_execz .LBB478_5
; %bb.11:                               ;   in Loop: Header=BB478_6 Depth=1
	v_mad_u64_u32 v[12:13], null, s24, v10, 0
	v_mad_u64_u32 v[13:14], null, s25, v10, v[13:14]
	v_lshlrev_b64 v[12:13], 3, v[12:13]
	v_add_co_u32 v12, vcc_lo, v22, v12
	v_add_co_ci_u32_e64 v13, null, v23, v13, vcc_lo
	flat_load_dwordx2 v[14:15], v[12:13]
	s_branch .LBB478_5
.LBB478_12:
	v_add_nc_u32_e32 v13, s7, v1
	s_lshl_b64 s[0:1], s[42:43], 3
	v_add_nc_u32_e32 v0, s6, v0
	s_waitcnt lgkmcnt(0)
	s_add_u32 s4, s2, s0
	v_cmp_neq_f64_e64 s2, s[10:11], 0
	v_ashrrev_i32_e32 v1, 31, v13
	v_mul_lo_u32 v12, s41, v13
	v_mad_u64_u32 v[10:11], null, s40, v13, 0
	s_addc_u32 s3, s3, s1
	v_mul_lo_u32 v1, s40, v1
	v_cmp_le_i32_e32 vcc_lo, v13, v0
	v_cmp_gt_i32_e64 s0, s8, v0
	s_and_b32 s5, vcc_lo, s0
	v_add3_u32 v11, v11, v1, v12
	v_ashrrev_i32_e32 v1, 31, v0
	v_lshlrev_b64 v[10:11], 3, v[10:11]
	v_cndmask_b32_e64 v12, 0, 1, s2
	v_add_co_u32 v14, s1, s4, v10
	v_add_co_ci_u32_e64 v15, null, s3, v11, s1
	s_and_saveexec_b32 s1, s5
	s_cbranch_execz .LBB478_16
; %bb.13:
	v_mul_f64 v[8:9], s[14:15], v[8:9]
	v_lshlrev_b64 v[10:11], 3, v[0:1]
	v_add_co_u32 v10, vcc_lo, v14, v10
	v_add_co_ci_u32_e64 v11, null, v15, v11, vcc_lo
	s_andn2_b32 vcc_lo, exec_lo, s2
	s_cbranch_vccnz .LBB478_15
; %bb.14:
	flat_load_dwordx2 v[16:17], v[10:11]
	s_waitcnt vmcnt(0) lgkmcnt(0)
	v_fma_f64 v[8:9], s[10:11], v[16:17], v[8:9]
.LBB478_15:
	flat_store_dwordx2 v[10:11], v[8:9]
.LBB478_16:
	s_or_b32 exec_lo, exec_lo, s1
	v_add_nc_u32_e32 v8, 16, v0
	v_cmp_le_i32_e32 vcc_lo, v13, v8
	v_cmp_gt_i32_e64 s1, s8, v8
	v_ashrrev_i32_e32 v9, 31, v8
	s_and_b32 s2, vcc_lo, s1
	s_and_saveexec_b32 s5, s2
	s_cbranch_execz .LBB478_20
; %bb.17:
	v_mul_f64 v[6:7], s[14:15], v[6:7]
	v_lshlrev_b64 v[10:11], 3, v[8:9]
	v_cmp_ne_u32_e32 vcc_lo, 1, v12
	v_add_co_u32 v10, s2, v14, v10
	v_add_co_ci_u32_e64 v11, null, v15, v11, s2
	s_cbranch_vccnz .LBB478_19
; %bb.18:
	flat_load_dwordx2 v[14:15], v[10:11]
	s_waitcnt vmcnt(0) lgkmcnt(0)
	v_fma_f64 v[6:7], s[10:11], v[14:15], v[6:7]
.LBB478_19:
	flat_store_dwordx2 v[10:11], v[6:7]
.LBB478_20:
	s_or_b32 exec_lo, exec_lo, s5
	v_add_nc_u32_e32 v10, 16, v13
	v_ashrrev_i32_e32 v11, 31, v10
	v_mul_lo_u32 v13, s41, v10
	v_mad_u64_u32 v[6:7], null, s40, v10, 0
	v_cmp_le_i32_e32 vcc_lo, v10, v0
	v_mul_lo_u32 v11, s40, v11
	s_and_b32 s0, vcc_lo, s0
	v_add3_u32 v7, v7, v11, v13
	v_lshlrev_b64 v[6:7], 3, v[6:7]
	v_add_co_u32 v6, s2, s4, v6
	v_add_co_ci_u32_e64 v7, null, s3, v7, s2
	s_and_saveexec_b32 s2, s0
	s_cbranch_execz .LBB478_24
; %bb.21:
	v_mul_f64 v[4:5], s[14:15], v[4:5]
	v_lshlrev_b64 v[0:1], 3, v[0:1]
	v_cmp_ne_u32_e32 vcc_lo, 1, v12
	v_add_co_u32 v0, s0, v6, v0
	v_add_co_ci_u32_e64 v1, null, v7, v1, s0
	s_cbranch_vccnz .LBB478_23
; %bb.22:
	flat_load_dwordx2 v[13:14], v[0:1]
	s_waitcnt vmcnt(0) lgkmcnt(0)
	v_fma_f64 v[4:5], s[10:11], v[13:14], v[4:5]
.LBB478_23:
	flat_store_dwordx2 v[0:1], v[4:5]
.LBB478_24:
	s_or_b32 exec_lo, exec_lo, s2
	v_cmp_le_i32_e32 vcc_lo, v10, v8
	s_and_b32 s0, vcc_lo, s1
	s_and_saveexec_b32 s1, s0
	s_cbranch_execz .LBB478_28
; %bb.25:
	v_mul_f64 v[0:1], s[14:15], v[2:3]
	v_lshlrev_b64 v[2:3], 3, v[8:9]
	v_cmp_ne_u32_e32 vcc_lo, 1, v12
	v_add_co_u32 v2, s0, v6, v2
	v_add_co_ci_u32_e64 v3, null, v7, v3, s0
	s_cbranch_vccnz .LBB478_27
; %bb.26:
	flat_load_dwordx2 v[4:5], v[2:3]
	s_waitcnt vmcnt(0) lgkmcnt(0)
	v_fma_f64 v[0:1], s[10:11], v[4:5], v[0:1]
.LBB478_27:
	flat_store_dwordx2 v[2:3], v[0:1]
.LBB478_28:
	s_endpgm
	.section	.rodata,"a",@progbits
	.p2align	6, 0x0
	.amdhsa_kernel _ZL29rocblas_internal_gemmt_kernelIlLi16ELi32ELi8ELc78ELc84ELc76ELb0ELb0EdPKdPKS1_PKPdEviT_T9_T10_S7_lS9_S7_lS8_T11_S7_li
		.amdhsa_group_segment_fixed_size 4096
		.amdhsa_private_segment_fixed_size 0
		.amdhsa_kernarg_size 108
		.amdhsa_user_sgpr_count 6
		.amdhsa_user_sgpr_private_segment_buffer 1
		.amdhsa_user_sgpr_dispatch_ptr 0
		.amdhsa_user_sgpr_queue_ptr 0
		.amdhsa_user_sgpr_kernarg_segment_ptr 1
		.amdhsa_user_sgpr_dispatch_id 0
		.amdhsa_user_sgpr_flat_scratch_init 0
		.amdhsa_user_sgpr_private_segment_size 0
		.amdhsa_wavefront_size32 1
		.amdhsa_uses_dynamic_stack 0
		.amdhsa_system_sgpr_private_segment_wavefront_offset 0
		.amdhsa_system_sgpr_workgroup_id_x 1
		.amdhsa_system_sgpr_workgroup_id_y 1
		.amdhsa_system_sgpr_workgroup_id_z 1
		.amdhsa_system_sgpr_workgroup_info 0
		.amdhsa_system_vgpr_workitem_id 1
		.amdhsa_next_free_vgpr 46
		.amdhsa_next_free_sgpr 44
		.amdhsa_reserve_vcc 1
		.amdhsa_reserve_flat_scratch 0
		.amdhsa_float_round_mode_32 0
		.amdhsa_float_round_mode_16_64 0
		.amdhsa_float_denorm_mode_32 3
		.amdhsa_float_denorm_mode_16_64 3
		.amdhsa_dx10_clamp 1
		.amdhsa_ieee_mode 1
		.amdhsa_fp16_overflow 0
		.amdhsa_workgroup_processor_mode 1
		.amdhsa_memory_ordered 1
		.amdhsa_forward_progress 1
		.amdhsa_shared_vgpr_count 0
		.amdhsa_exception_fp_ieee_invalid_op 0
		.amdhsa_exception_fp_denorm_src 0
		.amdhsa_exception_fp_ieee_div_zero 0
		.amdhsa_exception_fp_ieee_overflow 0
		.amdhsa_exception_fp_ieee_underflow 0
		.amdhsa_exception_fp_ieee_inexact 0
		.amdhsa_exception_int_div_zero 0
	.end_amdhsa_kernel
	.section	.text._ZL29rocblas_internal_gemmt_kernelIlLi16ELi32ELi8ELc78ELc84ELc76ELb0ELb0EdPKdPKS1_PKPdEviT_T9_T10_S7_lS9_S7_lS8_T11_S7_li,"axG",@progbits,_ZL29rocblas_internal_gemmt_kernelIlLi16ELi32ELi8ELc78ELc84ELc76ELb0ELb0EdPKdPKS1_PKPdEviT_T9_T10_S7_lS9_S7_lS8_T11_S7_li,comdat
.Lfunc_end478:
	.size	_ZL29rocblas_internal_gemmt_kernelIlLi16ELi32ELi8ELc78ELc84ELc76ELb0ELb0EdPKdPKS1_PKPdEviT_T9_T10_S7_lS9_S7_lS8_T11_S7_li, .Lfunc_end478-_ZL29rocblas_internal_gemmt_kernelIlLi16ELi32ELi8ELc78ELc84ELc76ELb0ELb0EdPKdPKS1_PKPdEviT_T9_T10_S7_lS9_S7_lS8_T11_S7_li
                                        ; -- End function
	.set _ZL29rocblas_internal_gemmt_kernelIlLi16ELi32ELi8ELc78ELc84ELc76ELb0ELb0EdPKdPKS1_PKPdEviT_T9_T10_S7_lS9_S7_lS8_T11_S7_li.num_vgpr, 46
	.set _ZL29rocblas_internal_gemmt_kernelIlLi16ELi32ELi8ELc78ELc84ELc76ELb0ELb0EdPKdPKS1_PKPdEviT_T9_T10_S7_lS9_S7_lS8_T11_S7_li.num_agpr, 0
	.set _ZL29rocblas_internal_gemmt_kernelIlLi16ELi32ELi8ELc78ELc84ELc76ELb0ELb0EdPKdPKS1_PKPdEviT_T9_T10_S7_lS9_S7_lS8_T11_S7_li.numbered_sgpr, 44
	.set _ZL29rocblas_internal_gemmt_kernelIlLi16ELi32ELi8ELc78ELc84ELc76ELb0ELb0EdPKdPKS1_PKPdEviT_T9_T10_S7_lS9_S7_lS8_T11_S7_li.num_named_barrier, 0
	.set _ZL29rocblas_internal_gemmt_kernelIlLi16ELi32ELi8ELc78ELc84ELc76ELb0ELb0EdPKdPKS1_PKPdEviT_T9_T10_S7_lS9_S7_lS8_T11_S7_li.private_seg_size, 0
	.set _ZL29rocblas_internal_gemmt_kernelIlLi16ELi32ELi8ELc78ELc84ELc76ELb0ELb0EdPKdPKS1_PKPdEviT_T9_T10_S7_lS9_S7_lS8_T11_S7_li.uses_vcc, 1
	.set _ZL29rocblas_internal_gemmt_kernelIlLi16ELi32ELi8ELc78ELc84ELc76ELb0ELb0EdPKdPKS1_PKPdEviT_T9_T10_S7_lS9_S7_lS8_T11_S7_li.uses_flat_scratch, 0
	.set _ZL29rocblas_internal_gemmt_kernelIlLi16ELi32ELi8ELc78ELc84ELc76ELb0ELb0EdPKdPKS1_PKPdEviT_T9_T10_S7_lS9_S7_lS8_T11_S7_li.has_dyn_sized_stack, 0
	.set _ZL29rocblas_internal_gemmt_kernelIlLi16ELi32ELi8ELc78ELc84ELc76ELb0ELb0EdPKdPKS1_PKPdEviT_T9_T10_S7_lS9_S7_lS8_T11_S7_li.has_recursion, 0
	.set _ZL29rocblas_internal_gemmt_kernelIlLi16ELi32ELi8ELc78ELc84ELc76ELb0ELb0EdPKdPKS1_PKPdEviT_T9_T10_S7_lS9_S7_lS8_T11_S7_li.has_indirect_call, 0
	.section	.AMDGPU.csdata,"",@progbits
; Kernel info:
; codeLenInByte = 1676
; TotalNumSgprs: 46
; NumVgprs: 46
; ScratchSize: 0
; MemoryBound: 0
; FloatMode: 240
; IeeeMode: 1
; LDSByteSize: 4096 bytes/workgroup (compile time only)
; SGPRBlocks: 0
; VGPRBlocks: 5
; NumSGPRsForWavesPerEU: 46
; NumVGPRsForWavesPerEU: 46
; Occupancy: 16
; WaveLimiterHint : 1
; COMPUTE_PGM_RSRC2:SCRATCH_EN: 0
; COMPUTE_PGM_RSRC2:USER_SGPR: 6
; COMPUTE_PGM_RSRC2:TRAP_HANDLER: 0
; COMPUTE_PGM_RSRC2:TGID_X_EN: 1
; COMPUTE_PGM_RSRC2:TGID_Y_EN: 1
; COMPUTE_PGM_RSRC2:TGID_Z_EN: 1
; COMPUTE_PGM_RSRC2:TIDIG_COMP_CNT: 1
	.section	.text._ZL29rocblas_internal_gemmt_kernelIlLi16ELi32ELi8ELc78ELc67ELc76ELb0ELb0EdPKdPKS1_PKPdEviT_T9_T10_S7_lS9_S7_lS8_T11_S7_li,"axG",@progbits,_ZL29rocblas_internal_gemmt_kernelIlLi16ELi32ELi8ELc78ELc67ELc76ELb0ELb0EdPKdPKS1_PKPdEviT_T9_T10_S7_lS9_S7_lS8_T11_S7_li,comdat
	.globl	_ZL29rocblas_internal_gemmt_kernelIlLi16ELi32ELi8ELc78ELc67ELc76ELb0ELb0EdPKdPKS1_PKPdEviT_T9_T10_S7_lS9_S7_lS8_T11_S7_li ; -- Begin function _ZL29rocblas_internal_gemmt_kernelIlLi16ELi32ELi8ELc78ELc67ELc76ELb0ELb0EdPKdPKS1_PKPdEviT_T9_T10_S7_lS9_S7_lS8_T11_S7_li
	.p2align	8
	.type	_ZL29rocblas_internal_gemmt_kernelIlLi16ELi32ELi8ELc78ELc67ELc76ELb0ELb0EdPKdPKS1_PKPdEviT_T9_T10_S7_lS9_S7_lS8_T11_S7_li,@function
_ZL29rocblas_internal_gemmt_kernelIlLi16ELi32ELi8ELc78ELc67ELc76ELb0ELb0EdPKdPKS1_PKPdEviT_T9_T10_S7_lS9_S7_lS8_T11_S7_li: ; @_ZL29rocblas_internal_gemmt_kernelIlLi16ELi32ELi8ELc78ELc67ELc76ELb0ELb0EdPKdPKS1_PKPdEviT_T9_T10_S7_lS9_S7_lS8_T11_S7_li
; %bb.0:
	s_load_dwordx8 s[36:43], s[4:5], 0x48
	s_waitcnt lgkmcnt(0)
	s_load_dwordx2 s[10:11], s[36:37], 0x0
	s_load_dwordx16 s[12:27], s[4:5], 0x8
	s_waitcnt lgkmcnt(0)
	v_cmp_neq_f64_e64 s0, s[10:11], 1.0
	s_load_dwordx2 s[14:15], s[14:15], 0x0
	s_and_b32 vcc_lo, exec_lo, s0
	s_cbranch_vccnz .LBB479_2
; %bb.1:
	s_waitcnt lgkmcnt(0)
	v_cmp_neq_f64_e64 s0, s[14:15], 0
	s_cmp_lg_u64 s[12:13], 0
	s_cselect_b32 s1, -1, 0
	s_and_b32 s0, s1, s0
.LBB479_2:
	s_andn2_b32 vcc_lo, exec_lo, s0
	s_cbranch_vccnz .LBB479_28
; %bb.3:
	s_waitcnt lgkmcnt(0)
	v_cmp_eq_f64_e64 s28, s[14:15], 0
	s_mov_b32 s9, 0
	v_mov_b32_e32 v8, 0
	s_lshl_b64 s[0:1], s[8:9], 3
	v_mov_b32_e32 v6, 0
	s_add_u32 s2, s38, s0
	s_addc_u32 s3, s39, s1
	s_load_dword s8, s[4:5], 0x0
	s_load_dwordx2 s[2:3], s[2:3], 0x0
	v_cmp_lt_i64_e64 s4, s[12:13], 1
	v_mov_b32_e32 v4, 0
	v_mov_b32_e32 v2, 0
	;; [unrolled: 1-line block ×6, first 2 shown]
	s_lshl_b32 s6, s6, 5
	s_lshl_b32 s7, s7, 5
	s_or_b32 s4, s28, s4
	s_and_b32 vcc_lo, exec_lo, s4
	s_cbranch_vccnz .LBB479_12
; %bb.4:
	s_add_u32 s4, s22, s0
	s_addc_u32 s5, s23, s1
	s_lshl_b64 s[22:23], s[26:27], 3
	s_load_dwordx2 s[4:5], s[4:5], 0x0
	v_lshl_add_u32 v11, v1, 4, v0
	v_and_b32_e32 v16, 7, v0
	v_mov_b32_e32 v2, 0
	v_mov_b32_e32 v4, 0
	;; [unrolled: 1-line block ×3, first 2 shown]
	v_lshrrev_b32_e32 v13, 3, v11
	v_and_b32_e32 v14, 31, v11
	v_lshlrev_b32_e32 v15, 3, v16
	v_lshrrev_b32_e32 v19, 5, v11
	v_mov_b32_e32 v8, 0
	v_add_nc_u32_e32 v10, s7, v13
	v_or_b32_e32 v12, s6, v14
	v_lshlrev_b32_e32 v14, 3, v14
	v_lshl_or_b32 v21, v13, 6, v15
	v_lshlrev_b32_e32 v17, 3, v0
	v_ashrrev_i32_e32 v11, 31, v10
	v_ashrrev_i32_e32 v13, 31, v12
	v_lshl_or_b32 v20, v19, 8, v14
	v_lshl_add_u32 v18, v1, 6, 0x800
	s_waitcnt lgkmcnt(0)
	s_add_u32 s9, s4, s22
	s_addc_u32 s22, s5, s23
	s_add_u32 s0, s16, s0
	s_addc_u32 s1, s17, s1
	v_lshlrev_b64 v[14:15], 3, v[10:11]
	s_load_dwordx2 s[4:5], s[0:1], 0x0
	v_cmp_gt_i32_e64 s1, s8, v10
	v_lshlrev_b64 v[10:11], 3, v[12:13]
	s_lshl_b64 s[16:17], s[20:21], 3
	v_mov_b32_e32 v3, 0
	v_add_co_u32 v22, vcc_lo, s9, v14
	v_add_co_ci_u32_e64 v23, null, s22, v15, vcc_lo
	v_mov_b32_e32 v5, 0
	v_mov_b32_e32 v7, 0
	;; [unrolled: 1-line block ×3, first 2 shown]
	v_cmp_gt_i32_e64 s0, s8, v12
	v_add_nc_u32_e32 v21, 0x800, v21
	s_waitcnt lgkmcnt(0)
	s_add_u32 s4, s4, s16
	s_addc_u32 s5, s5, s17
	v_add_co_u32 v24, vcc_lo, s4, v10
	v_add_co_ci_u32_e64 v25, null, s5, v11, vcc_lo
	v_mov_b32_e32 v11, 0
	s_mov_b64 s[4:5], 0
	s_branch .LBB479_6
.LBB479_5:                              ;   in Loop: Header=BB479_6 Depth=1
	s_or_b32 exec_lo, exec_lo, s9
	s_waitcnt vmcnt(0) lgkmcnt(0)
	ds_write_b64 v21, v[14:15]
	s_waitcnt lgkmcnt(0)
	s_barrier
	buffer_gl0_inv
	ds_read_b128 v[12:15], v18
	ds_read2_b64 v[26:29], v17 offset1:16
	ds_read_b128 v[30:33], v18 offset:1024
	ds_read_b128 v[34:37], v18 offset:16
	ds_read2_b64 v[38:41], v17 offset0:32 offset1:48
	ds_read_b128 v[42:45], v18 offset:1040
	s_add_u32 s4, s4, 8
	s_addc_u32 s5, s5, 0
	v_cmp_gt_i64_e64 s9, s[12:13], s[4:5]
	s_and_b32 vcc_lo, exec_lo, s9
	s_waitcnt lgkmcnt(4)
	v_fma_f64 v[8:9], v[26:27], v[12:13], v[8:9]
	v_fma_f64 v[6:7], v[28:29], v[12:13], v[6:7]
	s_waitcnt lgkmcnt(3)
	v_fma_f64 v[12:13], v[26:27], v[30:31], v[4:5]
	v_fma_f64 v[26:27], v[28:29], v[30:31], v[2:3]
	ds_read2_b64 v[2:5], v17 offset0:64 offset1:80
	s_waitcnt lgkmcnt(2)
	v_fma_f64 v[28:29], v[38:39], v[14:15], v[8:9]
	v_fma_f64 v[14:15], v[40:41], v[14:15], v[6:7]
	;; [unrolled: 1-line block ×4, first 2 shown]
	ds_read2_b64 v[6:9], v17 offset0:96 offset1:112
	s_waitcnt lgkmcnt(1)
	v_fma_f64 v[28:29], v[2:3], v[34:35], v[28:29]
	v_fma_f64 v[30:31], v[4:5], v[34:35], v[14:15]
	;; [unrolled: 1-line block ×4, first 2 shown]
	ds_read_b128 v[2:5], v18 offset:32
	ds_read2_b64 v[12:15], v17 offset0:128 offset1:144
	s_waitcnt lgkmcnt(2)
	v_fma_f64 v[38:39], v[6:7], v[36:37], v[28:29]
	v_fma_f64 v[40:41], v[8:9], v[36:37], v[30:31]
	v_fma_f64 v[42:43], v[6:7], v[44:45], v[32:33]
	v_fma_f64 v[44:45], v[8:9], v[44:45], v[26:27]
	ds_read_b128 v[6:9], v18 offset:1056
	ds_read_b128 v[26:29], v18 offset:48
	ds_read2_b64 v[30:33], v17 offset0:160 offset1:176
	ds_read_b128 v[34:37], v18 offset:1072
	s_waitcnt lgkmcnt(4)
	v_fma_f64 v[38:39], v[12:13], v[2:3], v[38:39]
	v_fma_f64 v[2:3], v[14:15], v[2:3], v[40:41]
	s_waitcnt lgkmcnt(3)
	v_fma_f64 v[40:41], v[12:13], v[6:7], v[42:43]
	v_fma_f64 v[6:7], v[14:15], v[6:7], v[44:45]
	ds_read2_b64 v[12:15], v17 offset0:192 offset1:208
	s_waitcnt lgkmcnt(2)
	v_fma_f64 v[38:39], v[30:31], v[4:5], v[38:39]
	v_fma_f64 v[2:3], v[32:33], v[4:5], v[2:3]
	;; [unrolled: 1-line block ×4, first 2 shown]
	ds_read2_b64 v[30:33], v17 offset0:224 offset1:240
	s_waitcnt lgkmcnt(0)
	s_barrier
	buffer_gl0_inv
	v_fma_f64 v[8:9], v[12:13], v[26:27], v[38:39]
	v_fma_f64 v[2:3], v[14:15], v[26:27], v[2:3]
	v_fma_f64 v[4:5], v[12:13], v[34:35], v[4:5]
	v_fma_f64 v[12:13], v[14:15], v[34:35], v[6:7]
	v_fma_f64 v[8:9], v[30:31], v[28:29], v[8:9]
	v_fma_f64 v[6:7], v[32:33], v[28:29], v[2:3]
	v_fma_f64 v[4:5], v[30:31], v[36:37], v[4:5]
	v_fma_f64 v[2:3], v[32:33], v[36:37], v[12:13]
	s_cbranch_vccz .LBB479_12
.LBB479_6:                              ; =>This Inner Loop Header: Depth=1
	v_mov_b32_e32 v12, 0
	v_mov_b32_e32 v13, 0
	s_and_saveexec_b32 s9, s0
	s_cbranch_execz .LBB479_10
; %bb.7:                                ;   in Loop: Header=BB479_6 Depth=1
	v_mov_b32_e32 v12, 0
	v_add_nc_u32_e32 v10, s4, v19
	v_mov_b32_e32 v13, 0
	s_mov_b32 s16, exec_lo
	v_cmpx_gt_u64_e64 s[12:13], v[10:11]
	s_cbranch_execz .LBB479_9
; %bb.8:                                ;   in Loop: Header=BB479_6 Depth=1
	v_mad_u64_u32 v[12:13], null, s18, v10, 0
	v_mad_u64_u32 v[13:14], null, s19, v10, v[13:14]
	v_lshlrev_b64 v[12:13], 3, v[12:13]
	v_add_co_u32 v12, vcc_lo, v24, v12
	v_add_co_ci_u32_e64 v13, null, v25, v13, vcc_lo
	flat_load_dwordx2 v[12:13], v[12:13]
.LBB479_9:                              ;   in Loop: Header=BB479_6 Depth=1
	s_or_b32 exec_lo, exec_lo, s16
.LBB479_10:                             ;   in Loop: Header=BB479_6 Depth=1
	s_or_b32 exec_lo, exec_lo, s9
	v_add_nc_u32_e32 v10, s4, v16
	v_mov_b32_e32 v14, 0
	v_mov_b32_e32 v15, 0
	s_waitcnt vmcnt(0) lgkmcnt(0)
	ds_write_b64 v20, v[12:13]
	v_cmp_gt_u64_e32 vcc_lo, s[12:13], v[10:11]
	s_and_b32 s16, vcc_lo, s1
	s_and_saveexec_b32 s9, s16
	s_cbranch_execz .LBB479_5
; %bb.11:                               ;   in Loop: Header=BB479_6 Depth=1
	v_mad_u64_u32 v[12:13], null, s24, v10, 0
	v_mad_u64_u32 v[13:14], null, s25, v10, v[13:14]
	v_lshlrev_b64 v[12:13], 3, v[12:13]
	v_add_co_u32 v12, vcc_lo, v22, v12
	v_add_co_ci_u32_e64 v13, null, v23, v13, vcc_lo
	flat_load_dwordx2 v[14:15], v[12:13]
	s_branch .LBB479_5
.LBB479_12:
	v_add_nc_u32_e32 v13, s7, v1
	s_lshl_b64 s[0:1], s[42:43], 3
	v_add_nc_u32_e32 v0, s6, v0
	s_waitcnt lgkmcnt(0)
	s_add_u32 s4, s2, s0
	v_cmp_neq_f64_e64 s2, s[10:11], 0
	v_ashrrev_i32_e32 v1, 31, v13
	v_mul_lo_u32 v12, s41, v13
	v_mad_u64_u32 v[10:11], null, s40, v13, 0
	s_addc_u32 s3, s3, s1
	v_mul_lo_u32 v1, s40, v1
	v_cmp_le_i32_e32 vcc_lo, v13, v0
	v_cmp_gt_i32_e64 s0, s8, v0
	s_and_b32 s5, vcc_lo, s0
	v_add3_u32 v11, v11, v1, v12
	v_ashrrev_i32_e32 v1, 31, v0
	v_lshlrev_b64 v[10:11], 3, v[10:11]
	v_cndmask_b32_e64 v12, 0, 1, s2
	v_add_co_u32 v14, s1, s4, v10
	v_add_co_ci_u32_e64 v15, null, s3, v11, s1
	s_and_saveexec_b32 s1, s5
	s_cbranch_execz .LBB479_16
; %bb.13:
	v_mul_f64 v[8:9], s[14:15], v[8:9]
	v_lshlrev_b64 v[10:11], 3, v[0:1]
	v_add_co_u32 v10, vcc_lo, v14, v10
	v_add_co_ci_u32_e64 v11, null, v15, v11, vcc_lo
	s_andn2_b32 vcc_lo, exec_lo, s2
	s_cbranch_vccnz .LBB479_15
; %bb.14:
	flat_load_dwordx2 v[16:17], v[10:11]
	s_waitcnt vmcnt(0) lgkmcnt(0)
	v_fma_f64 v[8:9], s[10:11], v[16:17], v[8:9]
.LBB479_15:
	flat_store_dwordx2 v[10:11], v[8:9]
.LBB479_16:
	s_or_b32 exec_lo, exec_lo, s1
	v_add_nc_u32_e32 v8, 16, v0
	v_cmp_le_i32_e32 vcc_lo, v13, v8
	v_cmp_gt_i32_e64 s1, s8, v8
	v_ashrrev_i32_e32 v9, 31, v8
	s_and_b32 s2, vcc_lo, s1
	s_and_saveexec_b32 s5, s2
	s_cbranch_execz .LBB479_20
; %bb.17:
	v_mul_f64 v[6:7], s[14:15], v[6:7]
	v_lshlrev_b64 v[10:11], 3, v[8:9]
	v_cmp_ne_u32_e32 vcc_lo, 1, v12
	v_add_co_u32 v10, s2, v14, v10
	v_add_co_ci_u32_e64 v11, null, v15, v11, s2
	s_cbranch_vccnz .LBB479_19
; %bb.18:
	flat_load_dwordx2 v[14:15], v[10:11]
	s_waitcnt vmcnt(0) lgkmcnt(0)
	v_fma_f64 v[6:7], s[10:11], v[14:15], v[6:7]
.LBB479_19:
	flat_store_dwordx2 v[10:11], v[6:7]
.LBB479_20:
	s_or_b32 exec_lo, exec_lo, s5
	v_add_nc_u32_e32 v10, 16, v13
	v_ashrrev_i32_e32 v11, 31, v10
	v_mul_lo_u32 v13, s41, v10
	v_mad_u64_u32 v[6:7], null, s40, v10, 0
	v_cmp_le_i32_e32 vcc_lo, v10, v0
	v_mul_lo_u32 v11, s40, v11
	s_and_b32 s0, vcc_lo, s0
	v_add3_u32 v7, v7, v11, v13
	v_lshlrev_b64 v[6:7], 3, v[6:7]
	v_add_co_u32 v6, s2, s4, v6
	v_add_co_ci_u32_e64 v7, null, s3, v7, s2
	s_and_saveexec_b32 s2, s0
	s_cbranch_execz .LBB479_24
; %bb.21:
	v_mul_f64 v[4:5], s[14:15], v[4:5]
	v_lshlrev_b64 v[0:1], 3, v[0:1]
	v_cmp_ne_u32_e32 vcc_lo, 1, v12
	v_add_co_u32 v0, s0, v6, v0
	v_add_co_ci_u32_e64 v1, null, v7, v1, s0
	s_cbranch_vccnz .LBB479_23
; %bb.22:
	flat_load_dwordx2 v[13:14], v[0:1]
	s_waitcnt vmcnt(0) lgkmcnt(0)
	v_fma_f64 v[4:5], s[10:11], v[13:14], v[4:5]
.LBB479_23:
	flat_store_dwordx2 v[0:1], v[4:5]
.LBB479_24:
	s_or_b32 exec_lo, exec_lo, s2
	v_cmp_le_i32_e32 vcc_lo, v10, v8
	s_and_b32 s0, vcc_lo, s1
	s_and_saveexec_b32 s1, s0
	s_cbranch_execz .LBB479_28
; %bb.25:
	v_mul_f64 v[0:1], s[14:15], v[2:3]
	v_lshlrev_b64 v[2:3], 3, v[8:9]
	v_cmp_ne_u32_e32 vcc_lo, 1, v12
	v_add_co_u32 v2, s0, v6, v2
	v_add_co_ci_u32_e64 v3, null, v7, v3, s0
	s_cbranch_vccnz .LBB479_27
; %bb.26:
	flat_load_dwordx2 v[4:5], v[2:3]
	s_waitcnt vmcnt(0) lgkmcnt(0)
	v_fma_f64 v[0:1], s[10:11], v[4:5], v[0:1]
.LBB479_27:
	flat_store_dwordx2 v[2:3], v[0:1]
.LBB479_28:
	s_endpgm
	.section	.rodata,"a",@progbits
	.p2align	6, 0x0
	.amdhsa_kernel _ZL29rocblas_internal_gemmt_kernelIlLi16ELi32ELi8ELc78ELc67ELc76ELb0ELb0EdPKdPKS1_PKPdEviT_T9_T10_S7_lS9_S7_lS8_T11_S7_li
		.amdhsa_group_segment_fixed_size 4096
		.amdhsa_private_segment_fixed_size 0
		.amdhsa_kernarg_size 108
		.amdhsa_user_sgpr_count 6
		.amdhsa_user_sgpr_private_segment_buffer 1
		.amdhsa_user_sgpr_dispatch_ptr 0
		.amdhsa_user_sgpr_queue_ptr 0
		.amdhsa_user_sgpr_kernarg_segment_ptr 1
		.amdhsa_user_sgpr_dispatch_id 0
		.amdhsa_user_sgpr_flat_scratch_init 0
		.amdhsa_user_sgpr_private_segment_size 0
		.amdhsa_wavefront_size32 1
		.amdhsa_uses_dynamic_stack 0
		.amdhsa_system_sgpr_private_segment_wavefront_offset 0
		.amdhsa_system_sgpr_workgroup_id_x 1
		.amdhsa_system_sgpr_workgroup_id_y 1
		.amdhsa_system_sgpr_workgroup_id_z 1
		.amdhsa_system_sgpr_workgroup_info 0
		.amdhsa_system_vgpr_workitem_id 1
		.amdhsa_next_free_vgpr 46
		.amdhsa_next_free_sgpr 44
		.amdhsa_reserve_vcc 1
		.amdhsa_reserve_flat_scratch 0
		.amdhsa_float_round_mode_32 0
		.amdhsa_float_round_mode_16_64 0
		.amdhsa_float_denorm_mode_32 3
		.amdhsa_float_denorm_mode_16_64 3
		.amdhsa_dx10_clamp 1
		.amdhsa_ieee_mode 1
		.amdhsa_fp16_overflow 0
		.amdhsa_workgroup_processor_mode 1
		.amdhsa_memory_ordered 1
		.amdhsa_forward_progress 1
		.amdhsa_shared_vgpr_count 0
		.amdhsa_exception_fp_ieee_invalid_op 0
		.amdhsa_exception_fp_denorm_src 0
		.amdhsa_exception_fp_ieee_div_zero 0
		.amdhsa_exception_fp_ieee_overflow 0
		.amdhsa_exception_fp_ieee_underflow 0
		.amdhsa_exception_fp_ieee_inexact 0
		.amdhsa_exception_int_div_zero 0
	.end_amdhsa_kernel
	.section	.text._ZL29rocblas_internal_gemmt_kernelIlLi16ELi32ELi8ELc78ELc67ELc76ELb0ELb0EdPKdPKS1_PKPdEviT_T9_T10_S7_lS9_S7_lS8_T11_S7_li,"axG",@progbits,_ZL29rocblas_internal_gemmt_kernelIlLi16ELi32ELi8ELc78ELc67ELc76ELb0ELb0EdPKdPKS1_PKPdEviT_T9_T10_S7_lS9_S7_lS8_T11_S7_li,comdat
.Lfunc_end479:
	.size	_ZL29rocblas_internal_gemmt_kernelIlLi16ELi32ELi8ELc78ELc67ELc76ELb0ELb0EdPKdPKS1_PKPdEviT_T9_T10_S7_lS9_S7_lS8_T11_S7_li, .Lfunc_end479-_ZL29rocblas_internal_gemmt_kernelIlLi16ELi32ELi8ELc78ELc67ELc76ELb0ELb0EdPKdPKS1_PKPdEviT_T9_T10_S7_lS9_S7_lS8_T11_S7_li
                                        ; -- End function
	.set _ZL29rocblas_internal_gemmt_kernelIlLi16ELi32ELi8ELc78ELc67ELc76ELb0ELb0EdPKdPKS1_PKPdEviT_T9_T10_S7_lS9_S7_lS8_T11_S7_li.num_vgpr, 46
	.set _ZL29rocblas_internal_gemmt_kernelIlLi16ELi32ELi8ELc78ELc67ELc76ELb0ELb0EdPKdPKS1_PKPdEviT_T9_T10_S7_lS9_S7_lS8_T11_S7_li.num_agpr, 0
	.set _ZL29rocblas_internal_gemmt_kernelIlLi16ELi32ELi8ELc78ELc67ELc76ELb0ELb0EdPKdPKS1_PKPdEviT_T9_T10_S7_lS9_S7_lS8_T11_S7_li.numbered_sgpr, 44
	.set _ZL29rocblas_internal_gemmt_kernelIlLi16ELi32ELi8ELc78ELc67ELc76ELb0ELb0EdPKdPKS1_PKPdEviT_T9_T10_S7_lS9_S7_lS8_T11_S7_li.num_named_barrier, 0
	.set _ZL29rocblas_internal_gemmt_kernelIlLi16ELi32ELi8ELc78ELc67ELc76ELb0ELb0EdPKdPKS1_PKPdEviT_T9_T10_S7_lS9_S7_lS8_T11_S7_li.private_seg_size, 0
	.set _ZL29rocblas_internal_gemmt_kernelIlLi16ELi32ELi8ELc78ELc67ELc76ELb0ELb0EdPKdPKS1_PKPdEviT_T9_T10_S7_lS9_S7_lS8_T11_S7_li.uses_vcc, 1
	.set _ZL29rocblas_internal_gemmt_kernelIlLi16ELi32ELi8ELc78ELc67ELc76ELb0ELb0EdPKdPKS1_PKPdEviT_T9_T10_S7_lS9_S7_lS8_T11_S7_li.uses_flat_scratch, 0
	.set _ZL29rocblas_internal_gemmt_kernelIlLi16ELi32ELi8ELc78ELc67ELc76ELb0ELb0EdPKdPKS1_PKPdEviT_T9_T10_S7_lS9_S7_lS8_T11_S7_li.has_dyn_sized_stack, 0
	.set _ZL29rocblas_internal_gemmt_kernelIlLi16ELi32ELi8ELc78ELc67ELc76ELb0ELb0EdPKdPKS1_PKPdEviT_T9_T10_S7_lS9_S7_lS8_T11_S7_li.has_recursion, 0
	.set _ZL29rocblas_internal_gemmt_kernelIlLi16ELi32ELi8ELc78ELc67ELc76ELb0ELb0EdPKdPKS1_PKPdEviT_T9_T10_S7_lS9_S7_lS8_T11_S7_li.has_indirect_call, 0
	.section	.AMDGPU.csdata,"",@progbits
; Kernel info:
; codeLenInByte = 1676
; TotalNumSgprs: 46
; NumVgprs: 46
; ScratchSize: 0
; MemoryBound: 0
; FloatMode: 240
; IeeeMode: 1
; LDSByteSize: 4096 bytes/workgroup (compile time only)
; SGPRBlocks: 0
; VGPRBlocks: 5
; NumSGPRsForWavesPerEU: 46
; NumVGPRsForWavesPerEU: 46
; Occupancy: 16
; WaveLimiterHint : 1
; COMPUTE_PGM_RSRC2:SCRATCH_EN: 0
; COMPUTE_PGM_RSRC2:USER_SGPR: 6
; COMPUTE_PGM_RSRC2:TRAP_HANDLER: 0
; COMPUTE_PGM_RSRC2:TGID_X_EN: 1
; COMPUTE_PGM_RSRC2:TGID_Y_EN: 1
; COMPUTE_PGM_RSRC2:TGID_Z_EN: 1
; COMPUTE_PGM_RSRC2:TIDIG_COMP_CNT: 1
	.section	.text._ZL29rocblas_internal_gemmt_kernelIlLi16ELi32ELi8ELc84ELc78ELc76ELb0ELb0EdPKdPKS1_PKPdEviT_T9_T10_S7_lS9_S7_lS8_T11_S7_li,"axG",@progbits,_ZL29rocblas_internal_gemmt_kernelIlLi16ELi32ELi8ELc84ELc78ELc76ELb0ELb0EdPKdPKS1_PKPdEviT_T9_T10_S7_lS9_S7_lS8_T11_S7_li,comdat
	.globl	_ZL29rocblas_internal_gemmt_kernelIlLi16ELi32ELi8ELc84ELc78ELc76ELb0ELb0EdPKdPKS1_PKPdEviT_T9_T10_S7_lS9_S7_lS8_T11_S7_li ; -- Begin function _ZL29rocblas_internal_gemmt_kernelIlLi16ELi32ELi8ELc84ELc78ELc76ELb0ELb0EdPKdPKS1_PKPdEviT_T9_T10_S7_lS9_S7_lS8_T11_S7_li
	.p2align	8
	.type	_ZL29rocblas_internal_gemmt_kernelIlLi16ELi32ELi8ELc84ELc78ELc76ELb0ELb0EdPKdPKS1_PKPdEviT_T9_T10_S7_lS9_S7_lS8_T11_S7_li,@function
_ZL29rocblas_internal_gemmt_kernelIlLi16ELi32ELi8ELc84ELc78ELc76ELb0ELb0EdPKdPKS1_PKPdEviT_T9_T10_S7_lS9_S7_lS8_T11_S7_li: ; @_ZL29rocblas_internal_gemmt_kernelIlLi16ELi32ELi8ELc84ELc78ELc76ELb0ELb0EdPKdPKS1_PKPdEviT_T9_T10_S7_lS9_S7_lS8_T11_S7_li
; %bb.0:
	s_load_dwordx8 s[36:43], s[4:5], 0x48
	s_waitcnt lgkmcnt(0)
	s_load_dwordx2 s[10:11], s[36:37], 0x0
	s_load_dwordx16 s[12:27], s[4:5], 0x8
	s_waitcnt lgkmcnt(0)
	v_cmp_neq_f64_e64 s0, s[10:11], 1.0
	s_load_dwordx2 s[14:15], s[14:15], 0x0
	s_and_b32 vcc_lo, exec_lo, s0
	s_cbranch_vccnz .LBB480_2
; %bb.1:
	s_waitcnt lgkmcnt(0)
	v_cmp_neq_f64_e64 s0, s[14:15], 0
	s_cmp_lg_u64 s[12:13], 0
	s_cselect_b32 s1, -1, 0
	s_and_b32 s0, s1, s0
.LBB480_2:
	s_andn2_b32 vcc_lo, exec_lo, s0
	s_cbranch_vccnz .LBB480_28
; %bb.3:
	s_waitcnt lgkmcnt(0)
	v_cmp_eq_f64_e64 s28, s[14:15], 0
	s_mov_b32 s9, 0
	v_mov_b32_e32 v8, 0
	s_lshl_b64 s[0:1], s[8:9], 3
	v_mov_b32_e32 v6, 0
	s_add_u32 s2, s38, s0
	s_addc_u32 s3, s39, s1
	s_load_dword s8, s[4:5], 0x0
	s_load_dwordx2 s[2:3], s[2:3], 0x0
	v_cmp_lt_i64_e64 s4, s[12:13], 1
	v_mov_b32_e32 v4, 0
	v_mov_b32_e32 v2, 0
	;; [unrolled: 1-line block ×6, first 2 shown]
	s_lshl_b32 s6, s6, 5
	s_lshl_b32 s7, s7, 5
	s_or_b32 s4, s28, s4
	s_and_b32 vcc_lo, exec_lo, s4
	s_cbranch_vccnz .LBB480_12
; %bb.4:
	s_add_u32 s4, s22, s0
	s_addc_u32 s5, s23, s1
	s_lshl_b64 s[22:23], s[26:27], 3
	s_load_dwordx2 s[4:5], s[4:5], 0x0
	v_lshl_add_u32 v12, v1, 4, v0
	v_and_b32_e32 v16, 7, v0
	v_mov_b32_e32 v2, 0
	v_mov_b32_e32 v4, 0
	v_mov_b32_e32 v6, 0
	v_lshrrev_b32_e32 v14, 3, v12
	v_and_b32_e32 v13, 31, v12
	v_lshlrev_b32_e32 v23, 3, v16
	v_mov_b32_e32 v8, 0
	v_lshlrev_b32_e32 v17, 3, v0
	v_add_nc_u32_e32 v15, s7, v14
	v_or_b32_e32 v20, s6, v13
	v_lshlrev_b32_e32 v24, 3, v13
	v_lshl_or_b32 v14, v14, 6, v23
	v_lshl_add_u32 v18, v1, 6, 0x800
	v_ashrrev_i32_e32 v19, 31, v15
	v_mul_lo_u32 v21, s25, v15
	v_mad_u64_u32 v[10:11], null, s24, v15, 0
	s_waitcnt lgkmcnt(0)
	s_add_u32 s9, s4, s22
	s_addc_u32 s22, s5, s23
	s_add_u32 s0, s16, s0
	s_addc_u32 s1, s17, s1
	v_mul_lo_u32 v22, s24, v19
	s_load_dwordx2 s[0:1], s[0:1], 0x0
	v_lshrrev_b32_e32 v19, 5, v12
	v_mul_lo_u32 v25, s19, v20
	v_mad_u64_u32 v[12:13], null, s18, v20, 0
	s_lshl_b64 s[4:5], s[20:21], 3
	v_mov_b32_e32 v3, 0
	v_add3_u32 v11, v11, v22, v21
	v_mov_b32_e32 v5, 0
	v_mov_b32_e32 v7, 0
	;; [unrolled: 1-line block ×3, first 2 shown]
	v_add_nc_u32_e32 v21, 0x800, v14
	v_lshlrev_b64 v[10:11], 3, v[10:11]
	v_add_co_u32 v22, vcc_lo, s9, v10
	s_waitcnt lgkmcnt(0)
	s_add_u32 s4, s0, s4
	s_addc_u32 s5, s1, s5
	s_ashr_i32 s0, s6, 31
	v_add_co_ci_u32_e64 v23, null, s22, v11, vcc_lo
	s_mul_i32 s1, s18, s0
	v_cmp_gt_i32_e64 s0, s8, v20
	v_add3_u32 v13, v13, s1, v25
	v_lshl_or_b32 v20, v19, 8, v24
	v_cmp_gt_i32_e64 s1, s8, v15
	v_mov_b32_e32 v11, 0
	v_lshlrev_b64 v[12:13], 3, v[12:13]
	v_add_co_u32 v24, vcc_lo, s4, v12
	v_add_co_ci_u32_e64 v25, null, s5, v13, vcc_lo
	s_mov_b64 s[4:5], 0
	s_branch .LBB480_6
.LBB480_5:                              ;   in Loop: Header=BB480_6 Depth=1
	s_or_b32 exec_lo, exec_lo, s9
	s_waitcnt vmcnt(0) lgkmcnt(0)
	ds_write_b64 v21, v[14:15]
	s_waitcnt lgkmcnt(0)
	s_barrier
	buffer_gl0_inv
	ds_read_b128 v[12:15], v18
	ds_read2_b64 v[26:29], v17 offset1:16
	ds_read_b128 v[30:33], v18 offset:1024
	ds_read_b128 v[34:37], v18 offset:16
	ds_read2_b64 v[38:41], v17 offset0:32 offset1:48
	ds_read_b128 v[42:45], v18 offset:1040
	s_add_u32 s4, s4, 8
	s_addc_u32 s5, s5, 0
	v_cmp_gt_i64_e64 s9, s[12:13], s[4:5]
	s_and_b32 vcc_lo, exec_lo, s9
	s_waitcnt lgkmcnt(4)
	v_fma_f64 v[8:9], v[26:27], v[12:13], v[8:9]
	v_fma_f64 v[6:7], v[28:29], v[12:13], v[6:7]
	s_waitcnt lgkmcnt(3)
	v_fma_f64 v[12:13], v[26:27], v[30:31], v[4:5]
	v_fma_f64 v[26:27], v[28:29], v[30:31], v[2:3]
	ds_read2_b64 v[2:5], v17 offset0:64 offset1:80
	s_waitcnt lgkmcnt(2)
	v_fma_f64 v[28:29], v[38:39], v[14:15], v[8:9]
	v_fma_f64 v[14:15], v[40:41], v[14:15], v[6:7]
	v_fma_f64 v[12:13], v[38:39], v[32:33], v[12:13]
	v_fma_f64 v[26:27], v[40:41], v[32:33], v[26:27]
	ds_read2_b64 v[6:9], v17 offset0:96 offset1:112
	s_waitcnt lgkmcnt(1)
	v_fma_f64 v[28:29], v[2:3], v[34:35], v[28:29]
	v_fma_f64 v[30:31], v[4:5], v[34:35], v[14:15]
	;; [unrolled: 1-line block ×4, first 2 shown]
	ds_read_b128 v[2:5], v18 offset:32
	ds_read2_b64 v[12:15], v17 offset0:128 offset1:144
	s_waitcnt lgkmcnt(2)
	v_fma_f64 v[38:39], v[6:7], v[36:37], v[28:29]
	v_fma_f64 v[40:41], v[8:9], v[36:37], v[30:31]
	;; [unrolled: 1-line block ×4, first 2 shown]
	ds_read_b128 v[6:9], v18 offset:1056
	ds_read_b128 v[26:29], v18 offset:48
	ds_read2_b64 v[30:33], v17 offset0:160 offset1:176
	ds_read_b128 v[34:37], v18 offset:1072
	s_waitcnt lgkmcnt(4)
	v_fma_f64 v[38:39], v[12:13], v[2:3], v[38:39]
	v_fma_f64 v[2:3], v[14:15], v[2:3], v[40:41]
	s_waitcnt lgkmcnt(3)
	v_fma_f64 v[40:41], v[12:13], v[6:7], v[42:43]
	v_fma_f64 v[6:7], v[14:15], v[6:7], v[44:45]
	ds_read2_b64 v[12:15], v17 offset0:192 offset1:208
	s_waitcnt lgkmcnt(2)
	v_fma_f64 v[38:39], v[30:31], v[4:5], v[38:39]
	v_fma_f64 v[2:3], v[32:33], v[4:5], v[2:3]
	;; [unrolled: 1-line block ×4, first 2 shown]
	ds_read2_b64 v[30:33], v17 offset0:224 offset1:240
	s_waitcnt lgkmcnt(0)
	s_barrier
	buffer_gl0_inv
	v_fma_f64 v[8:9], v[12:13], v[26:27], v[38:39]
	v_fma_f64 v[2:3], v[14:15], v[26:27], v[2:3]
	;; [unrolled: 1-line block ×8, first 2 shown]
	s_cbranch_vccz .LBB480_12
.LBB480_6:                              ; =>This Inner Loop Header: Depth=1
	v_mov_b32_e32 v12, 0
	v_mov_b32_e32 v13, 0
	s_and_saveexec_b32 s9, s0
	s_cbranch_execz .LBB480_10
; %bb.7:                                ;   in Loop: Header=BB480_6 Depth=1
	v_mov_b32_e32 v12, 0
	v_add_nc_u32_e32 v10, s4, v19
	v_mov_b32_e32 v13, 0
	s_mov_b32 s16, exec_lo
	v_cmpx_gt_u64_e64 s[12:13], v[10:11]
	s_cbranch_execz .LBB480_9
; %bb.8:                                ;   in Loop: Header=BB480_6 Depth=1
	v_lshlrev_b64 v[12:13], 3, v[10:11]
	v_add_co_u32 v12, vcc_lo, v24, v12
	v_add_co_ci_u32_e64 v13, null, v25, v13, vcc_lo
	flat_load_dwordx2 v[12:13], v[12:13]
.LBB480_9:                              ;   in Loop: Header=BB480_6 Depth=1
	s_or_b32 exec_lo, exec_lo, s16
.LBB480_10:                             ;   in Loop: Header=BB480_6 Depth=1
	s_or_b32 exec_lo, exec_lo, s9
	v_add_nc_u32_e32 v10, s4, v16
	v_mov_b32_e32 v14, 0
	v_mov_b32_e32 v15, 0
	s_waitcnt vmcnt(0) lgkmcnt(0)
	ds_write_b64 v20, v[12:13]
	v_cmp_gt_u64_e32 vcc_lo, s[12:13], v[10:11]
	s_and_b32 s16, vcc_lo, s1
	s_and_saveexec_b32 s9, s16
	s_cbranch_execz .LBB480_5
; %bb.11:                               ;   in Loop: Header=BB480_6 Depth=1
	v_lshlrev_b64 v[12:13], 3, v[10:11]
	v_add_co_u32 v12, vcc_lo, v22, v12
	v_add_co_ci_u32_e64 v13, null, v23, v13, vcc_lo
	flat_load_dwordx2 v[14:15], v[12:13]
	s_branch .LBB480_5
.LBB480_12:
	v_add_nc_u32_e32 v13, s7, v1
	s_lshl_b64 s[0:1], s[42:43], 3
	v_add_nc_u32_e32 v0, s6, v0
	s_waitcnt lgkmcnt(0)
	s_add_u32 s4, s2, s0
	v_cmp_neq_f64_e64 s2, s[10:11], 0
	v_ashrrev_i32_e32 v1, 31, v13
	v_mul_lo_u32 v12, s41, v13
	v_mad_u64_u32 v[10:11], null, s40, v13, 0
	s_addc_u32 s3, s3, s1
	v_mul_lo_u32 v1, s40, v1
	v_cmp_le_i32_e32 vcc_lo, v13, v0
	v_cmp_gt_i32_e64 s0, s8, v0
	s_and_b32 s5, vcc_lo, s0
	v_add3_u32 v11, v11, v1, v12
	v_ashrrev_i32_e32 v1, 31, v0
	v_lshlrev_b64 v[10:11], 3, v[10:11]
	v_cndmask_b32_e64 v12, 0, 1, s2
	v_add_co_u32 v14, s1, s4, v10
	v_add_co_ci_u32_e64 v15, null, s3, v11, s1
	s_and_saveexec_b32 s1, s5
	s_cbranch_execz .LBB480_16
; %bb.13:
	v_mul_f64 v[8:9], s[14:15], v[8:9]
	v_lshlrev_b64 v[10:11], 3, v[0:1]
	v_add_co_u32 v10, vcc_lo, v14, v10
	v_add_co_ci_u32_e64 v11, null, v15, v11, vcc_lo
	s_andn2_b32 vcc_lo, exec_lo, s2
	s_cbranch_vccnz .LBB480_15
; %bb.14:
	flat_load_dwordx2 v[16:17], v[10:11]
	s_waitcnt vmcnt(0) lgkmcnt(0)
	v_fma_f64 v[8:9], s[10:11], v[16:17], v[8:9]
.LBB480_15:
	flat_store_dwordx2 v[10:11], v[8:9]
.LBB480_16:
	s_or_b32 exec_lo, exec_lo, s1
	v_add_nc_u32_e32 v8, 16, v0
	v_cmp_le_i32_e32 vcc_lo, v13, v8
	v_cmp_gt_i32_e64 s1, s8, v8
	v_ashrrev_i32_e32 v9, 31, v8
	s_and_b32 s2, vcc_lo, s1
	s_and_saveexec_b32 s5, s2
	s_cbranch_execz .LBB480_20
; %bb.17:
	v_mul_f64 v[6:7], s[14:15], v[6:7]
	v_lshlrev_b64 v[10:11], 3, v[8:9]
	v_cmp_ne_u32_e32 vcc_lo, 1, v12
	v_add_co_u32 v10, s2, v14, v10
	v_add_co_ci_u32_e64 v11, null, v15, v11, s2
	s_cbranch_vccnz .LBB480_19
; %bb.18:
	flat_load_dwordx2 v[14:15], v[10:11]
	s_waitcnt vmcnt(0) lgkmcnt(0)
	v_fma_f64 v[6:7], s[10:11], v[14:15], v[6:7]
.LBB480_19:
	flat_store_dwordx2 v[10:11], v[6:7]
.LBB480_20:
	s_or_b32 exec_lo, exec_lo, s5
	v_add_nc_u32_e32 v10, 16, v13
	v_ashrrev_i32_e32 v11, 31, v10
	v_mul_lo_u32 v13, s41, v10
	v_mad_u64_u32 v[6:7], null, s40, v10, 0
	v_cmp_le_i32_e32 vcc_lo, v10, v0
	v_mul_lo_u32 v11, s40, v11
	s_and_b32 s0, vcc_lo, s0
	v_add3_u32 v7, v7, v11, v13
	v_lshlrev_b64 v[6:7], 3, v[6:7]
	v_add_co_u32 v6, s2, s4, v6
	v_add_co_ci_u32_e64 v7, null, s3, v7, s2
	s_and_saveexec_b32 s2, s0
	s_cbranch_execz .LBB480_24
; %bb.21:
	v_mul_f64 v[4:5], s[14:15], v[4:5]
	v_lshlrev_b64 v[0:1], 3, v[0:1]
	v_cmp_ne_u32_e32 vcc_lo, 1, v12
	v_add_co_u32 v0, s0, v6, v0
	v_add_co_ci_u32_e64 v1, null, v7, v1, s0
	s_cbranch_vccnz .LBB480_23
; %bb.22:
	flat_load_dwordx2 v[13:14], v[0:1]
	s_waitcnt vmcnt(0) lgkmcnt(0)
	v_fma_f64 v[4:5], s[10:11], v[13:14], v[4:5]
.LBB480_23:
	flat_store_dwordx2 v[0:1], v[4:5]
.LBB480_24:
	s_or_b32 exec_lo, exec_lo, s2
	v_cmp_le_i32_e32 vcc_lo, v10, v8
	s_and_b32 s0, vcc_lo, s1
	s_and_saveexec_b32 s1, s0
	s_cbranch_execz .LBB480_28
; %bb.25:
	v_mul_f64 v[0:1], s[14:15], v[2:3]
	v_lshlrev_b64 v[2:3], 3, v[8:9]
	v_cmp_ne_u32_e32 vcc_lo, 1, v12
	v_add_co_u32 v2, s0, v6, v2
	v_add_co_ci_u32_e64 v3, null, v7, v3, s0
	s_cbranch_vccnz .LBB480_27
; %bb.26:
	flat_load_dwordx2 v[4:5], v[2:3]
	s_waitcnt vmcnt(0) lgkmcnt(0)
	v_fma_f64 v[0:1], s[10:11], v[4:5], v[0:1]
.LBB480_27:
	flat_store_dwordx2 v[2:3], v[0:1]
.LBB480_28:
	s_endpgm
	.section	.rodata,"a",@progbits
	.p2align	6, 0x0
	.amdhsa_kernel _ZL29rocblas_internal_gemmt_kernelIlLi16ELi32ELi8ELc84ELc78ELc76ELb0ELb0EdPKdPKS1_PKPdEviT_T9_T10_S7_lS9_S7_lS8_T11_S7_li
		.amdhsa_group_segment_fixed_size 4096
		.amdhsa_private_segment_fixed_size 0
		.amdhsa_kernarg_size 108
		.amdhsa_user_sgpr_count 6
		.amdhsa_user_sgpr_private_segment_buffer 1
		.amdhsa_user_sgpr_dispatch_ptr 0
		.amdhsa_user_sgpr_queue_ptr 0
		.amdhsa_user_sgpr_kernarg_segment_ptr 1
		.amdhsa_user_sgpr_dispatch_id 0
		.amdhsa_user_sgpr_flat_scratch_init 0
		.amdhsa_user_sgpr_private_segment_size 0
		.amdhsa_wavefront_size32 1
		.amdhsa_uses_dynamic_stack 0
		.amdhsa_system_sgpr_private_segment_wavefront_offset 0
		.amdhsa_system_sgpr_workgroup_id_x 1
		.amdhsa_system_sgpr_workgroup_id_y 1
		.amdhsa_system_sgpr_workgroup_id_z 1
		.amdhsa_system_sgpr_workgroup_info 0
		.amdhsa_system_vgpr_workitem_id 1
		.amdhsa_next_free_vgpr 46
		.amdhsa_next_free_sgpr 44
		.amdhsa_reserve_vcc 1
		.amdhsa_reserve_flat_scratch 0
		.amdhsa_float_round_mode_32 0
		.amdhsa_float_round_mode_16_64 0
		.amdhsa_float_denorm_mode_32 3
		.amdhsa_float_denorm_mode_16_64 3
		.amdhsa_dx10_clamp 1
		.amdhsa_ieee_mode 1
		.amdhsa_fp16_overflow 0
		.amdhsa_workgroup_processor_mode 1
		.amdhsa_memory_ordered 1
		.amdhsa_forward_progress 1
		.amdhsa_shared_vgpr_count 0
		.amdhsa_exception_fp_ieee_invalid_op 0
		.amdhsa_exception_fp_denorm_src 0
		.amdhsa_exception_fp_ieee_div_zero 0
		.amdhsa_exception_fp_ieee_overflow 0
		.amdhsa_exception_fp_ieee_underflow 0
		.amdhsa_exception_fp_ieee_inexact 0
		.amdhsa_exception_int_div_zero 0
	.end_amdhsa_kernel
	.section	.text._ZL29rocblas_internal_gemmt_kernelIlLi16ELi32ELi8ELc84ELc78ELc76ELb0ELb0EdPKdPKS1_PKPdEviT_T9_T10_S7_lS9_S7_lS8_T11_S7_li,"axG",@progbits,_ZL29rocblas_internal_gemmt_kernelIlLi16ELi32ELi8ELc84ELc78ELc76ELb0ELb0EdPKdPKS1_PKPdEviT_T9_T10_S7_lS9_S7_lS8_T11_S7_li,comdat
.Lfunc_end480:
	.size	_ZL29rocblas_internal_gemmt_kernelIlLi16ELi32ELi8ELc84ELc78ELc76ELb0ELb0EdPKdPKS1_PKPdEviT_T9_T10_S7_lS9_S7_lS8_T11_S7_li, .Lfunc_end480-_ZL29rocblas_internal_gemmt_kernelIlLi16ELi32ELi8ELc84ELc78ELc76ELb0ELb0EdPKdPKS1_PKPdEviT_T9_T10_S7_lS9_S7_lS8_T11_S7_li
                                        ; -- End function
	.set _ZL29rocblas_internal_gemmt_kernelIlLi16ELi32ELi8ELc84ELc78ELc76ELb0ELb0EdPKdPKS1_PKPdEviT_T9_T10_S7_lS9_S7_lS8_T11_S7_li.num_vgpr, 46
	.set _ZL29rocblas_internal_gemmt_kernelIlLi16ELi32ELi8ELc84ELc78ELc76ELb0ELb0EdPKdPKS1_PKPdEviT_T9_T10_S7_lS9_S7_lS8_T11_S7_li.num_agpr, 0
	.set _ZL29rocblas_internal_gemmt_kernelIlLi16ELi32ELi8ELc84ELc78ELc76ELb0ELb0EdPKdPKS1_PKPdEviT_T9_T10_S7_lS9_S7_lS8_T11_S7_li.numbered_sgpr, 44
	.set _ZL29rocblas_internal_gemmt_kernelIlLi16ELi32ELi8ELc84ELc78ELc76ELb0ELb0EdPKdPKS1_PKPdEviT_T9_T10_S7_lS9_S7_lS8_T11_S7_li.num_named_barrier, 0
	.set _ZL29rocblas_internal_gemmt_kernelIlLi16ELi32ELi8ELc84ELc78ELc76ELb0ELb0EdPKdPKS1_PKPdEviT_T9_T10_S7_lS9_S7_lS8_T11_S7_li.private_seg_size, 0
	.set _ZL29rocblas_internal_gemmt_kernelIlLi16ELi32ELi8ELc84ELc78ELc76ELb0ELb0EdPKdPKS1_PKPdEviT_T9_T10_S7_lS9_S7_lS8_T11_S7_li.uses_vcc, 1
	.set _ZL29rocblas_internal_gemmt_kernelIlLi16ELi32ELi8ELc84ELc78ELc76ELb0ELb0EdPKdPKS1_PKPdEviT_T9_T10_S7_lS9_S7_lS8_T11_S7_li.uses_flat_scratch, 0
	.set _ZL29rocblas_internal_gemmt_kernelIlLi16ELi32ELi8ELc84ELc78ELc76ELb0ELb0EdPKdPKS1_PKPdEviT_T9_T10_S7_lS9_S7_lS8_T11_S7_li.has_dyn_sized_stack, 0
	.set _ZL29rocblas_internal_gemmt_kernelIlLi16ELi32ELi8ELc84ELc78ELc76ELb0ELb0EdPKdPKS1_PKPdEviT_T9_T10_S7_lS9_S7_lS8_T11_S7_li.has_recursion, 0
	.set _ZL29rocblas_internal_gemmt_kernelIlLi16ELi32ELi8ELc84ELc78ELc76ELb0ELb0EdPKdPKS1_PKPdEviT_T9_T10_S7_lS9_S7_lS8_T11_S7_li.has_indirect_call, 0
	.section	.AMDGPU.csdata,"",@progbits
; Kernel info:
; codeLenInByte = 1704
; TotalNumSgprs: 46
; NumVgprs: 46
; ScratchSize: 0
; MemoryBound: 0
; FloatMode: 240
; IeeeMode: 1
; LDSByteSize: 4096 bytes/workgroup (compile time only)
; SGPRBlocks: 0
; VGPRBlocks: 5
; NumSGPRsForWavesPerEU: 46
; NumVGPRsForWavesPerEU: 46
; Occupancy: 16
; WaveLimiterHint : 1
; COMPUTE_PGM_RSRC2:SCRATCH_EN: 0
; COMPUTE_PGM_RSRC2:USER_SGPR: 6
; COMPUTE_PGM_RSRC2:TRAP_HANDLER: 0
; COMPUTE_PGM_RSRC2:TGID_X_EN: 1
; COMPUTE_PGM_RSRC2:TGID_Y_EN: 1
; COMPUTE_PGM_RSRC2:TGID_Z_EN: 1
; COMPUTE_PGM_RSRC2:TIDIG_COMP_CNT: 1
	.section	.text._ZL29rocblas_internal_gemmt_kernelIlLi16ELi32ELi8ELc84ELc84ELc76ELb0ELb0EdPKdPKS1_PKPdEviT_T9_T10_S7_lS9_S7_lS8_T11_S7_li,"axG",@progbits,_ZL29rocblas_internal_gemmt_kernelIlLi16ELi32ELi8ELc84ELc84ELc76ELb0ELb0EdPKdPKS1_PKPdEviT_T9_T10_S7_lS9_S7_lS8_T11_S7_li,comdat
	.globl	_ZL29rocblas_internal_gemmt_kernelIlLi16ELi32ELi8ELc84ELc84ELc76ELb0ELb0EdPKdPKS1_PKPdEviT_T9_T10_S7_lS9_S7_lS8_T11_S7_li ; -- Begin function _ZL29rocblas_internal_gemmt_kernelIlLi16ELi32ELi8ELc84ELc84ELc76ELb0ELb0EdPKdPKS1_PKPdEviT_T9_T10_S7_lS9_S7_lS8_T11_S7_li
	.p2align	8
	.type	_ZL29rocblas_internal_gemmt_kernelIlLi16ELi32ELi8ELc84ELc84ELc76ELb0ELb0EdPKdPKS1_PKPdEviT_T9_T10_S7_lS9_S7_lS8_T11_S7_li,@function
_ZL29rocblas_internal_gemmt_kernelIlLi16ELi32ELi8ELc84ELc84ELc76ELb0ELb0EdPKdPKS1_PKPdEviT_T9_T10_S7_lS9_S7_lS8_T11_S7_li: ; @_ZL29rocblas_internal_gemmt_kernelIlLi16ELi32ELi8ELc84ELc84ELc76ELb0ELb0EdPKdPKS1_PKPdEviT_T9_T10_S7_lS9_S7_lS8_T11_S7_li
; %bb.0:
	s_load_dwordx8 s[36:43], s[4:5], 0x48
	s_waitcnt lgkmcnt(0)
	s_load_dwordx2 s[10:11], s[36:37], 0x0
	s_load_dwordx16 s[12:27], s[4:5], 0x8
	s_waitcnt lgkmcnt(0)
	v_cmp_neq_f64_e64 s0, s[10:11], 1.0
	s_load_dwordx2 s[14:15], s[14:15], 0x0
	s_and_b32 vcc_lo, exec_lo, s0
	s_cbranch_vccnz .LBB481_2
; %bb.1:
	s_waitcnt lgkmcnt(0)
	v_cmp_neq_f64_e64 s0, s[14:15], 0
	s_cmp_lg_u64 s[12:13], 0
	s_cselect_b32 s1, -1, 0
	s_and_b32 s0, s1, s0
.LBB481_2:
	s_andn2_b32 vcc_lo, exec_lo, s0
	s_cbranch_vccnz .LBB481_28
; %bb.3:
	s_waitcnt lgkmcnt(0)
	v_cmp_eq_f64_e64 s28, s[14:15], 0
	s_mov_b32 s9, 0
	v_mov_b32_e32 v8, 0
	s_lshl_b64 s[0:1], s[8:9], 3
	v_mov_b32_e32 v6, 0
	s_add_u32 s2, s38, s0
	s_addc_u32 s3, s39, s1
	s_load_dword s8, s[4:5], 0x0
	s_load_dwordx2 s[2:3], s[2:3], 0x0
	v_cmp_lt_i64_e64 s4, s[12:13], 1
	v_mov_b32_e32 v4, 0
	v_mov_b32_e32 v2, 0
	;; [unrolled: 1-line block ×6, first 2 shown]
	s_lshl_b32 s6, s6, 5
	s_lshl_b32 s7, s7, 5
	s_or_b32 s4, s28, s4
	s_and_b32 vcc_lo, exec_lo, s4
	s_cbranch_vccnz .LBB481_12
; %bb.4:
	s_add_u32 s4, s22, s0
	s_addc_u32 s5, s23, s1
	s_lshl_b64 s[22:23], s[26:27], 3
	s_load_dwordx2 s[4:5], s[4:5], 0x0
	v_lshl_add_u32 v10, v1, 4, v0
	v_and_b32_e32 v16, 7, v0
	v_mov_b32_e32 v2, 0
	v_mov_b32_e32 v4, 0
	;; [unrolled: 1-line block ×3, first 2 shown]
	v_and_b32_e32 v11, 31, v10
	v_lshrrev_b32_e32 v14, 3, v10
	v_lshrrev_b32_e32 v19, 5, v10
	v_lshlrev_b32_e32 v20, 3, v16
	v_mov_b32_e32 v8, 0
	v_or_b32_e32 v15, s6, v11
	v_add_nc_u32_e32 v10, s7, v14
	v_lshlrev_b32_e32 v21, 3, v11
	v_lshl_or_b32 v23, v14, 6, v20
	v_lshlrev_b32_e32 v17, 3, v0
	v_mul_lo_u32 v22, s19, v15
	v_mad_u64_u32 v[12:13], null, s18, v15, 0
	v_ashrrev_i32_e32 v11, 31, v10
	s_waitcnt lgkmcnt(0)
	s_add_u32 s9, s4, s22
	s_addc_u32 s22, s5, s23
	s_add_u32 s0, s16, s0
	s_addc_u32 s1, s17, s1
	s_lshl_b64 s[4:5], s[20:21], 3
	s_load_dwordx2 s[0:1], s[0:1], 0x0
	v_lshl_or_b32 v20, v19, 8, v21
	v_add_nc_u32_e32 v21, 0x800, v23
	v_lshl_add_u32 v18, v1, 6, 0x800
	v_mov_b32_e32 v3, 0
	v_mov_b32_e32 v5, 0
	;; [unrolled: 1-line block ×4, first 2 shown]
	s_waitcnt lgkmcnt(0)
	s_add_u32 s4, s0, s4
	s_addc_u32 s5, s1, s5
	s_ashr_i32 s0, s6, 31
	s_mul_i32 s1, s18, s0
	v_cmp_gt_i32_e64 s0, s8, v15
	v_add3_u32 v13, v13, s1, v22
	v_lshlrev_b64 v[14:15], 3, v[10:11]
	v_cmp_gt_i32_e64 s1, s8, v10
	v_lshlrev_b64 v[10:11], 3, v[12:13]
	v_add_co_u32 v22, vcc_lo, s9, v14
	v_add_co_ci_u32_e64 v23, null, s22, v15, vcc_lo
	v_add_co_u32 v24, vcc_lo, s4, v10
	v_add_co_ci_u32_e64 v25, null, s5, v11, vcc_lo
	v_mov_b32_e32 v11, 0
	s_mov_b64 s[4:5], 0
	s_branch .LBB481_6
.LBB481_5:                              ;   in Loop: Header=BB481_6 Depth=1
	s_or_b32 exec_lo, exec_lo, s9
	s_waitcnt vmcnt(0) lgkmcnt(0)
	ds_write_b64 v21, v[14:15]
	s_waitcnt lgkmcnt(0)
	s_barrier
	buffer_gl0_inv
	ds_read_b128 v[12:15], v18
	ds_read2_b64 v[26:29], v17 offset1:16
	ds_read_b128 v[30:33], v18 offset:1024
	ds_read_b128 v[34:37], v18 offset:16
	ds_read2_b64 v[38:41], v17 offset0:32 offset1:48
	ds_read_b128 v[42:45], v18 offset:1040
	s_add_u32 s4, s4, 8
	s_addc_u32 s5, s5, 0
	v_cmp_gt_i64_e64 s9, s[12:13], s[4:5]
	s_and_b32 vcc_lo, exec_lo, s9
	s_waitcnt lgkmcnt(4)
	v_fma_f64 v[8:9], v[26:27], v[12:13], v[8:9]
	v_fma_f64 v[6:7], v[28:29], v[12:13], v[6:7]
	s_waitcnt lgkmcnt(3)
	v_fma_f64 v[12:13], v[26:27], v[30:31], v[4:5]
	v_fma_f64 v[26:27], v[28:29], v[30:31], v[2:3]
	ds_read2_b64 v[2:5], v17 offset0:64 offset1:80
	s_waitcnt lgkmcnt(2)
	v_fma_f64 v[28:29], v[38:39], v[14:15], v[8:9]
	v_fma_f64 v[14:15], v[40:41], v[14:15], v[6:7]
	;; [unrolled: 1-line block ×4, first 2 shown]
	ds_read2_b64 v[6:9], v17 offset0:96 offset1:112
	s_waitcnt lgkmcnt(1)
	v_fma_f64 v[28:29], v[2:3], v[34:35], v[28:29]
	v_fma_f64 v[30:31], v[4:5], v[34:35], v[14:15]
	;; [unrolled: 1-line block ×4, first 2 shown]
	ds_read_b128 v[2:5], v18 offset:32
	ds_read2_b64 v[12:15], v17 offset0:128 offset1:144
	s_waitcnt lgkmcnt(2)
	v_fma_f64 v[38:39], v[6:7], v[36:37], v[28:29]
	v_fma_f64 v[40:41], v[8:9], v[36:37], v[30:31]
	;; [unrolled: 1-line block ×4, first 2 shown]
	ds_read_b128 v[6:9], v18 offset:1056
	ds_read_b128 v[26:29], v18 offset:48
	ds_read2_b64 v[30:33], v17 offset0:160 offset1:176
	ds_read_b128 v[34:37], v18 offset:1072
	s_waitcnt lgkmcnt(4)
	v_fma_f64 v[38:39], v[12:13], v[2:3], v[38:39]
	v_fma_f64 v[2:3], v[14:15], v[2:3], v[40:41]
	s_waitcnt lgkmcnt(3)
	v_fma_f64 v[40:41], v[12:13], v[6:7], v[42:43]
	v_fma_f64 v[6:7], v[14:15], v[6:7], v[44:45]
	ds_read2_b64 v[12:15], v17 offset0:192 offset1:208
	s_waitcnt lgkmcnt(2)
	v_fma_f64 v[38:39], v[30:31], v[4:5], v[38:39]
	v_fma_f64 v[2:3], v[32:33], v[4:5], v[2:3]
	;; [unrolled: 1-line block ×4, first 2 shown]
	ds_read2_b64 v[30:33], v17 offset0:224 offset1:240
	s_waitcnt lgkmcnt(0)
	s_barrier
	buffer_gl0_inv
	v_fma_f64 v[8:9], v[12:13], v[26:27], v[38:39]
	v_fma_f64 v[2:3], v[14:15], v[26:27], v[2:3]
	;; [unrolled: 1-line block ×8, first 2 shown]
	s_cbranch_vccz .LBB481_12
.LBB481_6:                              ; =>This Inner Loop Header: Depth=1
	v_mov_b32_e32 v12, 0
	v_mov_b32_e32 v13, 0
	s_and_saveexec_b32 s9, s0
	s_cbranch_execz .LBB481_10
; %bb.7:                                ;   in Loop: Header=BB481_6 Depth=1
	v_mov_b32_e32 v12, 0
	v_add_nc_u32_e32 v10, s4, v19
	v_mov_b32_e32 v13, 0
	s_mov_b32 s16, exec_lo
	v_cmpx_gt_u64_e64 s[12:13], v[10:11]
	s_cbranch_execz .LBB481_9
; %bb.8:                                ;   in Loop: Header=BB481_6 Depth=1
	v_lshlrev_b64 v[12:13], 3, v[10:11]
	v_add_co_u32 v12, vcc_lo, v24, v12
	v_add_co_ci_u32_e64 v13, null, v25, v13, vcc_lo
	flat_load_dwordx2 v[12:13], v[12:13]
.LBB481_9:                              ;   in Loop: Header=BB481_6 Depth=1
	s_or_b32 exec_lo, exec_lo, s16
.LBB481_10:                             ;   in Loop: Header=BB481_6 Depth=1
	s_or_b32 exec_lo, exec_lo, s9
	v_add_nc_u32_e32 v10, s4, v16
	v_mov_b32_e32 v14, 0
	v_mov_b32_e32 v15, 0
	s_waitcnt vmcnt(0) lgkmcnt(0)
	ds_write_b64 v20, v[12:13]
	v_cmp_gt_u64_e32 vcc_lo, s[12:13], v[10:11]
	s_and_b32 s16, vcc_lo, s1
	s_and_saveexec_b32 s9, s16
	s_cbranch_execz .LBB481_5
; %bb.11:                               ;   in Loop: Header=BB481_6 Depth=1
	v_mad_u64_u32 v[12:13], null, s24, v10, 0
	v_mad_u64_u32 v[13:14], null, s25, v10, v[13:14]
	v_lshlrev_b64 v[12:13], 3, v[12:13]
	v_add_co_u32 v12, vcc_lo, v22, v12
	v_add_co_ci_u32_e64 v13, null, v23, v13, vcc_lo
	flat_load_dwordx2 v[14:15], v[12:13]
	s_branch .LBB481_5
.LBB481_12:
	v_add_nc_u32_e32 v13, s7, v1
	s_lshl_b64 s[0:1], s[42:43], 3
	v_add_nc_u32_e32 v0, s6, v0
	s_waitcnt lgkmcnt(0)
	s_add_u32 s4, s2, s0
	v_cmp_neq_f64_e64 s2, s[10:11], 0
	v_ashrrev_i32_e32 v1, 31, v13
	v_mul_lo_u32 v12, s41, v13
	v_mad_u64_u32 v[10:11], null, s40, v13, 0
	s_addc_u32 s3, s3, s1
	v_mul_lo_u32 v1, s40, v1
	v_cmp_le_i32_e32 vcc_lo, v13, v0
	v_cmp_gt_i32_e64 s0, s8, v0
	s_and_b32 s5, vcc_lo, s0
	v_add3_u32 v11, v11, v1, v12
	v_ashrrev_i32_e32 v1, 31, v0
	v_lshlrev_b64 v[10:11], 3, v[10:11]
	v_cndmask_b32_e64 v12, 0, 1, s2
	v_add_co_u32 v14, s1, s4, v10
	v_add_co_ci_u32_e64 v15, null, s3, v11, s1
	s_and_saveexec_b32 s1, s5
	s_cbranch_execz .LBB481_16
; %bb.13:
	v_mul_f64 v[8:9], s[14:15], v[8:9]
	v_lshlrev_b64 v[10:11], 3, v[0:1]
	v_add_co_u32 v10, vcc_lo, v14, v10
	v_add_co_ci_u32_e64 v11, null, v15, v11, vcc_lo
	s_andn2_b32 vcc_lo, exec_lo, s2
	s_cbranch_vccnz .LBB481_15
; %bb.14:
	flat_load_dwordx2 v[16:17], v[10:11]
	s_waitcnt vmcnt(0) lgkmcnt(0)
	v_fma_f64 v[8:9], s[10:11], v[16:17], v[8:9]
.LBB481_15:
	flat_store_dwordx2 v[10:11], v[8:9]
.LBB481_16:
	s_or_b32 exec_lo, exec_lo, s1
	v_add_nc_u32_e32 v8, 16, v0
	v_cmp_le_i32_e32 vcc_lo, v13, v8
	v_cmp_gt_i32_e64 s1, s8, v8
	v_ashrrev_i32_e32 v9, 31, v8
	s_and_b32 s2, vcc_lo, s1
	s_and_saveexec_b32 s5, s2
	s_cbranch_execz .LBB481_20
; %bb.17:
	v_mul_f64 v[6:7], s[14:15], v[6:7]
	v_lshlrev_b64 v[10:11], 3, v[8:9]
	v_cmp_ne_u32_e32 vcc_lo, 1, v12
	v_add_co_u32 v10, s2, v14, v10
	v_add_co_ci_u32_e64 v11, null, v15, v11, s2
	s_cbranch_vccnz .LBB481_19
; %bb.18:
	flat_load_dwordx2 v[14:15], v[10:11]
	s_waitcnt vmcnt(0) lgkmcnt(0)
	v_fma_f64 v[6:7], s[10:11], v[14:15], v[6:7]
.LBB481_19:
	flat_store_dwordx2 v[10:11], v[6:7]
.LBB481_20:
	s_or_b32 exec_lo, exec_lo, s5
	v_add_nc_u32_e32 v10, 16, v13
	v_ashrrev_i32_e32 v11, 31, v10
	v_mul_lo_u32 v13, s41, v10
	v_mad_u64_u32 v[6:7], null, s40, v10, 0
	v_cmp_le_i32_e32 vcc_lo, v10, v0
	v_mul_lo_u32 v11, s40, v11
	s_and_b32 s0, vcc_lo, s0
	v_add3_u32 v7, v7, v11, v13
	v_lshlrev_b64 v[6:7], 3, v[6:7]
	v_add_co_u32 v6, s2, s4, v6
	v_add_co_ci_u32_e64 v7, null, s3, v7, s2
	s_and_saveexec_b32 s2, s0
	s_cbranch_execz .LBB481_24
; %bb.21:
	v_mul_f64 v[4:5], s[14:15], v[4:5]
	v_lshlrev_b64 v[0:1], 3, v[0:1]
	v_cmp_ne_u32_e32 vcc_lo, 1, v12
	v_add_co_u32 v0, s0, v6, v0
	v_add_co_ci_u32_e64 v1, null, v7, v1, s0
	s_cbranch_vccnz .LBB481_23
; %bb.22:
	flat_load_dwordx2 v[13:14], v[0:1]
	s_waitcnt vmcnt(0) lgkmcnt(0)
	v_fma_f64 v[4:5], s[10:11], v[13:14], v[4:5]
.LBB481_23:
	flat_store_dwordx2 v[0:1], v[4:5]
.LBB481_24:
	s_or_b32 exec_lo, exec_lo, s2
	v_cmp_le_i32_e32 vcc_lo, v10, v8
	s_and_b32 s0, vcc_lo, s1
	s_and_saveexec_b32 s1, s0
	s_cbranch_execz .LBB481_28
; %bb.25:
	v_mul_f64 v[0:1], s[14:15], v[2:3]
	v_lshlrev_b64 v[2:3], 3, v[8:9]
	v_cmp_ne_u32_e32 vcc_lo, 1, v12
	v_add_co_u32 v2, s0, v6, v2
	v_add_co_ci_u32_e64 v3, null, v7, v3, s0
	s_cbranch_vccnz .LBB481_27
; %bb.26:
	flat_load_dwordx2 v[4:5], v[2:3]
	s_waitcnt vmcnt(0) lgkmcnt(0)
	v_fma_f64 v[0:1], s[10:11], v[4:5], v[0:1]
.LBB481_27:
	flat_store_dwordx2 v[2:3], v[0:1]
.LBB481_28:
	s_endpgm
	.section	.rodata,"a",@progbits
	.p2align	6, 0x0
	.amdhsa_kernel _ZL29rocblas_internal_gemmt_kernelIlLi16ELi32ELi8ELc84ELc84ELc76ELb0ELb0EdPKdPKS1_PKPdEviT_T9_T10_S7_lS9_S7_lS8_T11_S7_li
		.amdhsa_group_segment_fixed_size 4096
		.amdhsa_private_segment_fixed_size 0
		.amdhsa_kernarg_size 108
		.amdhsa_user_sgpr_count 6
		.amdhsa_user_sgpr_private_segment_buffer 1
		.amdhsa_user_sgpr_dispatch_ptr 0
		.amdhsa_user_sgpr_queue_ptr 0
		.amdhsa_user_sgpr_kernarg_segment_ptr 1
		.amdhsa_user_sgpr_dispatch_id 0
		.amdhsa_user_sgpr_flat_scratch_init 0
		.amdhsa_user_sgpr_private_segment_size 0
		.amdhsa_wavefront_size32 1
		.amdhsa_uses_dynamic_stack 0
		.amdhsa_system_sgpr_private_segment_wavefront_offset 0
		.amdhsa_system_sgpr_workgroup_id_x 1
		.amdhsa_system_sgpr_workgroup_id_y 1
		.amdhsa_system_sgpr_workgroup_id_z 1
		.amdhsa_system_sgpr_workgroup_info 0
		.amdhsa_system_vgpr_workitem_id 1
		.amdhsa_next_free_vgpr 46
		.amdhsa_next_free_sgpr 44
		.amdhsa_reserve_vcc 1
		.amdhsa_reserve_flat_scratch 0
		.amdhsa_float_round_mode_32 0
		.amdhsa_float_round_mode_16_64 0
		.amdhsa_float_denorm_mode_32 3
		.amdhsa_float_denorm_mode_16_64 3
		.amdhsa_dx10_clamp 1
		.amdhsa_ieee_mode 1
		.amdhsa_fp16_overflow 0
		.amdhsa_workgroup_processor_mode 1
		.amdhsa_memory_ordered 1
		.amdhsa_forward_progress 1
		.amdhsa_shared_vgpr_count 0
		.amdhsa_exception_fp_ieee_invalid_op 0
		.amdhsa_exception_fp_denorm_src 0
		.amdhsa_exception_fp_ieee_div_zero 0
		.amdhsa_exception_fp_ieee_overflow 0
		.amdhsa_exception_fp_ieee_underflow 0
		.amdhsa_exception_fp_ieee_inexact 0
		.amdhsa_exception_int_div_zero 0
	.end_amdhsa_kernel
	.section	.text._ZL29rocblas_internal_gemmt_kernelIlLi16ELi32ELi8ELc84ELc84ELc76ELb0ELb0EdPKdPKS1_PKPdEviT_T9_T10_S7_lS9_S7_lS8_T11_S7_li,"axG",@progbits,_ZL29rocblas_internal_gemmt_kernelIlLi16ELi32ELi8ELc84ELc84ELc76ELb0ELb0EdPKdPKS1_PKPdEviT_T9_T10_S7_lS9_S7_lS8_T11_S7_li,comdat
.Lfunc_end481:
	.size	_ZL29rocblas_internal_gemmt_kernelIlLi16ELi32ELi8ELc84ELc84ELc76ELb0ELb0EdPKdPKS1_PKPdEviT_T9_T10_S7_lS9_S7_lS8_T11_S7_li, .Lfunc_end481-_ZL29rocblas_internal_gemmt_kernelIlLi16ELi32ELi8ELc84ELc84ELc76ELb0ELb0EdPKdPKS1_PKPdEviT_T9_T10_S7_lS9_S7_lS8_T11_S7_li
                                        ; -- End function
	.set _ZL29rocblas_internal_gemmt_kernelIlLi16ELi32ELi8ELc84ELc84ELc76ELb0ELb0EdPKdPKS1_PKPdEviT_T9_T10_S7_lS9_S7_lS8_T11_S7_li.num_vgpr, 46
	.set _ZL29rocblas_internal_gemmt_kernelIlLi16ELi32ELi8ELc84ELc84ELc76ELb0ELb0EdPKdPKS1_PKPdEviT_T9_T10_S7_lS9_S7_lS8_T11_S7_li.num_agpr, 0
	.set _ZL29rocblas_internal_gemmt_kernelIlLi16ELi32ELi8ELc84ELc84ELc76ELb0ELb0EdPKdPKS1_PKPdEviT_T9_T10_S7_lS9_S7_lS8_T11_S7_li.numbered_sgpr, 44
	.set _ZL29rocblas_internal_gemmt_kernelIlLi16ELi32ELi8ELc84ELc84ELc76ELb0ELb0EdPKdPKS1_PKPdEviT_T9_T10_S7_lS9_S7_lS8_T11_S7_li.num_named_barrier, 0
	.set _ZL29rocblas_internal_gemmt_kernelIlLi16ELi32ELi8ELc84ELc84ELc76ELb0ELb0EdPKdPKS1_PKPdEviT_T9_T10_S7_lS9_S7_lS8_T11_S7_li.private_seg_size, 0
	.set _ZL29rocblas_internal_gemmt_kernelIlLi16ELi32ELi8ELc84ELc84ELc76ELb0ELb0EdPKdPKS1_PKPdEviT_T9_T10_S7_lS9_S7_lS8_T11_S7_li.uses_vcc, 1
	.set _ZL29rocblas_internal_gemmt_kernelIlLi16ELi32ELi8ELc84ELc84ELc76ELb0ELb0EdPKdPKS1_PKPdEviT_T9_T10_S7_lS9_S7_lS8_T11_S7_li.uses_flat_scratch, 0
	.set _ZL29rocblas_internal_gemmt_kernelIlLi16ELi32ELi8ELc84ELc84ELc76ELb0ELb0EdPKdPKS1_PKPdEviT_T9_T10_S7_lS9_S7_lS8_T11_S7_li.has_dyn_sized_stack, 0
	.set _ZL29rocblas_internal_gemmt_kernelIlLi16ELi32ELi8ELc84ELc84ELc76ELb0ELb0EdPKdPKS1_PKPdEviT_T9_T10_S7_lS9_S7_lS8_T11_S7_li.has_recursion, 0
	.set _ZL29rocblas_internal_gemmt_kernelIlLi16ELi32ELi8ELc84ELc84ELc76ELb0ELb0EdPKdPKS1_PKPdEviT_T9_T10_S7_lS9_S7_lS8_T11_S7_li.has_indirect_call, 0
	.section	.AMDGPU.csdata,"",@progbits
; Kernel info:
; codeLenInByte = 1688
; TotalNumSgprs: 46
; NumVgprs: 46
; ScratchSize: 0
; MemoryBound: 0
; FloatMode: 240
; IeeeMode: 1
; LDSByteSize: 4096 bytes/workgroup (compile time only)
; SGPRBlocks: 0
; VGPRBlocks: 5
; NumSGPRsForWavesPerEU: 46
; NumVGPRsForWavesPerEU: 46
; Occupancy: 16
; WaveLimiterHint : 1
; COMPUTE_PGM_RSRC2:SCRATCH_EN: 0
; COMPUTE_PGM_RSRC2:USER_SGPR: 6
; COMPUTE_PGM_RSRC2:TRAP_HANDLER: 0
; COMPUTE_PGM_RSRC2:TGID_X_EN: 1
; COMPUTE_PGM_RSRC2:TGID_Y_EN: 1
; COMPUTE_PGM_RSRC2:TGID_Z_EN: 1
; COMPUTE_PGM_RSRC2:TIDIG_COMP_CNT: 1
	.section	.text._ZL29rocblas_internal_gemmt_kernelIlLi16ELi32ELi8ELc84ELc67ELc76ELb0ELb0EdPKdPKS1_PKPdEviT_T9_T10_S7_lS9_S7_lS8_T11_S7_li,"axG",@progbits,_ZL29rocblas_internal_gemmt_kernelIlLi16ELi32ELi8ELc84ELc67ELc76ELb0ELb0EdPKdPKS1_PKPdEviT_T9_T10_S7_lS9_S7_lS8_T11_S7_li,comdat
	.globl	_ZL29rocblas_internal_gemmt_kernelIlLi16ELi32ELi8ELc84ELc67ELc76ELb0ELb0EdPKdPKS1_PKPdEviT_T9_T10_S7_lS9_S7_lS8_T11_S7_li ; -- Begin function _ZL29rocblas_internal_gemmt_kernelIlLi16ELi32ELi8ELc84ELc67ELc76ELb0ELb0EdPKdPKS1_PKPdEviT_T9_T10_S7_lS9_S7_lS8_T11_S7_li
	.p2align	8
	.type	_ZL29rocblas_internal_gemmt_kernelIlLi16ELi32ELi8ELc84ELc67ELc76ELb0ELb0EdPKdPKS1_PKPdEviT_T9_T10_S7_lS9_S7_lS8_T11_S7_li,@function
_ZL29rocblas_internal_gemmt_kernelIlLi16ELi32ELi8ELc84ELc67ELc76ELb0ELb0EdPKdPKS1_PKPdEviT_T9_T10_S7_lS9_S7_lS8_T11_S7_li: ; @_ZL29rocblas_internal_gemmt_kernelIlLi16ELi32ELi8ELc84ELc67ELc76ELb0ELb0EdPKdPKS1_PKPdEviT_T9_T10_S7_lS9_S7_lS8_T11_S7_li
; %bb.0:
	s_load_dwordx8 s[36:43], s[4:5], 0x48
	s_waitcnt lgkmcnt(0)
	s_load_dwordx2 s[10:11], s[36:37], 0x0
	s_load_dwordx16 s[12:27], s[4:5], 0x8
	s_waitcnt lgkmcnt(0)
	v_cmp_neq_f64_e64 s0, s[10:11], 1.0
	s_load_dwordx2 s[14:15], s[14:15], 0x0
	s_and_b32 vcc_lo, exec_lo, s0
	s_cbranch_vccnz .LBB482_2
; %bb.1:
	s_waitcnt lgkmcnt(0)
	v_cmp_neq_f64_e64 s0, s[14:15], 0
	s_cmp_lg_u64 s[12:13], 0
	s_cselect_b32 s1, -1, 0
	s_and_b32 s0, s1, s0
.LBB482_2:
	s_andn2_b32 vcc_lo, exec_lo, s0
	s_cbranch_vccnz .LBB482_28
; %bb.3:
	s_waitcnt lgkmcnt(0)
	v_cmp_eq_f64_e64 s28, s[14:15], 0
	s_mov_b32 s9, 0
	v_mov_b32_e32 v8, 0
	s_lshl_b64 s[0:1], s[8:9], 3
	v_mov_b32_e32 v6, 0
	s_add_u32 s2, s38, s0
	s_addc_u32 s3, s39, s1
	s_load_dword s8, s[4:5], 0x0
	s_load_dwordx2 s[2:3], s[2:3], 0x0
	v_cmp_lt_i64_e64 s4, s[12:13], 1
	v_mov_b32_e32 v4, 0
	v_mov_b32_e32 v2, 0
	;; [unrolled: 1-line block ×6, first 2 shown]
	s_lshl_b32 s6, s6, 5
	s_lshl_b32 s7, s7, 5
	s_or_b32 s4, s28, s4
	s_and_b32 vcc_lo, exec_lo, s4
	s_cbranch_vccnz .LBB482_12
; %bb.4:
	s_add_u32 s4, s22, s0
	s_addc_u32 s5, s23, s1
	s_lshl_b64 s[22:23], s[26:27], 3
	s_load_dwordx2 s[4:5], s[4:5], 0x0
	v_lshl_add_u32 v10, v1, 4, v0
	v_and_b32_e32 v16, 7, v0
	v_mov_b32_e32 v2, 0
	v_mov_b32_e32 v4, 0
	;; [unrolled: 1-line block ×3, first 2 shown]
	v_and_b32_e32 v11, 31, v10
	v_lshrrev_b32_e32 v14, 3, v10
	v_lshrrev_b32_e32 v19, 5, v10
	v_lshlrev_b32_e32 v20, 3, v16
	v_mov_b32_e32 v8, 0
	v_or_b32_e32 v15, s6, v11
	v_add_nc_u32_e32 v10, s7, v14
	v_lshlrev_b32_e32 v21, 3, v11
	v_lshl_or_b32 v23, v14, 6, v20
	v_lshlrev_b32_e32 v17, 3, v0
	v_mul_lo_u32 v22, s19, v15
	v_mad_u64_u32 v[12:13], null, s18, v15, 0
	v_ashrrev_i32_e32 v11, 31, v10
	s_waitcnt lgkmcnt(0)
	s_add_u32 s9, s4, s22
	s_addc_u32 s22, s5, s23
	s_add_u32 s0, s16, s0
	s_addc_u32 s1, s17, s1
	s_lshl_b64 s[4:5], s[20:21], 3
	s_load_dwordx2 s[0:1], s[0:1], 0x0
	v_lshl_or_b32 v20, v19, 8, v21
	v_add_nc_u32_e32 v21, 0x800, v23
	v_lshl_add_u32 v18, v1, 6, 0x800
	v_mov_b32_e32 v3, 0
	v_mov_b32_e32 v5, 0
	;; [unrolled: 1-line block ×4, first 2 shown]
	s_waitcnt lgkmcnt(0)
	s_add_u32 s4, s0, s4
	s_addc_u32 s5, s1, s5
	s_ashr_i32 s0, s6, 31
	s_mul_i32 s1, s18, s0
	v_cmp_gt_i32_e64 s0, s8, v15
	v_add3_u32 v13, v13, s1, v22
	v_lshlrev_b64 v[14:15], 3, v[10:11]
	v_cmp_gt_i32_e64 s1, s8, v10
	v_lshlrev_b64 v[10:11], 3, v[12:13]
	v_add_co_u32 v22, vcc_lo, s9, v14
	v_add_co_ci_u32_e64 v23, null, s22, v15, vcc_lo
	v_add_co_u32 v24, vcc_lo, s4, v10
	v_add_co_ci_u32_e64 v25, null, s5, v11, vcc_lo
	v_mov_b32_e32 v11, 0
	s_mov_b64 s[4:5], 0
	s_branch .LBB482_6
.LBB482_5:                              ;   in Loop: Header=BB482_6 Depth=1
	s_or_b32 exec_lo, exec_lo, s9
	s_waitcnt vmcnt(0) lgkmcnt(0)
	ds_write_b64 v21, v[14:15]
	s_waitcnt lgkmcnt(0)
	s_barrier
	buffer_gl0_inv
	ds_read_b128 v[12:15], v18
	ds_read2_b64 v[26:29], v17 offset1:16
	ds_read_b128 v[30:33], v18 offset:1024
	ds_read_b128 v[34:37], v18 offset:16
	ds_read2_b64 v[38:41], v17 offset0:32 offset1:48
	ds_read_b128 v[42:45], v18 offset:1040
	s_add_u32 s4, s4, 8
	s_addc_u32 s5, s5, 0
	v_cmp_gt_i64_e64 s9, s[12:13], s[4:5]
	s_and_b32 vcc_lo, exec_lo, s9
	s_waitcnt lgkmcnt(4)
	v_fma_f64 v[8:9], v[26:27], v[12:13], v[8:9]
	v_fma_f64 v[6:7], v[28:29], v[12:13], v[6:7]
	s_waitcnt lgkmcnt(3)
	v_fma_f64 v[12:13], v[26:27], v[30:31], v[4:5]
	v_fma_f64 v[26:27], v[28:29], v[30:31], v[2:3]
	ds_read2_b64 v[2:5], v17 offset0:64 offset1:80
	s_waitcnt lgkmcnt(2)
	v_fma_f64 v[28:29], v[38:39], v[14:15], v[8:9]
	v_fma_f64 v[14:15], v[40:41], v[14:15], v[6:7]
	;; [unrolled: 1-line block ×4, first 2 shown]
	ds_read2_b64 v[6:9], v17 offset0:96 offset1:112
	s_waitcnt lgkmcnt(1)
	v_fma_f64 v[28:29], v[2:3], v[34:35], v[28:29]
	v_fma_f64 v[30:31], v[4:5], v[34:35], v[14:15]
	;; [unrolled: 1-line block ×4, first 2 shown]
	ds_read_b128 v[2:5], v18 offset:32
	ds_read2_b64 v[12:15], v17 offset0:128 offset1:144
	s_waitcnt lgkmcnt(2)
	v_fma_f64 v[38:39], v[6:7], v[36:37], v[28:29]
	v_fma_f64 v[40:41], v[8:9], v[36:37], v[30:31]
	;; [unrolled: 1-line block ×4, first 2 shown]
	ds_read_b128 v[6:9], v18 offset:1056
	ds_read_b128 v[26:29], v18 offset:48
	ds_read2_b64 v[30:33], v17 offset0:160 offset1:176
	ds_read_b128 v[34:37], v18 offset:1072
	s_waitcnt lgkmcnt(4)
	v_fma_f64 v[38:39], v[12:13], v[2:3], v[38:39]
	v_fma_f64 v[2:3], v[14:15], v[2:3], v[40:41]
	s_waitcnt lgkmcnt(3)
	v_fma_f64 v[40:41], v[12:13], v[6:7], v[42:43]
	v_fma_f64 v[6:7], v[14:15], v[6:7], v[44:45]
	ds_read2_b64 v[12:15], v17 offset0:192 offset1:208
	s_waitcnt lgkmcnt(2)
	v_fma_f64 v[38:39], v[30:31], v[4:5], v[38:39]
	v_fma_f64 v[2:3], v[32:33], v[4:5], v[2:3]
	;; [unrolled: 1-line block ×4, first 2 shown]
	ds_read2_b64 v[30:33], v17 offset0:224 offset1:240
	s_waitcnt lgkmcnt(0)
	s_barrier
	buffer_gl0_inv
	v_fma_f64 v[8:9], v[12:13], v[26:27], v[38:39]
	v_fma_f64 v[2:3], v[14:15], v[26:27], v[2:3]
	;; [unrolled: 1-line block ×8, first 2 shown]
	s_cbranch_vccz .LBB482_12
.LBB482_6:                              ; =>This Inner Loop Header: Depth=1
	v_mov_b32_e32 v12, 0
	v_mov_b32_e32 v13, 0
	s_and_saveexec_b32 s9, s0
	s_cbranch_execz .LBB482_10
; %bb.7:                                ;   in Loop: Header=BB482_6 Depth=1
	v_mov_b32_e32 v12, 0
	v_add_nc_u32_e32 v10, s4, v19
	v_mov_b32_e32 v13, 0
	s_mov_b32 s16, exec_lo
	v_cmpx_gt_u64_e64 s[12:13], v[10:11]
	s_cbranch_execz .LBB482_9
; %bb.8:                                ;   in Loop: Header=BB482_6 Depth=1
	v_lshlrev_b64 v[12:13], 3, v[10:11]
	v_add_co_u32 v12, vcc_lo, v24, v12
	v_add_co_ci_u32_e64 v13, null, v25, v13, vcc_lo
	flat_load_dwordx2 v[12:13], v[12:13]
.LBB482_9:                              ;   in Loop: Header=BB482_6 Depth=1
	s_or_b32 exec_lo, exec_lo, s16
.LBB482_10:                             ;   in Loop: Header=BB482_6 Depth=1
	s_or_b32 exec_lo, exec_lo, s9
	v_add_nc_u32_e32 v10, s4, v16
	v_mov_b32_e32 v14, 0
	v_mov_b32_e32 v15, 0
	s_waitcnt vmcnt(0) lgkmcnt(0)
	ds_write_b64 v20, v[12:13]
	v_cmp_gt_u64_e32 vcc_lo, s[12:13], v[10:11]
	s_and_b32 s16, vcc_lo, s1
	s_and_saveexec_b32 s9, s16
	s_cbranch_execz .LBB482_5
; %bb.11:                               ;   in Loop: Header=BB482_6 Depth=1
	v_mad_u64_u32 v[12:13], null, s24, v10, 0
	v_mad_u64_u32 v[13:14], null, s25, v10, v[13:14]
	v_lshlrev_b64 v[12:13], 3, v[12:13]
	v_add_co_u32 v12, vcc_lo, v22, v12
	v_add_co_ci_u32_e64 v13, null, v23, v13, vcc_lo
	flat_load_dwordx2 v[14:15], v[12:13]
	s_branch .LBB482_5
.LBB482_12:
	v_add_nc_u32_e32 v13, s7, v1
	s_lshl_b64 s[0:1], s[42:43], 3
	v_add_nc_u32_e32 v0, s6, v0
	s_waitcnt lgkmcnt(0)
	s_add_u32 s4, s2, s0
	v_cmp_neq_f64_e64 s2, s[10:11], 0
	v_ashrrev_i32_e32 v1, 31, v13
	v_mul_lo_u32 v12, s41, v13
	v_mad_u64_u32 v[10:11], null, s40, v13, 0
	s_addc_u32 s3, s3, s1
	v_mul_lo_u32 v1, s40, v1
	v_cmp_le_i32_e32 vcc_lo, v13, v0
	v_cmp_gt_i32_e64 s0, s8, v0
	s_and_b32 s5, vcc_lo, s0
	v_add3_u32 v11, v11, v1, v12
	v_ashrrev_i32_e32 v1, 31, v0
	v_lshlrev_b64 v[10:11], 3, v[10:11]
	v_cndmask_b32_e64 v12, 0, 1, s2
	v_add_co_u32 v14, s1, s4, v10
	v_add_co_ci_u32_e64 v15, null, s3, v11, s1
	s_and_saveexec_b32 s1, s5
	s_cbranch_execz .LBB482_16
; %bb.13:
	v_mul_f64 v[8:9], s[14:15], v[8:9]
	v_lshlrev_b64 v[10:11], 3, v[0:1]
	v_add_co_u32 v10, vcc_lo, v14, v10
	v_add_co_ci_u32_e64 v11, null, v15, v11, vcc_lo
	s_andn2_b32 vcc_lo, exec_lo, s2
	s_cbranch_vccnz .LBB482_15
; %bb.14:
	flat_load_dwordx2 v[16:17], v[10:11]
	s_waitcnt vmcnt(0) lgkmcnt(0)
	v_fma_f64 v[8:9], s[10:11], v[16:17], v[8:9]
.LBB482_15:
	flat_store_dwordx2 v[10:11], v[8:9]
.LBB482_16:
	s_or_b32 exec_lo, exec_lo, s1
	v_add_nc_u32_e32 v8, 16, v0
	v_cmp_le_i32_e32 vcc_lo, v13, v8
	v_cmp_gt_i32_e64 s1, s8, v8
	v_ashrrev_i32_e32 v9, 31, v8
	s_and_b32 s2, vcc_lo, s1
	s_and_saveexec_b32 s5, s2
	s_cbranch_execz .LBB482_20
; %bb.17:
	v_mul_f64 v[6:7], s[14:15], v[6:7]
	v_lshlrev_b64 v[10:11], 3, v[8:9]
	v_cmp_ne_u32_e32 vcc_lo, 1, v12
	v_add_co_u32 v10, s2, v14, v10
	v_add_co_ci_u32_e64 v11, null, v15, v11, s2
	s_cbranch_vccnz .LBB482_19
; %bb.18:
	flat_load_dwordx2 v[14:15], v[10:11]
	s_waitcnt vmcnt(0) lgkmcnt(0)
	v_fma_f64 v[6:7], s[10:11], v[14:15], v[6:7]
.LBB482_19:
	flat_store_dwordx2 v[10:11], v[6:7]
.LBB482_20:
	s_or_b32 exec_lo, exec_lo, s5
	v_add_nc_u32_e32 v10, 16, v13
	v_ashrrev_i32_e32 v11, 31, v10
	v_mul_lo_u32 v13, s41, v10
	v_mad_u64_u32 v[6:7], null, s40, v10, 0
	v_cmp_le_i32_e32 vcc_lo, v10, v0
	v_mul_lo_u32 v11, s40, v11
	s_and_b32 s0, vcc_lo, s0
	v_add3_u32 v7, v7, v11, v13
	v_lshlrev_b64 v[6:7], 3, v[6:7]
	v_add_co_u32 v6, s2, s4, v6
	v_add_co_ci_u32_e64 v7, null, s3, v7, s2
	s_and_saveexec_b32 s2, s0
	s_cbranch_execz .LBB482_24
; %bb.21:
	v_mul_f64 v[4:5], s[14:15], v[4:5]
	v_lshlrev_b64 v[0:1], 3, v[0:1]
	v_cmp_ne_u32_e32 vcc_lo, 1, v12
	v_add_co_u32 v0, s0, v6, v0
	v_add_co_ci_u32_e64 v1, null, v7, v1, s0
	s_cbranch_vccnz .LBB482_23
; %bb.22:
	flat_load_dwordx2 v[13:14], v[0:1]
	s_waitcnt vmcnt(0) lgkmcnt(0)
	v_fma_f64 v[4:5], s[10:11], v[13:14], v[4:5]
.LBB482_23:
	flat_store_dwordx2 v[0:1], v[4:5]
.LBB482_24:
	s_or_b32 exec_lo, exec_lo, s2
	v_cmp_le_i32_e32 vcc_lo, v10, v8
	s_and_b32 s0, vcc_lo, s1
	s_and_saveexec_b32 s1, s0
	s_cbranch_execz .LBB482_28
; %bb.25:
	v_mul_f64 v[0:1], s[14:15], v[2:3]
	v_lshlrev_b64 v[2:3], 3, v[8:9]
	v_cmp_ne_u32_e32 vcc_lo, 1, v12
	v_add_co_u32 v2, s0, v6, v2
	v_add_co_ci_u32_e64 v3, null, v7, v3, s0
	s_cbranch_vccnz .LBB482_27
; %bb.26:
	flat_load_dwordx2 v[4:5], v[2:3]
	s_waitcnt vmcnt(0) lgkmcnt(0)
	v_fma_f64 v[0:1], s[10:11], v[4:5], v[0:1]
.LBB482_27:
	flat_store_dwordx2 v[2:3], v[0:1]
.LBB482_28:
	s_endpgm
	.section	.rodata,"a",@progbits
	.p2align	6, 0x0
	.amdhsa_kernel _ZL29rocblas_internal_gemmt_kernelIlLi16ELi32ELi8ELc84ELc67ELc76ELb0ELb0EdPKdPKS1_PKPdEviT_T9_T10_S7_lS9_S7_lS8_T11_S7_li
		.amdhsa_group_segment_fixed_size 4096
		.amdhsa_private_segment_fixed_size 0
		.amdhsa_kernarg_size 108
		.amdhsa_user_sgpr_count 6
		.amdhsa_user_sgpr_private_segment_buffer 1
		.amdhsa_user_sgpr_dispatch_ptr 0
		.amdhsa_user_sgpr_queue_ptr 0
		.amdhsa_user_sgpr_kernarg_segment_ptr 1
		.amdhsa_user_sgpr_dispatch_id 0
		.amdhsa_user_sgpr_flat_scratch_init 0
		.amdhsa_user_sgpr_private_segment_size 0
		.amdhsa_wavefront_size32 1
		.amdhsa_uses_dynamic_stack 0
		.amdhsa_system_sgpr_private_segment_wavefront_offset 0
		.amdhsa_system_sgpr_workgroup_id_x 1
		.amdhsa_system_sgpr_workgroup_id_y 1
		.amdhsa_system_sgpr_workgroup_id_z 1
		.amdhsa_system_sgpr_workgroup_info 0
		.amdhsa_system_vgpr_workitem_id 1
		.amdhsa_next_free_vgpr 46
		.amdhsa_next_free_sgpr 44
		.amdhsa_reserve_vcc 1
		.amdhsa_reserve_flat_scratch 0
		.amdhsa_float_round_mode_32 0
		.amdhsa_float_round_mode_16_64 0
		.amdhsa_float_denorm_mode_32 3
		.amdhsa_float_denorm_mode_16_64 3
		.amdhsa_dx10_clamp 1
		.amdhsa_ieee_mode 1
		.amdhsa_fp16_overflow 0
		.amdhsa_workgroup_processor_mode 1
		.amdhsa_memory_ordered 1
		.amdhsa_forward_progress 1
		.amdhsa_shared_vgpr_count 0
		.amdhsa_exception_fp_ieee_invalid_op 0
		.amdhsa_exception_fp_denorm_src 0
		.amdhsa_exception_fp_ieee_div_zero 0
		.amdhsa_exception_fp_ieee_overflow 0
		.amdhsa_exception_fp_ieee_underflow 0
		.amdhsa_exception_fp_ieee_inexact 0
		.amdhsa_exception_int_div_zero 0
	.end_amdhsa_kernel
	.section	.text._ZL29rocblas_internal_gemmt_kernelIlLi16ELi32ELi8ELc84ELc67ELc76ELb0ELb0EdPKdPKS1_PKPdEviT_T9_T10_S7_lS9_S7_lS8_T11_S7_li,"axG",@progbits,_ZL29rocblas_internal_gemmt_kernelIlLi16ELi32ELi8ELc84ELc67ELc76ELb0ELb0EdPKdPKS1_PKPdEviT_T9_T10_S7_lS9_S7_lS8_T11_S7_li,comdat
.Lfunc_end482:
	.size	_ZL29rocblas_internal_gemmt_kernelIlLi16ELi32ELi8ELc84ELc67ELc76ELb0ELb0EdPKdPKS1_PKPdEviT_T9_T10_S7_lS9_S7_lS8_T11_S7_li, .Lfunc_end482-_ZL29rocblas_internal_gemmt_kernelIlLi16ELi32ELi8ELc84ELc67ELc76ELb0ELb0EdPKdPKS1_PKPdEviT_T9_T10_S7_lS9_S7_lS8_T11_S7_li
                                        ; -- End function
	.set _ZL29rocblas_internal_gemmt_kernelIlLi16ELi32ELi8ELc84ELc67ELc76ELb0ELb0EdPKdPKS1_PKPdEviT_T9_T10_S7_lS9_S7_lS8_T11_S7_li.num_vgpr, 46
	.set _ZL29rocblas_internal_gemmt_kernelIlLi16ELi32ELi8ELc84ELc67ELc76ELb0ELb0EdPKdPKS1_PKPdEviT_T9_T10_S7_lS9_S7_lS8_T11_S7_li.num_agpr, 0
	.set _ZL29rocblas_internal_gemmt_kernelIlLi16ELi32ELi8ELc84ELc67ELc76ELb0ELb0EdPKdPKS1_PKPdEviT_T9_T10_S7_lS9_S7_lS8_T11_S7_li.numbered_sgpr, 44
	.set _ZL29rocblas_internal_gemmt_kernelIlLi16ELi32ELi8ELc84ELc67ELc76ELb0ELb0EdPKdPKS1_PKPdEviT_T9_T10_S7_lS9_S7_lS8_T11_S7_li.num_named_barrier, 0
	.set _ZL29rocblas_internal_gemmt_kernelIlLi16ELi32ELi8ELc84ELc67ELc76ELb0ELb0EdPKdPKS1_PKPdEviT_T9_T10_S7_lS9_S7_lS8_T11_S7_li.private_seg_size, 0
	.set _ZL29rocblas_internal_gemmt_kernelIlLi16ELi32ELi8ELc84ELc67ELc76ELb0ELb0EdPKdPKS1_PKPdEviT_T9_T10_S7_lS9_S7_lS8_T11_S7_li.uses_vcc, 1
	.set _ZL29rocblas_internal_gemmt_kernelIlLi16ELi32ELi8ELc84ELc67ELc76ELb0ELb0EdPKdPKS1_PKPdEviT_T9_T10_S7_lS9_S7_lS8_T11_S7_li.uses_flat_scratch, 0
	.set _ZL29rocblas_internal_gemmt_kernelIlLi16ELi32ELi8ELc84ELc67ELc76ELb0ELb0EdPKdPKS1_PKPdEviT_T9_T10_S7_lS9_S7_lS8_T11_S7_li.has_dyn_sized_stack, 0
	.set _ZL29rocblas_internal_gemmt_kernelIlLi16ELi32ELi8ELc84ELc67ELc76ELb0ELb0EdPKdPKS1_PKPdEviT_T9_T10_S7_lS9_S7_lS8_T11_S7_li.has_recursion, 0
	.set _ZL29rocblas_internal_gemmt_kernelIlLi16ELi32ELi8ELc84ELc67ELc76ELb0ELb0EdPKdPKS1_PKPdEviT_T9_T10_S7_lS9_S7_lS8_T11_S7_li.has_indirect_call, 0
	.section	.AMDGPU.csdata,"",@progbits
; Kernel info:
; codeLenInByte = 1688
; TotalNumSgprs: 46
; NumVgprs: 46
; ScratchSize: 0
; MemoryBound: 0
; FloatMode: 240
; IeeeMode: 1
; LDSByteSize: 4096 bytes/workgroup (compile time only)
; SGPRBlocks: 0
; VGPRBlocks: 5
; NumSGPRsForWavesPerEU: 46
; NumVGPRsForWavesPerEU: 46
; Occupancy: 16
; WaveLimiterHint : 1
; COMPUTE_PGM_RSRC2:SCRATCH_EN: 0
; COMPUTE_PGM_RSRC2:USER_SGPR: 6
; COMPUTE_PGM_RSRC2:TRAP_HANDLER: 0
; COMPUTE_PGM_RSRC2:TGID_X_EN: 1
; COMPUTE_PGM_RSRC2:TGID_Y_EN: 1
; COMPUTE_PGM_RSRC2:TGID_Z_EN: 1
; COMPUTE_PGM_RSRC2:TIDIG_COMP_CNT: 1
	.section	.text._ZL29rocblas_internal_gemmt_kernelIlLi16ELi32ELi8ELc67ELc78ELc76ELb0ELb0EdPKdPKS1_PKPdEviT_T9_T10_S7_lS9_S7_lS8_T11_S7_li,"axG",@progbits,_ZL29rocblas_internal_gemmt_kernelIlLi16ELi32ELi8ELc67ELc78ELc76ELb0ELb0EdPKdPKS1_PKPdEviT_T9_T10_S7_lS9_S7_lS8_T11_S7_li,comdat
	.globl	_ZL29rocblas_internal_gemmt_kernelIlLi16ELi32ELi8ELc67ELc78ELc76ELb0ELb0EdPKdPKS1_PKPdEviT_T9_T10_S7_lS9_S7_lS8_T11_S7_li ; -- Begin function _ZL29rocblas_internal_gemmt_kernelIlLi16ELi32ELi8ELc67ELc78ELc76ELb0ELb0EdPKdPKS1_PKPdEviT_T9_T10_S7_lS9_S7_lS8_T11_S7_li
	.p2align	8
	.type	_ZL29rocblas_internal_gemmt_kernelIlLi16ELi32ELi8ELc67ELc78ELc76ELb0ELb0EdPKdPKS1_PKPdEviT_T9_T10_S7_lS9_S7_lS8_T11_S7_li,@function
_ZL29rocblas_internal_gemmt_kernelIlLi16ELi32ELi8ELc67ELc78ELc76ELb0ELb0EdPKdPKS1_PKPdEviT_T9_T10_S7_lS9_S7_lS8_T11_S7_li: ; @_ZL29rocblas_internal_gemmt_kernelIlLi16ELi32ELi8ELc67ELc78ELc76ELb0ELb0EdPKdPKS1_PKPdEviT_T9_T10_S7_lS9_S7_lS8_T11_S7_li
; %bb.0:
	s_load_dwordx8 s[36:43], s[4:5], 0x48
	s_waitcnt lgkmcnt(0)
	s_load_dwordx2 s[10:11], s[36:37], 0x0
	s_load_dwordx16 s[12:27], s[4:5], 0x8
	s_waitcnt lgkmcnt(0)
	v_cmp_neq_f64_e64 s0, s[10:11], 1.0
	s_load_dwordx2 s[14:15], s[14:15], 0x0
	s_and_b32 vcc_lo, exec_lo, s0
	s_cbranch_vccnz .LBB483_2
; %bb.1:
	s_waitcnt lgkmcnt(0)
	v_cmp_neq_f64_e64 s0, s[14:15], 0
	s_cmp_lg_u64 s[12:13], 0
	s_cselect_b32 s1, -1, 0
	s_and_b32 s0, s1, s0
.LBB483_2:
	s_andn2_b32 vcc_lo, exec_lo, s0
	s_cbranch_vccnz .LBB483_28
; %bb.3:
	s_waitcnt lgkmcnt(0)
	v_cmp_eq_f64_e64 s28, s[14:15], 0
	s_mov_b32 s9, 0
	v_mov_b32_e32 v8, 0
	s_lshl_b64 s[0:1], s[8:9], 3
	v_mov_b32_e32 v6, 0
	s_add_u32 s2, s38, s0
	s_addc_u32 s3, s39, s1
	s_load_dword s8, s[4:5], 0x0
	s_load_dwordx2 s[2:3], s[2:3], 0x0
	v_cmp_lt_i64_e64 s4, s[12:13], 1
	v_mov_b32_e32 v4, 0
	v_mov_b32_e32 v2, 0
	;; [unrolled: 1-line block ×6, first 2 shown]
	s_lshl_b32 s6, s6, 5
	s_lshl_b32 s7, s7, 5
	s_or_b32 s4, s28, s4
	s_and_b32 vcc_lo, exec_lo, s4
	s_cbranch_vccnz .LBB483_12
; %bb.4:
	s_add_u32 s4, s22, s0
	s_addc_u32 s5, s23, s1
	s_lshl_b64 s[22:23], s[26:27], 3
	s_load_dwordx2 s[4:5], s[4:5], 0x0
	v_lshl_add_u32 v12, v1, 4, v0
	v_and_b32_e32 v16, 7, v0
	v_mov_b32_e32 v2, 0
	v_mov_b32_e32 v4, 0
	;; [unrolled: 1-line block ×3, first 2 shown]
	v_lshrrev_b32_e32 v14, 3, v12
	v_and_b32_e32 v13, 31, v12
	v_lshlrev_b32_e32 v23, 3, v16
	v_mov_b32_e32 v8, 0
	v_lshlrev_b32_e32 v17, 3, v0
	v_add_nc_u32_e32 v15, s7, v14
	v_or_b32_e32 v20, s6, v13
	v_lshlrev_b32_e32 v24, 3, v13
	v_lshl_or_b32 v14, v14, 6, v23
	v_lshl_add_u32 v18, v1, 6, 0x800
	v_ashrrev_i32_e32 v19, 31, v15
	v_mul_lo_u32 v21, s25, v15
	v_mad_u64_u32 v[10:11], null, s24, v15, 0
	s_waitcnt lgkmcnt(0)
	s_add_u32 s9, s4, s22
	s_addc_u32 s22, s5, s23
	s_add_u32 s0, s16, s0
	s_addc_u32 s1, s17, s1
	v_mul_lo_u32 v22, s24, v19
	s_load_dwordx2 s[0:1], s[0:1], 0x0
	v_lshrrev_b32_e32 v19, 5, v12
	v_mul_lo_u32 v25, s19, v20
	v_mad_u64_u32 v[12:13], null, s18, v20, 0
	s_lshl_b64 s[4:5], s[20:21], 3
	v_mov_b32_e32 v3, 0
	v_add3_u32 v11, v11, v22, v21
	v_mov_b32_e32 v5, 0
	v_mov_b32_e32 v7, 0
	;; [unrolled: 1-line block ×3, first 2 shown]
	v_add_nc_u32_e32 v21, 0x800, v14
	v_lshlrev_b64 v[10:11], 3, v[10:11]
	v_add_co_u32 v22, vcc_lo, s9, v10
	s_waitcnt lgkmcnt(0)
	s_add_u32 s4, s0, s4
	s_addc_u32 s5, s1, s5
	s_ashr_i32 s0, s6, 31
	v_add_co_ci_u32_e64 v23, null, s22, v11, vcc_lo
	s_mul_i32 s1, s18, s0
	v_cmp_gt_i32_e64 s0, s8, v20
	v_add3_u32 v13, v13, s1, v25
	v_lshl_or_b32 v20, v19, 8, v24
	v_cmp_gt_i32_e64 s1, s8, v15
	v_mov_b32_e32 v11, 0
	v_lshlrev_b64 v[12:13], 3, v[12:13]
	v_add_co_u32 v24, vcc_lo, s4, v12
	v_add_co_ci_u32_e64 v25, null, s5, v13, vcc_lo
	s_mov_b64 s[4:5], 0
	s_branch .LBB483_6
.LBB483_5:                              ;   in Loop: Header=BB483_6 Depth=1
	s_or_b32 exec_lo, exec_lo, s9
	s_waitcnt vmcnt(0) lgkmcnt(0)
	ds_write_b64 v21, v[14:15]
	s_waitcnt lgkmcnt(0)
	s_barrier
	buffer_gl0_inv
	ds_read_b128 v[12:15], v18
	ds_read2_b64 v[26:29], v17 offset1:16
	ds_read_b128 v[30:33], v18 offset:1024
	ds_read_b128 v[34:37], v18 offset:16
	ds_read2_b64 v[38:41], v17 offset0:32 offset1:48
	ds_read_b128 v[42:45], v18 offset:1040
	s_add_u32 s4, s4, 8
	s_addc_u32 s5, s5, 0
	v_cmp_gt_i64_e64 s9, s[12:13], s[4:5]
	s_and_b32 vcc_lo, exec_lo, s9
	s_waitcnt lgkmcnt(4)
	v_fma_f64 v[8:9], v[26:27], v[12:13], v[8:9]
	v_fma_f64 v[6:7], v[28:29], v[12:13], v[6:7]
	s_waitcnt lgkmcnt(3)
	v_fma_f64 v[12:13], v[26:27], v[30:31], v[4:5]
	v_fma_f64 v[26:27], v[28:29], v[30:31], v[2:3]
	ds_read2_b64 v[2:5], v17 offset0:64 offset1:80
	s_waitcnt lgkmcnt(2)
	v_fma_f64 v[28:29], v[38:39], v[14:15], v[8:9]
	v_fma_f64 v[14:15], v[40:41], v[14:15], v[6:7]
	;; [unrolled: 1-line block ×4, first 2 shown]
	ds_read2_b64 v[6:9], v17 offset0:96 offset1:112
	s_waitcnt lgkmcnt(1)
	v_fma_f64 v[28:29], v[2:3], v[34:35], v[28:29]
	v_fma_f64 v[30:31], v[4:5], v[34:35], v[14:15]
	;; [unrolled: 1-line block ×4, first 2 shown]
	ds_read_b128 v[2:5], v18 offset:32
	ds_read2_b64 v[12:15], v17 offset0:128 offset1:144
	s_waitcnt lgkmcnt(2)
	v_fma_f64 v[38:39], v[6:7], v[36:37], v[28:29]
	v_fma_f64 v[40:41], v[8:9], v[36:37], v[30:31]
	;; [unrolled: 1-line block ×4, first 2 shown]
	ds_read_b128 v[6:9], v18 offset:1056
	ds_read_b128 v[26:29], v18 offset:48
	ds_read2_b64 v[30:33], v17 offset0:160 offset1:176
	ds_read_b128 v[34:37], v18 offset:1072
	s_waitcnt lgkmcnt(4)
	v_fma_f64 v[38:39], v[12:13], v[2:3], v[38:39]
	v_fma_f64 v[2:3], v[14:15], v[2:3], v[40:41]
	s_waitcnt lgkmcnt(3)
	v_fma_f64 v[40:41], v[12:13], v[6:7], v[42:43]
	v_fma_f64 v[6:7], v[14:15], v[6:7], v[44:45]
	ds_read2_b64 v[12:15], v17 offset0:192 offset1:208
	s_waitcnt lgkmcnt(2)
	v_fma_f64 v[38:39], v[30:31], v[4:5], v[38:39]
	v_fma_f64 v[2:3], v[32:33], v[4:5], v[2:3]
	;; [unrolled: 1-line block ×4, first 2 shown]
	ds_read2_b64 v[30:33], v17 offset0:224 offset1:240
	s_waitcnt lgkmcnt(0)
	s_barrier
	buffer_gl0_inv
	v_fma_f64 v[8:9], v[12:13], v[26:27], v[38:39]
	v_fma_f64 v[2:3], v[14:15], v[26:27], v[2:3]
	v_fma_f64 v[4:5], v[12:13], v[34:35], v[4:5]
	v_fma_f64 v[12:13], v[14:15], v[34:35], v[6:7]
	v_fma_f64 v[8:9], v[30:31], v[28:29], v[8:9]
	v_fma_f64 v[6:7], v[32:33], v[28:29], v[2:3]
	v_fma_f64 v[4:5], v[30:31], v[36:37], v[4:5]
	v_fma_f64 v[2:3], v[32:33], v[36:37], v[12:13]
	s_cbranch_vccz .LBB483_12
.LBB483_6:                              ; =>This Inner Loop Header: Depth=1
	v_mov_b32_e32 v12, 0
	v_mov_b32_e32 v13, 0
	s_and_saveexec_b32 s9, s0
	s_cbranch_execz .LBB483_10
; %bb.7:                                ;   in Loop: Header=BB483_6 Depth=1
	v_mov_b32_e32 v12, 0
	v_add_nc_u32_e32 v10, s4, v19
	v_mov_b32_e32 v13, 0
	s_mov_b32 s16, exec_lo
	v_cmpx_gt_u64_e64 s[12:13], v[10:11]
	s_cbranch_execz .LBB483_9
; %bb.8:                                ;   in Loop: Header=BB483_6 Depth=1
	v_lshlrev_b64 v[12:13], 3, v[10:11]
	v_add_co_u32 v12, vcc_lo, v24, v12
	v_add_co_ci_u32_e64 v13, null, v25, v13, vcc_lo
	flat_load_dwordx2 v[12:13], v[12:13]
.LBB483_9:                              ;   in Loop: Header=BB483_6 Depth=1
	s_or_b32 exec_lo, exec_lo, s16
.LBB483_10:                             ;   in Loop: Header=BB483_6 Depth=1
	s_or_b32 exec_lo, exec_lo, s9
	v_add_nc_u32_e32 v10, s4, v16
	v_mov_b32_e32 v14, 0
	v_mov_b32_e32 v15, 0
	s_waitcnt vmcnt(0) lgkmcnt(0)
	ds_write_b64 v20, v[12:13]
	v_cmp_gt_u64_e32 vcc_lo, s[12:13], v[10:11]
	s_and_b32 s16, vcc_lo, s1
	s_and_saveexec_b32 s9, s16
	s_cbranch_execz .LBB483_5
; %bb.11:                               ;   in Loop: Header=BB483_6 Depth=1
	v_lshlrev_b64 v[12:13], 3, v[10:11]
	v_add_co_u32 v12, vcc_lo, v22, v12
	v_add_co_ci_u32_e64 v13, null, v23, v13, vcc_lo
	flat_load_dwordx2 v[14:15], v[12:13]
	s_branch .LBB483_5
.LBB483_12:
	v_add_nc_u32_e32 v13, s7, v1
	s_lshl_b64 s[0:1], s[42:43], 3
	v_add_nc_u32_e32 v0, s6, v0
	s_waitcnt lgkmcnt(0)
	s_add_u32 s4, s2, s0
	v_cmp_neq_f64_e64 s2, s[10:11], 0
	v_ashrrev_i32_e32 v1, 31, v13
	v_mul_lo_u32 v12, s41, v13
	v_mad_u64_u32 v[10:11], null, s40, v13, 0
	s_addc_u32 s3, s3, s1
	v_mul_lo_u32 v1, s40, v1
	v_cmp_le_i32_e32 vcc_lo, v13, v0
	v_cmp_gt_i32_e64 s0, s8, v0
	s_and_b32 s5, vcc_lo, s0
	v_add3_u32 v11, v11, v1, v12
	v_ashrrev_i32_e32 v1, 31, v0
	v_lshlrev_b64 v[10:11], 3, v[10:11]
	v_cndmask_b32_e64 v12, 0, 1, s2
	v_add_co_u32 v14, s1, s4, v10
	v_add_co_ci_u32_e64 v15, null, s3, v11, s1
	s_and_saveexec_b32 s1, s5
	s_cbranch_execz .LBB483_16
; %bb.13:
	v_mul_f64 v[8:9], s[14:15], v[8:9]
	v_lshlrev_b64 v[10:11], 3, v[0:1]
	v_add_co_u32 v10, vcc_lo, v14, v10
	v_add_co_ci_u32_e64 v11, null, v15, v11, vcc_lo
	s_andn2_b32 vcc_lo, exec_lo, s2
	s_cbranch_vccnz .LBB483_15
; %bb.14:
	flat_load_dwordx2 v[16:17], v[10:11]
	s_waitcnt vmcnt(0) lgkmcnt(0)
	v_fma_f64 v[8:9], s[10:11], v[16:17], v[8:9]
.LBB483_15:
	flat_store_dwordx2 v[10:11], v[8:9]
.LBB483_16:
	s_or_b32 exec_lo, exec_lo, s1
	v_add_nc_u32_e32 v8, 16, v0
	v_cmp_le_i32_e32 vcc_lo, v13, v8
	v_cmp_gt_i32_e64 s1, s8, v8
	v_ashrrev_i32_e32 v9, 31, v8
	s_and_b32 s2, vcc_lo, s1
	s_and_saveexec_b32 s5, s2
	s_cbranch_execz .LBB483_20
; %bb.17:
	v_mul_f64 v[6:7], s[14:15], v[6:7]
	v_lshlrev_b64 v[10:11], 3, v[8:9]
	v_cmp_ne_u32_e32 vcc_lo, 1, v12
	v_add_co_u32 v10, s2, v14, v10
	v_add_co_ci_u32_e64 v11, null, v15, v11, s2
	s_cbranch_vccnz .LBB483_19
; %bb.18:
	flat_load_dwordx2 v[14:15], v[10:11]
	s_waitcnt vmcnt(0) lgkmcnt(0)
	v_fma_f64 v[6:7], s[10:11], v[14:15], v[6:7]
.LBB483_19:
	flat_store_dwordx2 v[10:11], v[6:7]
.LBB483_20:
	s_or_b32 exec_lo, exec_lo, s5
	v_add_nc_u32_e32 v10, 16, v13
	v_ashrrev_i32_e32 v11, 31, v10
	v_mul_lo_u32 v13, s41, v10
	v_mad_u64_u32 v[6:7], null, s40, v10, 0
	v_cmp_le_i32_e32 vcc_lo, v10, v0
	v_mul_lo_u32 v11, s40, v11
	s_and_b32 s0, vcc_lo, s0
	v_add3_u32 v7, v7, v11, v13
	v_lshlrev_b64 v[6:7], 3, v[6:7]
	v_add_co_u32 v6, s2, s4, v6
	v_add_co_ci_u32_e64 v7, null, s3, v7, s2
	s_and_saveexec_b32 s2, s0
	s_cbranch_execz .LBB483_24
; %bb.21:
	v_mul_f64 v[4:5], s[14:15], v[4:5]
	v_lshlrev_b64 v[0:1], 3, v[0:1]
	v_cmp_ne_u32_e32 vcc_lo, 1, v12
	v_add_co_u32 v0, s0, v6, v0
	v_add_co_ci_u32_e64 v1, null, v7, v1, s0
	s_cbranch_vccnz .LBB483_23
; %bb.22:
	flat_load_dwordx2 v[13:14], v[0:1]
	s_waitcnt vmcnt(0) lgkmcnt(0)
	v_fma_f64 v[4:5], s[10:11], v[13:14], v[4:5]
.LBB483_23:
	flat_store_dwordx2 v[0:1], v[4:5]
.LBB483_24:
	s_or_b32 exec_lo, exec_lo, s2
	v_cmp_le_i32_e32 vcc_lo, v10, v8
	s_and_b32 s0, vcc_lo, s1
	s_and_saveexec_b32 s1, s0
	s_cbranch_execz .LBB483_28
; %bb.25:
	v_mul_f64 v[0:1], s[14:15], v[2:3]
	v_lshlrev_b64 v[2:3], 3, v[8:9]
	v_cmp_ne_u32_e32 vcc_lo, 1, v12
	v_add_co_u32 v2, s0, v6, v2
	v_add_co_ci_u32_e64 v3, null, v7, v3, s0
	s_cbranch_vccnz .LBB483_27
; %bb.26:
	flat_load_dwordx2 v[4:5], v[2:3]
	s_waitcnt vmcnt(0) lgkmcnt(0)
	v_fma_f64 v[0:1], s[10:11], v[4:5], v[0:1]
.LBB483_27:
	flat_store_dwordx2 v[2:3], v[0:1]
.LBB483_28:
	s_endpgm
	.section	.rodata,"a",@progbits
	.p2align	6, 0x0
	.amdhsa_kernel _ZL29rocblas_internal_gemmt_kernelIlLi16ELi32ELi8ELc67ELc78ELc76ELb0ELb0EdPKdPKS1_PKPdEviT_T9_T10_S7_lS9_S7_lS8_T11_S7_li
		.amdhsa_group_segment_fixed_size 4096
		.amdhsa_private_segment_fixed_size 0
		.amdhsa_kernarg_size 108
		.amdhsa_user_sgpr_count 6
		.amdhsa_user_sgpr_private_segment_buffer 1
		.amdhsa_user_sgpr_dispatch_ptr 0
		.amdhsa_user_sgpr_queue_ptr 0
		.amdhsa_user_sgpr_kernarg_segment_ptr 1
		.amdhsa_user_sgpr_dispatch_id 0
		.amdhsa_user_sgpr_flat_scratch_init 0
		.amdhsa_user_sgpr_private_segment_size 0
		.amdhsa_wavefront_size32 1
		.amdhsa_uses_dynamic_stack 0
		.amdhsa_system_sgpr_private_segment_wavefront_offset 0
		.amdhsa_system_sgpr_workgroup_id_x 1
		.amdhsa_system_sgpr_workgroup_id_y 1
		.amdhsa_system_sgpr_workgroup_id_z 1
		.amdhsa_system_sgpr_workgroup_info 0
		.amdhsa_system_vgpr_workitem_id 1
		.amdhsa_next_free_vgpr 46
		.amdhsa_next_free_sgpr 44
		.amdhsa_reserve_vcc 1
		.amdhsa_reserve_flat_scratch 0
		.amdhsa_float_round_mode_32 0
		.amdhsa_float_round_mode_16_64 0
		.amdhsa_float_denorm_mode_32 3
		.amdhsa_float_denorm_mode_16_64 3
		.amdhsa_dx10_clamp 1
		.amdhsa_ieee_mode 1
		.amdhsa_fp16_overflow 0
		.amdhsa_workgroup_processor_mode 1
		.amdhsa_memory_ordered 1
		.amdhsa_forward_progress 1
		.amdhsa_shared_vgpr_count 0
		.amdhsa_exception_fp_ieee_invalid_op 0
		.amdhsa_exception_fp_denorm_src 0
		.amdhsa_exception_fp_ieee_div_zero 0
		.amdhsa_exception_fp_ieee_overflow 0
		.amdhsa_exception_fp_ieee_underflow 0
		.amdhsa_exception_fp_ieee_inexact 0
		.amdhsa_exception_int_div_zero 0
	.end_amdhsa_kernel
	.section	.text._ZL29rocblas_internal_gemmt_kernelIlLi16ELi32ELi8ELc67ELc78ELc76ELb0ELb0EdPKdPKS1_PKPdEviT_T9_T10_S7_lS9_S7_lS8_T11_S7_li,"axG",@progbits,_ZL29rocblas_internal_gemmt_kernelIlLi16ELi32ELi8ELc67ELc78ELc76ELb0ELb0EdPKdPKS1_PKPdEviT_T9_T10_S7_lS9_S7_lS8_T11_S7_li,comdat
.Lfunc_end483:
	.size	_ZL29rocblas_internal_gemmt_kernelIlLi16ELi32ELi8ELc67ELc78ELc76ELb0ELb0EdPKdPKS1_PKPdEviT_T9_T10_S7_lS9_S7_lS8_T11_S7_li, .Lfunc_end483-_ZL29rocblas_internal_gemmt_kernelIlLi16ELi32ELi8ELc67ELc78ELc76ELb0ELb0EdPKdPKS1_PKPdEviT_T9_T10_S7_lS9_S7_lS8_T11_S7_li
                                        ; -- End function
	.set _ZL29rocblas_internal_gemmt_kernelIlLi16ELi32ELi8ELc67ELc78ELc76ELb0ELb0EdPKdPKS1_PKPdEviT_T9_T10_S7_lS9_S7_lS8_T11_S7_li.num_vgpr, 46
	.set _ZL29rocblas_internal_gemmt_kernelIlLi16ELi32ELi8ELc67ELc78ELc76ELb0ELb0EdPKdPKS1_PKPdEviT_T9_T10_S7_lS9_S7_lS8_T11_S7_li.num_agpr, 0
	.set _ZL29rocblas_internal_gemmt_kernelIlLi16ELi32ELi8ELc67ELc78ELc76ELb0ELb0EdPKdPKS1_PKPdEviT_T9_T10_S7_lS9_S7_lS8_T11_S7_li.numbered_sgpr, 44
	.set _ZL29rocblas_internal_gemmt_kernelIlLi16ELi32ELi8ELc67ELc78ELc76ELb0ELb0EdPKdPKS1_PKPdEviT_T9_T10_S7_lS9_S7_lS8_T11_S7_li.num_named_barrier, 0
	.set _ZL29rocblas_internal_gemmt_kernelIlLi16ELi32ELi8ELc67ELc78ELc76ELb0ELb0EdPKdPKS1_PKPdEviT_T9_T10_S7_lS9_S7_lS8_T11_S7_li.private_seg_size, 0
	.set _ZL29rocblas_internal_gemmt_kernelIlLi16ELi32ELi8ELc67ELc78ELc76ELb0ELb0EdPKdPKS1_PKPdEviT_T9_T10_S7_lS9_S7_lS8_T11_S7_li.uses_vcc, 1
	.set _ZL29rocblas_internal_gemmt_kernelIlLi16ELi32ELi8ELc67ELc78ELc76ELb0ELb0EdPKdPKS1_PKPdEviT_T9_T10_S7_lS9_S7_lS8_T11_S7_li.uses_flat_scratch, 0
	.set _ZL29rocblas_internal_gemmt_kernelIlLi16ELi32ELi8ELc67ELc78ELc76ELb0ELb0EdPKdPKS1_PKPdEviT_T9_T10_S7_lS9_S7_lS8_T11_S7_li.has_dyn_sized_stack, 0
	.set _ZL29rocblas_internal_gemmt_kernelIlLi16ELi32ELi8ELc67ELc78ELc76ELb0ELb0EdPKdPKS1_PKPdEviT_T9_T10_S7_lS9_S7_lS8_T11_S7_li.has_recursion, 0
	.set _ZL29rocblas_internal_gemmt_kernelIlLi16ELi32ELi8ELc67ELc78ELc76ELb0ELb0EdPKdPKS1_PKPdEviT_T9_T10_S7_lS9_S7_lS8_T11_S7_li.has_indirect_call, 0
	.section	.AMDGPU.csdata,"",@progbits
; Kernel info:
; codeLenInByte = 1704
; TotalNumSgprs: 46
; NumVgprs: 46
; ScratchSize: 0
; MemoryBound: 0
; FloatMode: 240
; IeeeMode: 1
; LDSByteSize: 4096 bytes/workgroup (compile time only)
; SGPRBlocks: 0
; VGPRBlocks: 5
; NumSGPRsForWavesPerEU: 46
; NumVGPRsForWavesPerEU: 46
; Occupancy: 16
; WaveLimiterHint : 1
; COMPUTE_PGM_RSRC2:SCRATCH_EN: 0
; COMPUTE_PGM_RSRC2:USER_SGPR: 6
; COMPUTE_PGM_RSRC2:TRAP_HANDLER: 0
; COMPUTE_PGM_RSRC2:TGID_X_EN: 1
; COMPUTE_PGM_RSRC2:TGID_Y_EN: 1
; COMPUTE_PGM_RSRC2:TGID_Z_EN: 1
; COMPUTE_PGM_RSRC2:TIDIG_COMP_CNT: 1
	.section	.text._ZL29rocblas_internal_gemmt_kernelIlLi16ELi32ELi8ELc67ELc84ELc76ELb0ELb0EdPKdPKS1_PKPdEviT_T9_T10_S7_lS9_S7_lS8_T11_S7_li,"axG",@progbits,_ZL29rocblas_internal_gemmt_kernelIlLi16ELi32ELi8ELc67ELc84ELc76ELb0ELb0EdPKdPKS1_PKPdEviT_T9_T10_S7_lS9_S7_lS8_T11_S7_li,comdat
	.globl	_ZL29rocblas_internal_gemmt_kernelIlLi16ELi32ELi8ELc67ELc84ELc76ELb0ELb0EdPKdPKS1_PKPdEviT_T9_T10_S7_lS9_S7_lS8_T11_S7_li ; -- Begin function _ZL29rocblas_internal_gemmt_kernelIlLi16ELi32ELi8ELc67ELc84ELc76ELb0ELb0EdPKdPKS1_PKPdEviT_T9_T10_S7_lS9_S7_lS8_T11_S7_li
	.p2align	8
	.type	_ZL29rocblas_internal_gemmt_kernelIlLi16ELi32ELi8ELc67ELc84ELc76ELb0ELb0EdPKdPKS1_PKPdEviT_T9_T10_S7_lS9_S7_lS8_T11_S7_li,@function
_ZL29rocblas_internal_gemmt_kernelIlLi16ELi32ELi8ELc67ELc84ELc76ELb0ELb0EdPKdPKS1_PKPdEviT_T9_T10_S7_lS9_S7_lS8_T11_S7_li: ; @_ZL29rocblas_internal_gemmt_kernelIlLi16ELi32ELi8ELc67ELc84ELc76ELb0ELb0EdPKdPKS1_PKPdEviT_T9_T10_S7_lS9_S7_lS8_T11_S7_li
; %bb.0:
	s_load_dwordx8 s[36:43], s[4:5], 0x48
	s_waitcnt lgkmcnt(0)
	s_load_dwordx2 s[10:11], s[36:37], 0x0
	s_load_dwordx16 s[12:27], s[4:5], 0x8
	s_waitcnt lgkmcnt(0)
	v_cmp_neq_f64_e64 s0, s[10:11], 1.0
	s_load_dwordx2 s[14:15], s[14:15], 0x0
	s_and_b32 vcc_lo, exec_lo, s0
	s_cbranch_vccnz .LBB484_2
; %bb.1:
	s_waitcnt lgkmcnt(0)
	v_cmp_neq_f64_e64 s0, s[14:15], 0
	s_cmp_lg_u64 s[12:13], 0
	s_cselect_b32 s1, -1, 0
	s_and_b32 s0, s1, s0
.LBB484_2:
	s_andn2_b32 vcc_lo, exec_lo, s0
	s_cbranch_vccnz .LBB484_28
; %bb.3:
	s_waitcnt lgkmcnt(0)
	v_cmp_eq_f64_e64 s28, s[14:15], 0
	s_mov_b32 s9, 0
	v_mov_b32_e32 v8, 0
	s_lshl_b64 s[0:1], s[8:9], 3
	v_mov_b32_e32 v6, 0
	s_add_u32 s2, s38, s0
	s_addc_u32 s3, s39, s1
	s_load_dword s8, s[4:5], 0x0
	s_load_dwordx2 s[2:3], s[2:3], 0x0
	v_cmp_lt_i64_e64 s4, s[12:13], 1
	v_mov_b32_e32 v4, 0
	v_mov_b32_e32 v2, 0
	;; [unrolled: 1-line block ×6, first 2 shown]
	s_lshl_b32 s6, s6, 5
	s_lshl_b32 s7, s7, 5
	s_or_b32 s4, s28, s4
	s_and_b32 vcc_lo, exec_lo, s4
	s_cbranch_vccnz .LBB484_12
; %bb.4:
	s_add_u32 s4, s22, s0
	s_addc_u32 s5, s23, s1
	s_lshl_b64 s[22:23], s[26:27], 3
	s_load_dwordx2 s[4:5], s[4:5], 0x0
	v_lshl_add_u32 v10, v1, 4, v0
	v_and_b32_e32 v16, 7, v0
	v_mov_b32_e32 v2, 0
	v_mov_b32_e32 v4, 0
	;; [unrolled: 1-line block ×3, first 2 shown]
	v_and_b32_e32 v11, 31, v10
	v_lshrrev_b32_e32 v14, 3, v10
	v_lshrrev_b32_e32 v19, 5, v10
	v_lshlrev_b32_e32 v20, 3, v16
	v_mov_b32_e32 v8, 0
	v_or_b32_e32 v15, s6, v11
	v_add_nc_u32_e32 v10, s7, v14
	v_lshlrev_b32_e32 v21, 3, v11
	v_lshl_or_b32 v23, v14, 6, v20
	v_lshlrev_b32_e32 v17, 3, v0
	v_mul_lo_u32 v22, s19, v15
	v_mad_u64_u32 v[12:13], null, s18, v15, 0
	v_ashrrev_i32_e32 v11, 31, v10
	s_waitcnt lgkmcnt(0)
	s_add_u32 s9, s4, s22
	s_addc_u32 s22, s5, s23
	s_add_u32 s0, s16, s0
	s_addc_u32 s1, s17, s1
	s_lshl_b64 s[4:5], s[20:21], 3
	s_load_dwordx2 s[0:1], s[0:1], 0x0
	v_lshl_or_b32 v20, v19, 8, v21
	v_add_nc_u32_e32 v21, 0x800, v23
	v_lshl_add_u32 v18, v1, 6, 0x800
	v_mov_b32_e32 v3, 0
	v_mov_b32_e32 v5, 0
	;; [unrolled: 1-line block ×4, first 2 shown]
	s_waitcnt lgkmcnt(0)
	s_add_u32 s4, s0, s4
	s_addc_u32 s5, s1, s5
	s_ashr_i32 s0, s6, 31
	s_mul_i32 s1, s18, s0
	v_cmp_gt_i32_e64 s0, s8, v15
	v_add3_u32 v13, v13, s1, v22
	v_lshlrev_b64 v[14:15], 3, v[10:11]
	v_cmp_gt_i32_e64 s1, s8, v10
	v_lshlrev_b64 v[10:11], 3, v[12:13]
	v_add_co_u32 v22, vcc_lo, s9, v14
	v_add_co_ci_u32_e64 v23, null, s22, v15, vcc_lo
	v_add_co_u32 v24, vcc_lo, s4, v10
	v_add_co_ci_u32_e64 v25, null, s5, v11, vcc_lo
	v_mov_b32_e32 v11, 0
	s_mov_b64 s[4:5], 0
	s_branch .LBB484_6
.LBB484_5:                              ;   in Loop: Header=BB484_6 Depth=1
	s_or_b32 exec_lo, exec_lo, s9
	s_waitcnt vmcnt(0) lgkmcnt(0)
	ds_write_b64 v21, v[14:15]
	s_waitcnt lgkmcnt(0)
	s_barrier
	buffer_gl0_inv
	ds_read_b128 v[12:15], v18
	ds_read2_b64 v[26:29], v17 offset1:16
	ds_read_b128 v[30:33], v18 offset:1024
	ds_read_b128 v[34:37], v18 offset:16
	ds_read2_b64 v[38:41], v17 offset0:32 offset1:48
	ds_read_b128 v[42:45], v18 offset:1040
	s_add_u32 s4, s4, 8
	s_addc_u32 s5, s5, 0
	v_cmp_gt_i64_e64 s9, s[12:13], s[4:5]
	s_and_b32 vcc_lo, exec_lo, s9
	s_waitcnt lgkmcnt(4)
	v_fma_f64 v[8:9], v[26:27], v[12:13], v[8:9]
	v_fma_f64 v[6:7], v[28:29], v[12:13], v[6:7]
	s_waitcnt lgkmcnt(3)
	v_fma_f64 v[12:13], v[26:27], v[30:31], v[4:5]
	v_fma_f64 v[26:27], v[28:29], v[30:31], v[2:3]
	ds_read2_b64 v[2:5], v17 offset0:64 offset1:80
	s_waitcnt lgkmcnt(2)
	v_fma_f64 v[28:29], v[38:39], v[14:15], v[8:9]
	v_fma_f64 v[14:15], v[40:41], v[14:15], v[6:7]
	;; [unrolled: 1-line block ×4, first 2 shown]
	ds_read2_b64 v[6:9], v17 offset0:96 offset1:112
	s_waitcnt lgkmcnt(1)
	v_fma_f64 v[28:29], v[2:3], v[34:35], v[28:29]
	v_fma_f64 v[30:31], v[4:5], v[34:35], v[14:15]
	;; [unrolled: 1-line block ×4, first 2 shown]
	ds_read_b128 v[2:5], v18 offset:32
	ds_read2_b64 v[12:15], v17 offset0:128 offset1:144
	s_waitcnt lgkmcnt(2)
	v_fma_f64 v[38:39], v[6:7], v[36:37], v[28:29]
	v_fma_f64 v[40:41], v[8:9], v[36:37], v[30:31]
	;; [unrolled: 1-line block ×4, first 2 shown]
	ds_read_b128 v[6:9], v18 offset:1056
	ds_read_b128 v[26:29], v18 offset:48
	ds_read2_b64 v[30:33], v17 offset0:160 offset1:176
	ds_read_b128 v[34:37], v18 offset:1072
	s_waitcnt lgkmcnt(4)
	v_fma_f64 v[38:39], v[12:13], v[2:3], v[38:39]
	v_fma_f64 v[2:3], v[14:15], v[2:3], v[40:41]
	s_waitcnt lgkmcnt(3)
	v_fma_f64 v[40:41], v[12:13], v[6:7], v[42:43]
	v_fma_f64 v[6:7], v[14:15], v[6:7], v[44:45]
	ds_read2_b64 v[12:15], v17 offset0:192 offset1:208
	s_waitcnt lgkmcnt(2)
	v_fma_f64 v[38:39], v[30:31], v[4:5], v[38:39]
	v_fma_f64 v[2:3], v[32:33], v[4:5], v[2:3]
	;; [unrolled: 1-line block ×4, first 2 shown]
	ds_read2_b64 v[30:33], v17 offset0:224 offset1:240
	s_waitcnt lgkmcnt(0)
	s_barrier
	buffer_gl0_inv
	v_fma_f64 v[8:9], v[12:13], v[26:27], v[38:39]
	v_fma_f64 v[2:3], v[14:15], v[26:27], v[2:3]
	;; [unrolled: 1-line block ×8, first 2 shown]
	s_cbranch_vccz .LBB484_12
.LBB484_6:                              ; =>This Inner Loop Header: Depth=1
	v_mov_b32_e32 v12, 0
	v_mov_b32_e32 v13, 0
	s_and_saveexec_b32 s9, s0
	s_cbranch_execz .LBB484_10
; %bb.7:                                ;   in Loop: Header=BB484_6 Depth=1
	v_mov_b32_e32 v12, 0
	v_add_nc_u32_e32 v10, s4, v19
	v_mov_b32_e32 v13, 0
	s_mov_b32 s16, exec_lo
	v_cmpx_gt_u64_e64 s[12:13], v[10:11]
	s_cbranch_execz .LBB484_9
; %bb.8:                                ;   in Loop: Header=BB484_6 Depth=1
	v_lshlrev_b64 v[12:13], 3, v[10:11]
	v_add_co_u32 v12, vcc_lo, v24, v12
	v_add_co_ci_u32_e64 v13, null, v25, v13, vcc_lo
	flat_load_dwordx2 v[12:13], v[12:13]
.LBB484_9:                              ;   in Loop: Header=BB484_6 Depth=1
	s_or_b32 exec_lo, exec_lo, s16
.LBB484_10:                             ;   in Loop: Header=BB484_6 Depth=1
	s_or_b32 exec_lo, exec_lo, s9
	v_add_nc_u32_e32 v10, s4, v16
	v_mov_b32_e32 v14, 0
	v_mov_b32_e32 v15, 0
	s_waitcnt vmcnt(0) lgkmcnt(0)
	ds_write_b64 v20, v[12:13]
	v_cmp_gt_u64_e32 vcc_lo, s[12:13], v[10:11]
	s_and_b32 s16, vcc_lo, s1
	s_and_saveexec_b32 s9, s16
	s_cbranch_execz .LBB484_5
; %bb.11:                               ;   in Loop: Header=BB484_6 Depth=1
	v_mad_u64_u32 v[12:13], null, s24, v10, 0
	v_mad_u64_u32 v[13:14], null, s25, v10, v[13:14]
	v_lshlrev_b64 v[12:13], 3, v[12:13]
	v_add_co_u32 v12, vcc_lo, v22, v12
	v_add_co_ci_u32_e64 v13, null, v23, v13, vcc_lo
	flat_load_dwordx2 v[14:15], v[12:13]
	s_branch .LBB484_5
.LBB484_12:
	v_add_nc_u32_e32 v13, s7, v1
	s_lshl_b64 s[0:1], s[42:43], 3
	v_add_nc_u32_e32 v0, s6, v0
	s_waitcnt lgkmcnt(0)
	s_add_u32 s4, s2, s0
	v_cmp_neq_f64_e64 s2, s[10:11], 0
	v_ashrrev_i32_e32 v1, 31, v13
	v_mul_lo_u32 v12, s41, v13
	v_mad_u64_u32 v[10:11], null, s40, v13, 0
	s_addc_u32 s3, s3, s1
	v_mul_lo_u32 v1, s40, v1
	v_cmp_le_i32_e32 vcc_lo, v13, v0
	v_cmp_gt_i32_e64 s0, s8, v0
	s_and_b32 s5, vcc_lo, s0
	v_add3_u32 v11, v11, v1, v12
	v_ashrrev_i32_e32 v1, 31, v0
	v_lshlrev_b64 v[10:11], 3, v[10:11]
	v_cndmask_b32_e64 v12, 0, 1, s2
	v_add_co_u32 v14, s1, s4, v10
	v_add_co_ci_u32_e64 v15, null, s3, v11, s1
	s_and_saveexec_b32 s1, s5
	s_cbranch_execz .LBB484_16
; %bb.13:
	v_mul_f64 v[8:9], s[14:15], v[8:9]
	v_lshlrev_b64 v[10:11], 3, v[0:1]
	v_add_co_u32 v10, vcc_lo, v14, v10
	v_add_co_ci_u32_e64 v11, null, v15, v11, vcc_lo
	s_andn2_b32 vcc_lo, exec_lo, s2
	s_cbranch_vccnz .LBB484_15
; %bb.14:
	flat_load_dwordx2 v[16:17], v[10:11]
	s_waitcnt vmcnt(0) lgkmcnt(0)
	v_fma_f64 v[8:9], s[10:11], v[16:17], v[8:9]
.LBB484_15:
	flat_store_dwordx2 v[10:11], v[8:9]
.LBB484_16:
	s_or_b32 exec_lo, exec_lo, s1
	v_add_nc_u32_e32 v8, 16, v0
	v_cmp_le_i32_e32 vcc_lo, v13, v8
	v_cmp_gt_i32_e64 s1, s8, v8
	v_ashrrev_i32_e32 v9, 31, v8
	s_and_b32 s2, vcc_lo, s1
	s_and_saveexec_b32 s5, s2
	s_cbranch_execz .LBB484_20
; %bb.17:
	v_mul_f64 v[6:7], s[14:15], v[6:7]
	v_lshlrev_b64 v[10:11], 3, v[8:9]
	v_cmp_ne_u32_e32 vcc_lo, 1, v12
	v_add_co_u32 v10, s2, v14, v10
	v_add_co_ci_u32_e64 v11, null, v15, v11, s2
	s_cbranch_vccnz .LBB484_19
; %bb.18:
	flat_load_dwordx2 v[14:15], v[10:11]
	s_waitcnt vmcnt(0) lgkmcnt(0)
	v_fma_f64 v[6:7], s[10:11], v[14:15], v[6:7]
.LBB484_19:
	flat_store_dwordx2 v[10:11], v[6:7]
.LBB484_20:
	s_or_b32 exec_lo, exec_lo, s5
	v_add_nc_u32_e32 v10, 16, v13
	v_ashrrev_i32_e32 v11, 31, v10
	v_mul_lo_u32 v13, s41, v10
	v_mad_u64_u32 v[6:7], null, s40, v10, 0
	v_cmp_le_i32_e32 vcc_lo, v10, v0
	v_mul_lo_u32 v11, s40, v11
	s_and_b32 s0, vcc_lo, s0
	v_add3_u32 v7, v7, v11, v13
	v_lshlrev_b64 v[6:7], 3, v[6:7]
	v_add_co_u32 v6, s2, s4, v6
	v_add_co_ci_u32_e64 v7, null, s3, v7, s2
	s_and_saveexec_b32 s2, s0
	s_cbranch_execz .LBB484_24
; %bb.21:
	v_mul_f64 v[4:5], s[14:15], v[4:5]
	v_lshlrev_b64 v[0:1], 3, v[0:1]
	v_cmp_ne_u32_e32 vcc_lo, 1, v12
	v_add_co_u32 v0, s0, v6, v0
	v_add_co_ci_u32_e64 v1, null, v7, v1, s0
	s_cbranch_vccnz .LBB484_23
; %bb.22:
	flat_load_dwordx2 v[13:14], v[0:1]
	s_waitcnt vmcnt(0) lgkmcnt(0)
	v_fma_f64 v[4:5], s[10:11], v[13:14], v[4:5]
.LBB484_23:
	flat_store_dwordx2 v[0:1], v[4:5]
.LBB484_24:
	s_or_b32 exec_lo, exec_lo, s2
	v_cmp_le_i32_e32 vcc_lo, v10, v8
	s_and_b32 s0, vcc_lo, s1
	s_and_saveexec_b32 s1, s0
	s_cbranch_execz .LBB484_28
; %bb.25:
	v_mul_f64 v[0:1], s[14:15], v[2:3]
	v_lshlrev_b64 v[2:3], 3, v[8:9]
	v_cmp_ne_u32_e32 vcc_lo, 1, v12
	v_add_co_u32 v2, s0, v6, v2
	v_add_co_ci_u32_e64 v3, null, v7, v3, s0
	s_cbranch_vccnz .LBB484_27
; %bb.26:
	flat_load_dwordx2 v[4:5], v[2:3]
	s_waitcnt vmcnt(0) lgkmcnt(0)
	v_fma_f64 v[0:1], s[10:11], v[4:5], v[0:1]
.LBB484_27:
	flat_store_dwordx2 v[2:3], v[0:1]
.LBB484_28:
	s_endpgm
	.section	.rodata,"a",@progbits
	.p2align	6, 0x0
	.amdhsa_kernel _ZL29rocblas_internal_gemmt_kernelIlLi16ELi32ELi8ELc67ELc84ELc76ELb0ELb0EdPKdPKS1_PKPdEviT_T9_T10_S7_lS9_S7_lS8_T11_S7_li
		.amdhsa_group_segment_fixed_size 4096
		.amdhsa_private_segment_fixed_size 0
		.amdhsa_kernarg_size 108
		.amdhsa_user_sgpr_count 6
		.amdhsa_user_sgpr_private_segment_buffer 1
		.amdhsa_user_sgpr_dispatch_ptr 0
		.amdhsa_user_sgpr_queue_ptr 0
		.amdhsa_user_sgpr_kernarg_segment_ptr 1
		.amdhsa_user_sgpr_dispatch_id 0
		.amdhsa_user_sgpr_flat_scratch_init 0
		.amdhsa_user_sgpr_private_segment_size 0
		.amdhsa_wavefront_size32 1
		.amdhsa_uses_dynamic_stack 0
		.amdhsa_system_sgpr_private_segment_wavefront_offset 0
		.amdhsa_system_sgpr_workgroup_id_x 1
		.amdhsa_system_sgpr_workgroup_id_y 1
		.amdhsa_system_sgpr_workgroup_id_z 1
		.amdhsa_system_sgpr_workgroup_info 0
		.amdhsa_system_vgpr_workitem_id 1
		.amdhsa_next_free_vgpr 46
		.amdhsa_next_free_sgpr 44
		.amdhsa_reserve_vcc 1
		.amdhsa_reserve_flat_scratch 0
		.amdhsa_float_round_mode_32 0
		.amdhsa_float_round_mode_16_64 0
		.amdhsa_float_denorm_mode_32 3
		.amdhsa_float_denorm_mode_16_64 3
		.amdhsa_dx10_clamp 1
		.amdhsa_ieee_mode 1
		.amdhsa_fp16_overflow 0
		.amdhsa_workgroup_processor_mode 1
		.amdhsa_memory_ordered 1
		.amdhsa_forward_progress 1
		.amdhsa_shared_vgpr_count 0
		.amdhsa_exception_fp_ieee_invalid_op 0
		.amdhsa_exception_fp_denorm_src 0
		.amdhsa_exception_fp_ieee_div_zero 0
		.amdhsa_exception_fp_ieee_overflow 0
		.amdhsa_exception_fp_ieee_underflow 0
		.amdhsa_exception_fp_ieee_inexact 0
		.amdhsa_exception_int_div_zero 0
	.end_amdhsa_kernel
	.section	.text._ZL29rocblas_internal_gemmt_kernelIlLi16ELi32ELi8ELc67ELc84ELc76ELb0ELb0EdPKdPKS1_PKPdEviT_T9_T10_S7_lS9_S7_lS8_T11_S7_li,"axG",@progbits,_ZL29rocblas_internal_gemmt_kernelIlLi16ELi32ELi8ELc67ELc84ELc76ELb0ELb0EdPKdPKS1_PKPdEviT_T9_T10_S7_lS9_S7_lS8_T11_S7_li,comdat
.Lfunc_end484:
	.size	_ZL29rocblas_internal_gemmt_kernelIlLi16ELi32ELi8ELc67ELc84ELc76ELb0ELb0EdPKdPKS1_PKPdEviT_T9_T10_S7_lS9_S7_lS8_T11_S7_li, .Lfunc_end484-_ZL29rocblas_internal_gemmt_kernelIlLi16ELi32ELi8ELc67ELc84ELc76ELb0ELb0EdPKdPKS1_PKPdEviT_T9_T10_S7_lS9_S7_lS8_T11_S7_li
                                        ; -- End function
	.set _ZL29rocblas_internal_gemmt_kernelIlLi16ELi32ELi8ELc67ELc84ELc76ELb0ELb0EdPKdPKS1_PKPdEviT_T9_T10_S7_lS9_S7_lS8_T11_S7_li.num_vgpr, 46
	.set _ZL29rocblas_internal_gemmt_kernelIlLi16ELi32ELi8ELc67ELc84ELc76ELb0ELb0EdPKdPKS1_PKPdEviT_T9_T10_S7_lS9_S7_lS8_T11_S7_li.num_agpr, 0
	.set _ZL29rocblas_internal_gemmt_kernelIlLi16ELi32ELi8ELc67ELc84ELc76ELb0ELb0EdPKdPKS1_PKPdEviT_T9_T10_S7_lS9_S7_lS8_T11_S7_li.numbered_sgpr, 44
	.set _ZL29rocblas_internal_gemmt_kernelIlLi16ELi32ELi8ELc67ELc84ELc76ELb0ELb0EdPKdPKS1_PKPdEviT_T9_T10_S7_lS9_S7_lS8_T11_S7_li.num_named_barrier, 0
	.set _ZL29rocblas_internal_gemmt_kernelIlLi16ELi32ELi8ELc67ELc84ELc76ELb0ELb0EdPKdPKS1_PKPdEviT_T9_T10_S7_lS9_S7_lS8_T11_S7_li.private_seg_size, 0
	.set _ZL29rocblas_internal_gemmt_kernelIlLi16ELi32ELi8ELc67ELc84ELc76ELb0ELb0EdPKdPKS1_PKPdEviT_T9_T10_S7_lS9_S7_lS8_T11_S7_li.uses_vcc, 1
	.set _ZL29rocblas_internal_gemmt_kernelIlLi16ELi32ELi8ELc67ELc84ELc76ELb0ELb0EdPKdPKS1_PKPdEviT_T9_T10_S7_lS9_S7_lS8_T11_S7_li.uses_flat_scratch, 0
	.set _ZL29rocblas_internal_gemmt_kernelIlLi16ELi32ELi8ELc67ELc84ELc76ELb0ELb0EdPKdPKS1_PKPdEviT_T9_T10_S7_lS9_S7_lS8_T11_S7_li.has_dyn_sized_stack, 0
	.set _ZL29rocblas_internal_gemmt_kernelIlLi16ELi32ELi8ELc67ELc84ELc76ELb0ELb0EdPKdPKS1_PKPdEviT_T9_T10_S7_lS9_S7_lS8_T11_S7_li.has_recursion, 0
	.set _ZL29rocblas_internal_gemmt_kernelIlLi16ELi32ELi8ELc67ELc84ELc76ELb0ELb0EdPKdPKS1_PKPdEviT_T9_T10_S7_lS9_S7_lS8_T11_S7_li.has_indirect_call, 0
	.section	.AMDGPU.csdata,"",@progbits
; Kernel info:
; codeLenInByte = 1688
; TotalNumSgprs: 46
; NumVgprs: 46
; ScratchSize: 0
; MemoryBound: 0
; FloatMode: 240
; IeeeMode: 1
; LDSByteSize: 4096 bytes/workgroup (compile time only)
; SGPRBlocks: 0
; VGPRBlocks: 5
; NumSGPRsForWavesPerEU: 46
; NumVGPRsForWavesPerEU: 46
; Occupancy: 16
; WaveLimiterHint : 1
; COMPUTE_PGM_RSRC2:SCRATCH_EN: 0
; COMPUTE_PGM_RSRC2:USER_SGPR: 6
; COMPUTE_PGM_RSRC2:TRAP_HANDLER: 0
; COMPUTE_PGM_RSRC2:TGID_X_EN: 1
; COMPUTE_PGM_RSRC2:TGID_Y_EN: 1
; COMPUTE_PGM_RSRC2:TGID_Z_EN: 1
; COMPUTE_PGM_RSRC2:TIDIG_COMP_CNT: 1
	.section	.text._ZL29rocblas_internal_gemmt_kernelIlLi16ELi32ELi8ELc67ELc67ELc76ELb0ELb0EdPKdPKS1_PKPdEviT_T9_T10_S7_lS9_S7_lS8_T11_S7_li,"axG",@progbits,_ZL29rocblas_internal_gemmt_kernelIlLi16ELi32ELi8ELc67ELc67ELc76ELb0ELb0EdPKdPKS1_PKPdEviT_T9_T10_S7_lS9_S7_lS8_T11_S7_li,comdat
	.globl	_ZL29rocblas_internal_gemmt_kernelIlLi16ELi32ELi8ELc67ELc67ELc76ELb0ELb0EdPKdPKS1_PKPdEviT_T9_T10_S7_lS9_S7_lS8_T11_S7_li ; -- Begin function _ZL29rocblas_internal_gemmt_kernelIlLi16ELi32ELi8ELc67ELc67ELc76ELb0ELb0EdPKdPKS1_PKPdEviT_T9_T10_S7_lS9_S7_lS8_T11_S7_li
	.p2align	8
	.type	_ZL29rocblas_internal_gemmt_kernelIlLi16ELi32ELi8ELc67ELc67ELc76ELb0ELb0EdPKdPKS1_PKPdEviT_T9_T10_S7_lS9_S7_lS8_T11_S7_li,@function
_ZL29rocblas_internal_gemmt_kernelIlLi16ELi32ELi8ELc67ELc67ELc76ELb0ELb0EdPKdPKS1_PKPdEviT_T9_T10_S7_lS9_S7_lS8_T11_S7_li: ; @_ZL29rocblas_internal_gemmt_kernelIlLi16ELi32ELi8ELc67ELc67ELc76ELb0ELb0EdPKdPKS1_PKPdEviT_T9_T10_S7_lS9_S7_lS8_T11_S7_li
; %bb.0:
	s_load_dwordx8 s[36:43], s[4:5], 0x48
	s_waitcnt lgkmcnt(0)
	s_load_dwordx2 s[10:11], s[36:37], 0x0
	s_load_dwordx16 s[12:27], s[4:5], 0x8
	s_waitcnt lgkmcnt(0)
	v_cmp_neq_f64_e64 s0, s[10:11], 1.0
	s_load_dwordx2 s[14:15], s[14:15], 0x0
	s_and_b32 vcc_lo, exec_lo, s0
	s_cbranch_vccnz .LBB485_2
; %bb.1:
	s_waitcnt lgkmcnt(0)
	v_cmp_neq_f64_e64 s0, s[14:15], 0
	s_cmp_lg_u64 s[12:13], 0
	s_cselect_b32 s1, -1, 0
	s_and_b32 s0, s1, s0
.LBB485_2:
	s_andn2_b32 vcc_lo, exec_lo, s0
	s_cbranch_vccnz .LBB485_28
; %bb.3:
	s_waitcnt lgkmcnt(0)
	v_cmp_eq_f64_e64 s28, s[14:15], 0
	s_mov_b32 s9, 0
	v_mov_b32_e32 v8, 0
	s_lshl_b64 s[0:1], s[8:9], 3
	v_mov_b32_e32 v6, 0
	s_add_u32 s2, s38, s0
	s_addc_u32 s3, s39, s1
	s_load_dword s8, s[4:5], 0x0
	s_load_dwordx2 s[2:3], s[2:3], 0x0
	v_cmp_lt_i64_e64 s4, s[12:13], 1
	v_mov_b32_e32 v4, 0
	v_mov_b32_e32 v2, 0
	;; [unrolled: 1-line block ×6, first 2 shown]
	s_lshl_b32 s6, s6, 5
	s_lshl_b32 s7, s7, 5
	s_or_b32 s4, s28, s4
	s_and_b32 vcc_lo, exec_lo, s4
	s_cbranch_vccnz .LBB485_12
; %bb.4:
	s_add_u32 s4, s22, s0
	s_addc_u32 s5, s23, s1
	s_lshl_b64 s[22:23], s[26:27], 3
	s_load_dwordx2 s[4:5], s[4:5], 0x0
	v_lshl_add_u32 v10, v1, 4, v0
	v_and_b32_e32 v16, 7, v0
	v_mov_b32_e32 v2, 0
	v_mov_b32_e32 v4, 0
	;; [unrolled: 1-line block ×3, first 2 shown]
	v_and_b32_e32 v11, 31, v10
	v_lshrrev_b32_e32 v14, 3, v10
	v_lshrrev_b32_e32 v19, 5, v10
	v_lshlrev_b32_e32 v20, 3, v16
	v_mov_b32_e32 v8, 0
	v_or_b32_e32 v15, s6, v11
	v_add_nc_u32_e32 v10, s7, v14
	v_lshlrev_b32_e32 v21, 3, v11
	v_lshl_or_b32 v23, v14, 6, v20
	v_lshlrev_b32_e32 v17, 3, v0
	v_mul_lo_u32 v22, s19, v15
	v_mad_u64_u32 v[12:13], null, s18, v15, 0
	v_ashrrev_i32_e32 v11, 31, v10
	s_waitcnt lgkmcnt(0)
	s_add_u32 s9, s4, s22
	s_addc_u32 s22, s5, s23
	s_add_u32 s0, s16, s0
	s_addc_u32 s1, s17, s1
	s_lshl_b64 s[4:5], s[20:21], 3
	s_load_dwordx2 s[0:1], s[0:1], 0x0
	v_lshl_or_b32 v20, v19, 8, v21
	v_add_nc_u32_e32 v21, 0x800, v23
	v_lshl_add_u32 v18, v1, 6, 0x800
	v_mov_b32_e32 v3, 0
	v_mov_b32_e32 v5, 0
	;; [unrolled: 1-line block ×4, first 2 shown]
	s_waitcnt lgkmcnt(0)
	s_add_u32 s4, s0, s4
	s_addc_u32 s5, s1, s5
	s_ashr_i32 s0, s6, 31
	s_mul_i32 s1, s18, s0
	v_cmp_gt_i32_e64 s0, s8, v15
	v_add3_u32 v13, v13, s1, v22
	v_lshlrev_b64 v[14:15], 3, v[10:11]
	v_cmp_gt_i32_e64 s1, s8, v10
	v_lshlrev_b64 v[10:11], 3, v[12:13]
	v_add_co_u32 v22, vcc_lo, s9, v14
	v_add_co_ci_u32_e64 v23, null, s22, v15, vcc_lo
	v_add_co_u32 v24, vcc_lo, s4, v10
	v_add_co_ci_u32_e64 v25, null, s5, v11, vcc_lo
	v_mov_b32_e32 v11, 0
	s_mov_b64 s[4:5], 0
	s_branch .LBB485_6
.LBB485_5:                              ;   in Loop: Header=BB485_6 Depth=1
	s_or_b32 exec_lo, exec_lo, s9
	s_waitcnt vmcnt(0) lgkmcnt(0)
	ds_write_b64 v21, v[14:15]
	s_waitcnt lgkmcnt(0)
	s_barrier
	buffer_gl0_inv
	ds_read_b128 v[12:15], v18
	ds_read2_b64 v[26:29], v17 offset1:16
	ds_read_b128 v[30:33], v18 offset:1024
	ds_read_b128 v[34:37], v18 offset:16
	ds_read2_b64 v[38:41], v17 offset0:32 offset1:48
	ds_read_b128 v[42:45], v18 offset:1040
	s_add_u32 s4, s4, 8
	s_addc_u32 s5, s5, 0
	v_cmp_gt_i64_e64 s9, s[12:13], s[4:5]
	s_and_b32 vcc_lo, exec_lo, s9
	s_waitcnt lgkmcnt(4)
	v_fma_f64 v[8:9], v[26:27], v[12:13], v[8:9]
	v_fma_f64 v[6:7], v[28:29], v[12:13], v[6:7]
	s_waitcnt lgkmcnt(3)
	v_fma_f64 v[12:13], v[26:27], v[30:31], v[4:5]
	v_fma_f64 v[26:27], v[28:29], v[30:31], v[2:3]
	ds_read2_b64 v[2:5], v17 offset0:64 offset1:80
	s_waitcnt lgkmcnt(2)
	v_fma_f64 v[28:29], v[38:39], v[14:15], v[8:9]
	v_fma_f64 v[14:15], v[40:41], v[14:15], v[6:7]
	;; [unrolled: 1-line block ×4, first 2 shown]
	ds_read2_b64 v[6:9], v17 offset0:96 offset1:112
	s_waitcnt lgkmcnt(1)
	v_fma_f64 v[28:29], v[2:3], v[34:35], v[28:29]
	v_fma_f64 v[30:31], v[4:5], v[34:35], v[14:15]
	v_fma_f64 v[32:33], v[2:3], v[42:43], v[12:13]
	v_fma_f64 v[26:27], v[4:5], v[42:43], v[26:27]
	ds_read_b128 v[2:5], v18 offset:32
	ds_read2_b64 v[12:15], v17 offset0:128 offset1:144
	s_waitcnt lgkmcnt(2)
	v_fma_f64 v[38:39], v[6:7], v[36:37], v[28:29]
	v_fma_f64 v[40:41], v[8:9], v[36:37], v[30:31]
	;; [unrolled: 1-line block ×4, first 2 shown]
	ds_read_b128 v[6:9], v18 offset:1056
	ds_read_b128 v[26:29], v18 offset:48
	ds_read2_b64 v[30:33], v17 offset0:160 offset1:176
	ds_read_b128 v[34:37], v18 offset:1072
	s_waitcnt lgkmcnt(4)
	v_fma_f64 v[38:39], v[12:13], v[2:3], v[38:39]
	v_fma_f64 v[2:3], v[14:15], v[2:3], v[40:41]
	s_waitcnt lgkmcnt(3)
	v_fma_f64 v[40:41], v[12:13], v[6:7], v[42:43]
	v_fma_f64 v[6:7], v[14:15], v[6:7], v[44:45]
	ds_read2_b64 v[12:15], v17 offset0:192 offset1:208
	s_waitcnt lgkmcnt(2)
	v_fma_f64 v[38:39], v[30:31], v[4:5], v[38:39]
	v_fma_f64 v[2:3], v[32:33], v[4:5], v[2:3]
	v_fma_f64 v[4:5], v[30:31], v[8:9], v[40:41]
	v_fma_f64 v[6:7], v[32:33], v[8:9], v[6:7]
	ds_read2_b64 v[30:33], v17 offset0:224 offset1:240
	s_waitcnt lgkmcnt(0)
	s_barrier
	buffer_gl0_inv
	v_fma_f64 v[8:9], v[12:13], v[26:27], v[38:39]
	v_fma_f64 v[2:3], v[14:15], v[26:27], v[2:3]
	;; [unrolled: 1-line block ×8, first 2 shown]
	s_cbranch_vccz .LBB485_12
.LBB485_6:                              ; =>This Inner Loop Header: Depth=1
	v_mov_b32_e32 v12, 0
	v_mov_b32_e32 v13, 0
	s_and_saveexec_b32 s9, s0
	s_cbranch_execz .LBB485_10
; %bb.7:                                ;   in Loop: Header=BB485_6 Depth=1
	v_mov_b32_e32 v12, 0
	v_add_nc_u32_e32 v10, s4, v19
	v_mov_b32_e32 v13, 0
	s_mov_b32 s16, exec_lo
	v_cmpx_gt_u64_e64 s[12:13], v[10:11]
	s_cbranch_execz .LBB485_9
; %bb.8:                                ;   in Loop: Header=BB485_6 Depth=1
	v_lshlrev_b64 v[12:13], 3, v[10:11]
	v_add_co_u32 v12, vcc_lo, v24, v12
	v_add_co_ci_u32_e64 v13, null, v25, v13, vcc_lo
	flat_load_dwordx2 v[12:13], v[12:13]
.LBB485_9:                              ;   in Loop: Header=BB485_6 Depth=1
	s_or_b32 exec_lo, exec_lo, s16
.LBB485_10:                             ;   in Loop: Header=BB485_6 Depth=1
	s_or_b32 exec_lo, exec_lo, s9
	v_add_nc_u32_e32 v10, s4, v16
	v_mov_b32_e32 v14, 0
	v_mov_b32_e32 v15, 0
	s_waitcnt vmcnt(0) lgkmcnt(0)
	ds_write_b64 v20, v[12:13]
	v_cmp_gt_u64_e32 vcc_lo, s[12:13], v[10:11]
	s_and_b32 s16, vcc_lo, s1
	s_and_saveexec_b32 s9, s16
	s_cbranch_execz .LBB485_5
; %bb.11:                               ;   in Loop: Header=BB485_6 Depth=1
	v_mad_u64_u32 v[12:13], null, s24, v10, 0
	v_mad_u64_u32 v[13:14], null, s25, v10, v[13:14]
	v_lshlrev_b64 v[12:13], 3, v[12:13]
	v_add_co_u32 v12, vcc_lo, v22, v12
	v_add_co_ci_u32_e64 v13, null, v23, v13, vcc_lo
	flat_load_dwordx2 v[14:15], v[12:13]
	s_branch .LBB485_5
.LBB485_12:
	v_add_nc_u32_e32 v13, s7, v1
	s_lshl_b64 s[0:1], s[42:43], 3
	v_add_nc_u32_e32 v0, s6, v0
	s_waitcnt lgkmcnt(0)
	s_add_u32 s4, s2, s0
	v_cmp_neq_f64_e64 s2, s[10:11], 0
	v_ashrrev_i32_e32 v1, 31, v13
	v_mul_lo_u32 v12, s41, v13
	v_mad_u64_u32 v[10:11], null, s40, v13, 0
	s_addc_u32 s3, s3, s1
	v_mul_lo_u32 v1, s40, v1
	v_cmp_le_i32_e32 vcc_lo, v13, v0
	v_cmp_gt_i32_e64 s0, s8, v0
	s_and_b32 s5, vcc_lo, s0
	v_add3_u32 v11, v11, v1, v12
	v_ashrrev_i32_e32 v1, 31, v0
	v_lshlrev_b64 v[10:11], 3, v[10:11]
	v_cndmask_b32_e64 v12, 0, 1, s2
	v_add_co_u32 v14, s1, s4, v10
	v_add_co_ci_u32_e64 v15, null, s3, v11, s1
	s_and_saveexec_b32 s1, s5
	s_cbranch_execz .LBB485_16
; %bb.13:
	v_mul_f64 v[8:9], s[14:15], v[8:9]
	v_lshlrev_b64 v[10:11], 3, v[0:1]
	v_add_co_u32 v10, vcc_lo, v14, v10
	v_add_co_ci_u32_e64 v11, null, v15, v11, vcc_lo
	s_andn2_b32 vcc_lo, exec_lo, s2
	s_cbranch_vccnz .LBB485_15
; %bb.14:
	flat_load_dwordx2 v[16:17], v[10:11]
	s_waitcnt vmcnt(0) lgkmcnt(0)
	v_fma_f64 v[8:9], s[10:11], v[16:17], v[8:9]
.LBB485_15:
	flat_store_dwordx2 v[10:11], v[8:9]
.LBB485_16:
	s_or_b32 exec_lo, exec_lo, s1
	v_add_nc_u32_e32 v8, 16, v0
	v_cmp_le_i32_e32 vcc_lo, v13, v8
	v_cmp_gt_i32_e64 s1, s8, v8
	v_ashrrev_i32_e32 v9, 31, v8
	s_and_b32 s2, vcc_lo, s1
	s_and_saveexec_b32 s5, s2
	s_cbranch_execz .LBB485_20
; %bb.17:
	v_mul_f64 v[6:7], s[14:15], v[6:7]
	v_lshlrev_b64 v[10:11], 3, v[8:9]
	v_cmp_ne_u32_e32 vcc_lo, 1, v12
	v_add_co_u32 v10, s2, v14, v10
	v_add_co_ci_u32_e64 v11, null, v15, v11, s2
	s_cbranch_vccnz .LBB485_19
; %bb.18:
	flat_load_dwordx2 v[14:15], v[10:11]
	s_waitcnt vmcnt(0) lgkmcnt(0)
	v_fma_f64 v[6:7], s[10:11], v[14:15], v[6:7]
.LBB485_19:
	flat_store_dwordx2 v[10:11], v[6:7]
.LBB485_20:
	s_or_b32 exec_lo, exec_lo, s5
	v_add_nc_u32_e32 v10, 16, v13
	v_ashrrev_i32_e32 v11, 31, v10
	v_mul_lo_u32 v13, s41, v10
	v_mad_u64_u32 v[6:7], null, s40, v10, 0
	v_cmp_le_i32_e32 vcc_lo, v10, v0
	v_mul_lo_u32 v11, s40, v11
	s_and_b32 s0, vcc_lo, s0
	v_add3_u32 v7, v7, v11, v13
	v_lshlrev_b64 v[6:7], 3, v[6:7]
	v_add_co_u32 v6, s2, s4, v6
	v_add_co_ci_u32_e64 v7, null, s3, v7, s2
	s_and_saveexec_b32 s2, s0
	s_cbranch_execz .LBB485_24
; %bb.21:
	v_mul_f64 v[4:5], s[14:15], v[4:5]
	v_lshlrev_b64 v[0:1], 3, v[0:1]
	v_cmp_ne_u32_e32 vcc_lo, 1, v12
	v_add_co_u32 v0, s0, v6, v0
	v_add_co_ci_u32_e64 v1, null, v7, v1, s0
	s_cbranch_vccnz .LBB485_23
; %bb.22:
	flat_load_dwordx2 v[13:14], v[0:1]
	s_waitcnt vmcnt(0) lgkmcnt(0)
	v_fma_f64 v[4:5], s[10:11], v[13:14], v[4:5]
.LBB485_23:
	flat_store_dwordx2 v[0:1], v[4:5]
.LBB485_24:
	s_or_b32 exec_lo, exec_lo, s2
	v_cmp_le_i32_e32 vcc_lo, v10, v8
	s_and_b32 s0, vcc_lo, s1
	s_and_saveexec_b32 s1, s0
	s_cbranch_execz .LBB485_28
; %bb.25:
	v_mul_f64 v[0:1], s[14:15], v[2:3]
	v_lshlrev_b64 v[2:3], 3, v[8:9]
	v_cmp_ne_u32_e32 vcc_lo, 1, v12
	v_add_co_u32 v2, s0, v6, v2
	v_add_co_ci_u32_e64 v3, null, v7, v3, s0
	s_cbranch_vccnz .LBB485_27
; %bb.26:
	flat_load_dwordx2 v[4:5], v[2:3]
	s_waitcnt vmcnt(0) lgkmcnt(0)
	v_fma_f64 v[0:1], s[10:11], v[4:5], v[0:1]
.LBB485_27:
	flat_store_dwordx2 v[2:3], v[0:1]
.LBB485_28:
	s_endpgm
	.section	.rodata,"a",@progbits
	.p2align	6, 0x0
	.amdhsa_kernel _ZL29rocblas_internal_gemmt_kernelIlLi16ELi32ELi8ELc67ELc67ELc76ELb0ELb0EdPKdPKS1_PKPdEviT_T9_T10_S7_lS9_S7_lS8_T11_S7_li
		.amdhsa_group_segment_fixed_size 4096
		.amdhsa_private_segment_fixed_size 0
		.amdhsa_kernarg_size 108
		.amdhsa_user_sgpr_count 6
		.amdhsa_user_sgpr_private_segment_buffer 1
		.amdhsa_user_sgpr_dispatch_ptr 0
		.amdhsa_user_sgpr_queue_ptr 0
		.amdhsa_user_sgpr_kernarg_segment_ptr 1
		.amdhsa_user_sgpr_dispatch_id 0
		.amdhsa_user_sgpr_flat_scratch_init 0
		.amdhsa_user_sgpr_private_segment_size 0
		.amdhsa_wavefront_size32 1
		.amdhsa_uses_dynamic_stack 0
		.amdhsa_system_sgpr_private_segment_wavefront_offset 0
		.amdhsa_system_sgpr_workgroup_id_x 1
		.amdhsa_system_sgpr_workgroup_id_y 1
		.amdhsa_system_sgpr_workgroup_id_z 1
		.amdhsa_system_sgpr_workgroup_info 0
		.amdhsa_system_vgpr_workitem_id 1
		.amdhsa_next_free_vgpr 46
		.amdhsa_next_free_sgpr 44
		.amdhsa_reserve_vcc 1
		.amdhsa_reserve_flat_scratch 0
		.amdhsa_float_round_mode_32 0
		.amdhsa_float_round_mode_16_64 0
		.amdhsa_float_denorm_mode_32 3
		.amdhsa_float_denorm_mode_16_64 3
		.amdhsa_dx10_clamp 1
		.amdhsa_ieee_mode 1
		.amdhsa_fp16_overflow 0
		.amdhsa_workgroup_processor_mode 1
		.amdhsa_memory_ordered 1
		.amdhsa_forward_progress 1
		.amdhsa_shared_vgpr_count 0
		.amdhsa_exception_fp_ieee_invalid_op 0
		.amdhsa_exception_fp_denorm_src 0
		.amdhsa_exception_fp_ieee_div_zero 0
		.amdhsa_exception_fp_ieee_overflow 0
		.amdhsa_exception_fp_ieee_underflow 0
		.amdhsa_exception_fp_ieee_inexact 0
		.amdhsa_exception_int_div_zero 0
	.end_amdhsa_kernel
	.section	.text._ZL29rocblas_internal_gemmt_kernelIlLi16ELi32ELi8ELc67ELc67ELc76ELb0ELb0EdPKdPKS1_PKPdEviT_T9_T10_S7_lS9_S7_lS8_T11_S7_li,"axG",@progbits,_ZL29rocblas_internal_gemmt_kernelIlLi16ELi32ELi8ELc67ELc67ELc76ELb0ELb0EdPKdPKS1_PKPdEviT_T9_T10_S7_lS9_S7_lS8_T11_S7_li,comdat
.Lfunc_end485:
	.size	_ZL29rocblas_internal_gemmt_kernelIlLi16ELi32ELi8ELc67ELc67ELc76ELb0ELb0EdPKdPKS1_PKPdEviT_T9_T10_S7_lS9_S7_lS8_T11_S7_li, .Lfunc_end485-_ZL29rocblas_internal_gemmt_kernelIlLi16ELi32ELi8ELc67ELc67ELc76ELb0ELb0EdPKdPKS1_PKPdEviT_T9_T10_S7_lS9_S7_lS8_T11_S7_li
                                        ; -- End function
	.set _ZL29rocblas_internal_gemmt_kernelIlLi16ELi32ELi8ELc67ELc67ELc76ELb0ELb0EdPKdPKS1_PKPdEviT_T9_T10_S7_lS9_S7_lS8_T11_S7_li.num_vgpr, 46
	.set _ZL29rocblas_internal_gemmt_kernelIlLi16ELi32ELi8ELc67ELc67ELc76ELb0ELb0EdPKdPKS1_PKPdEviT_T9_T10_S7_lS9_S7_lS8_T11_S7_li.num_agpr, 0
	.set _ZL29rocblas_internal_gemmt_kernelIlLi16ELi32ELi8ELc67ELc67ELc76ELb0ELb0EdPKdPKS1_PKPdEviT_T9_T10_S7_lS9_S7_lS8_T11_S7_li.numbered_sgpr, 44
	.set _ZL29rocblas_internal_gemmt_kernelIlLi16ELi32ELi8ELc67ELc67ELc76ELb0ELb0EdPKdPKS1_PKPdEviT_T9_T10_S7_lS9_S7_lS8_T11_S7_li.num_named_barrier, 0
	.set _ZL29rocblas_internal_gemmt_kernelIlLi16ELi32ELi8ELc67ELc67ELc76ELb0ELb0EdPKdPKS1_PKPdEviT_T9_T10_S7_lS9_S7_lS8_T11_S7_li.private_seg_size, 0
	.set _ZL29rocblas_internal_gemmt_kernelIlLi16ELi32ELi8ELc67ELc67ELc76ELb0ELb0EdPKdPKS1_PKPdEviT_T9_T10_S7_lS9_S7_lS8_T11_S7_li.uses_vcc, 1
	.set _ZL29rocblas_internal_gemmt_kernelIlLi16ELi32ELi8ELc67ELc67ELc76ELb0ELb0EdPKdPKS1_PKPdEviT_T9_T10_S7_lS9_S7_lS8_T11_S7_li.uses_flat_scratch, 0
	.set _ZL29rocblas_internal_gemmt_kernelIlLi16ELi32ELi8ELc67ELc67ELc76ELb0ELb0EdPKdPKS1_PKPdEviT_T9_T10_S7_lS9_S7_lS8_T11_S7_li.has_dyn_sized_stack, 0
	.set _ZL29rocblas_internal_gemmt_kernelIlLi16ELi32ELi8ELc67ELc67ELc76ELb0ELb0EdPKdPKS1_PKPdEviT_T9_T10_S7_lS9_S7_lS8_T11_S7_li.has_recursion, 0
	.set _ZL29rocblas_internal_gemmt_kernelIlLi16ELi32ELi8ELc67ELc67ELc76ELb0ELb0EdPKdPKS1_PKPdEviT_T9_T10_S7_lS9_S7_lS8_T11_S7_li.has_indirect_call, 0
	.section	.AMDGPU.csdata,"",@progbits
; Kernel info:
; codeLenInByte = 1688
; TotalNumSgprs: 46
; NumVgprs: 46
; ScratchSize: 0
; MemoryBound: 0
; FloatMode: 240
; IeeeMode: 1
; LDSByteSize: 4096 bytes/workgroup (compile time only)
; SGPRBlocks: 0
; VGPRBlocks: 5
; NumSGPRsForWavesPerEU: 46
; NumVGPRsForWavesPerEU: 46
; Occupancy: 16
; WaveLimiterHint : 1
; COMPUTE_PGM_RSRC2:SCRATCH_EN: 0
; COMPUTE_PGM_RSRC2:USER_SGPR: 6
; COMPUTE_PGM_RSRC2:TRAP_HANDLER: 0
; COMPUTE_PGM_RSRC2:TGID_X_EN: 1
; COMPUTE_PGM_RSRC2:TGID_Y_EN: 1
; COMPUTE_PGM_RSRC2:TGID_Z_EN: 1
; COMPUTE_PGM_RSRC2:TIDIG_COMP_CNT: 1
	.section	.text._ZL29rocblas_internal_gemmt_kernelIlLi16ELi32ELi8ELc78ELc78ELc85ELb0ELb0EddPKPKdPKPdEviT_T9_T10_S7_lS9_S7_lS8_T11_S7_li,"axG",@progbits,_ZL29rocblas_internal_gemmt_kernelIlLi16ELi32ELi8ELc78ELc78ELc85ELb0ELb0EddPKPKdPKPdEviT_T9_T10_S7_lS9_S7_lS8_T11_S7_li,comdat
	.globl	_ZL29rocblas_internal_gemmt_kernelIlLi16ELi32ELi8ELc78ELc78ELc85ELb0ELb0EddPKPKdPKPdEviT_T9_T10_S7_lS9_S7_lS8_T11_S7_li ; -- Begin function _ZL29rocblas_internal_gemmt_kernelIlLi16ELi32ELi8ELc78ELc78ELc85ELb0ELb0EddPKPKdPKPdEviT_T9_T10_S7_lS9_S7_lS8_T11_S7_li
	.p2align	8
	.type	_ZL29rocblas_internal_gemmt_kernelIlLi16ELi32ELi8ELc78ELc78ELc85ELb0ELb0EddPKPKdPKPdEviT_T9_T10_S7_lS9_S7_lS8_T11_S7_li,@function
_ZL29rocblas_internal_gemmt_kernelIlLi16ELi32ELi8ELc78ELc78ELc85ELb0ELb0EddPKPKdPKPdEviT_T9_T10_S7_lS9_S7_lS8_T11_S7_li: ; @_ZL29rocblas_internal_gemmt_kernelIlLi16ELi32ELi8ELc78ELc78ELc85ELb0ELb0EddPKPKdPKPdEviT_T9_T10_S7_lS9_S7_lS8_T11_S7_li
; %bb.0:
	s_clause 0x1
	s_load_dwordx8 s[36:43], s[4:5], 0x48
	s_load_dwordx16 s[12:27], s[4:5], 0x8
	s_waitcnt lgkmcnt(0)
	v_cmp_neq_f64_e64 s0, s[36:37], 1.0
	s_and_b32 vcc_lo, exec_lo, s0
	s_cbranch_vccnz .LBB486_2
; %bb.1:
	v_cmp_neq_f64_e64 s0, s[14:15], 0
	s_cmp_lg_u64 s[12:13], 0
	s_cselect_b32 s1, -1, 0
	s_and_b32 s0, s1, s0
.LBB486_2:
	s_andn2_b32 vcc_lo, exec_lo, s0
	s_cbranch_vccnz .LBB486_28
; %bb.3:
	v_cmp_eq_f64_e64 s10, s[14:15], 0
	s_mov_b32 s9, 0
	v_mov_b32_e32 v8, 0
	s_lshl_b64 s[0:1], s[8:9], 3
	v_mov_b32_e32 v6, 0
	s_add_u32 s2, s38, s0
	s_addc_u32 s3, s39, s1
	s_load_dword s8, s[4:5], 0x0
	s_load_dwordx2 s[2:3], s[2:3], 0x0
	v_cmp_lt_i64_e64 s4, s[12:13], 1
	v_mov_b32_e32 v4, 0
	v_mov_b32_e32 v2, 0
	;; [unrolled: 1-line block ×6, first 2 shown]
	s_lshl_b32 s6, s6, 5
	s_lshl_b32 s7, s7, 5
	s_or_b32 s4, s10, s4
	s_and_b32 vcc_lo, exec_lo, s4
	s_cbranch_vccnz .LBB486_12
; %bb.4:
	s_add_u32 s4, s22, s0
	s_addc_u32 s5, s23, s1
	v_lshl_add_u32 v13, v1, 4, v0
	s_load_dwordx2 s[4:5], s[4:5], 0x0
	s_lshl_b64 s[10:11], s[26:27], 3
	v_and_b32_e32 v16, 7, v0
	v_mov_b32_e32 v2, 0
	v_lshrrev_b32_e32 v14, 3, v13
	v_and_b32_e32 v20, 31, v13
	v_lshrrev_b32_e32 v19, 5, v13
	v_lshlrev_b32_e32 v23, 3, v16
	v_mov_b32_e32 v4, 0
	v_add_nc_u32_e32 v15, s7, v14
	v_or_b32_e32 v12, s6, v20
	v_lshlrev_b32_e32 v20, 3, v20
	v_lshl_or_b32 v14, v14, 6, v23
	v_mov_b32_e32 v8, 0
	v_ashrrev_i32_e32 v6, 31, v15
	v_mul_lo_u32 v21, s25, v15
	v_mad_u64_u32 v[10:11], null, s24, v15, 0
	v_ashrrev_i32_e32 v13, 31, v12
	v_mul_lo_u32 v22, s24, v6
	s_waitcnt lgkmcnt(0)
	s_add_u32 s9, s4, s10
	s_addc_u32 s22, s5, s11
	s_add_u32 s0, s16, s0
	s_addc_u32 s1, s17, s1
	s_lshl_b64 s[10:11], s[20:21], 3
	s_load_dwordx2 s[4:5], s[0:1], 0x0
	v_cmp_gt_i32_e64 s0, s8, v12
	v_add3_u32 v11, v11, v22, v21
	v_lshlrev_b64 v[12:13], 3, v[12:13]
	v_mov_b32_e32 v6, 0
	v_lshlrev_b32_e32 v17, 3, v0
	v_lshl_add_u32 v18, v1, 6, 0x800
	v_lshlrev_b64 v[10:11], 3, v[10:11]
	v_mov_b32_e32 v3, 0
	v_mov_b32_e32 v5, 0
	;; [unrolled: 1-line block ×4, first 2 shown]
	v_lshl_or_b32 v20, v19, 8, v20
	v_add_co_u32 v22, vcc_lo, s9, v10
	v_add_co_ci_u32_e64 v23, null, s22, v11, vcc_lo
	v_cmp_gt_i32_e64 s1, s8, v15
	v_add_nc_u32_e32 v21, 0x800, v14
	v_mov_b32_e32 v11, 0
	s_waitcnt lgkmcnt(0)
	s_add_u32 s4, s4, s10
	s_addc_u32 s5, s5, s11
	v_add_co_u32 v24, vcc_lo, s4, v12
	v_add_co_ci_u32_e64 v25, null, s5, v13, vcc_lo
	s_mov_b64 s[4:5], 0
	s_branch .LBB486_6
.LBB486_5:                              ;   in Loop: Header=BB486_6 Depth=1
	s_or_b32 exec_lo, exec_lo, s9
	s_waitcnt vmcnt(0) lgkmcnt(0)
	ds_write_b64 v21, v[14:15]
	s_waitcnt lgkmcnt(0)
	s_barrier
	buffer_gl0_inv
	ds_read_b128 v[12:15], v18
	ds_read2_b64 v[26:29], v17 offset1:16
	ds_read_b128 v[30:33], v18 offset:1024
	ds_read_b128 v[34:37], v18 offset:16
	ds_read2_b64 v[38:41], v17 offset0:32 offset1:48
	ds_read_b128 v[42:45], v18 offset:1040
	s_add_u32 s4, s4, 8
	s_addc_u32 s5, s5, 0
	v_cmp_gt_i64_e64 s9, s[12:13], s[4:5]
	s_and_b32 vcc_lo, exec_lo, s9
	s_waitcnt lgkmcnt(4)
	v_fma_f64 v[8:9], v[26:27], v[12:13], v[8:9]
	v_fma_f64 v[6:7], v[28:29], v[12:13], v[6:7]
	s_waitcnt lgkmcnt(3)
	v_fma_f64 v[12:13], v[26:27], v[30:31], v[4:5]
	v_fma_f64 v[26:27], v[28:29], v[30:31], v[2:3]
	ds_read2_b64 v[2:5], v17 offset0:64 offset1:80
	s_waitcnt lgkmcnt(2)
	v_fma_f64 v[28:29], v[38:39], v[14:15], v[8:9]
	v_fma_f64 v[14:15], v[40:41], v[14:15], v[6:7]
	;; [unrolled: 1-line block ×4, first 2 shown]
	ds_read2_b64 v[6:9], v17 offset0:96 offset1:112
	s_waitcnt lgkmcnt(1)
	v_fma_f64 v[28:29], v[2:3], v[34:35], v[28:29]
	v_fma_f64 v[30:31], v[4:5], v[34:35], v[14:15]
	;; [unrolled: 1-line block ×4, first 2 shown]
	ds_read_b128 v[2:5], v18 offset:32
	ds_read2_b64 v[12:15], v17 offset0:128 offset1:144
	s_waitcnt lgkmcnt(2)
	v_fma_f64 v[38:39], v[6:7], v[36:37], v[28:29]
	v_fma_f64 v[40:41], v[8:9], v[36:37], v[30:31]
	;; [unrolled: 1-line block ×4, first 2 shown]
	ds_read_b128 v[6:9], v18 offset:1056
	ds_read_b128 v[26:29], v18 offset:48
	ds_read2_b64 v[30:33], v17 offset0:160 offset1:176
	ds_read_b128 v[34:37], v18 offset:1072
	s_waitcnt lgkmcnt(4)
	v_fma_f64 v[38:39], v[12:13], v[2:3], v[38:39]
	v_fma_f64 v[2:3], v[14:15], v[2:3], v[40:41]
	s_waitcnt lgkmcnt(3)
	v_fma_f64 v[40:41], v[12:13], v[6:7], v[42:43]
	v_fma_f64 v[6:7], v[14:15], v[6:7], v[44:45]
	ds_read2_b64 v[12:15], v17 offset0:192 offset1:208
	s_waitcnt lgkmcnt(2)
	v_fma_f64 v[38:39], v[30:31], v[4:5], v[38:39]
	v_fma_f64 v[2:3], v[32:33], v[4:5], v[2:3]
	;; [unrolled: 1-line block ×4, first 2 shown]
	ds_read2_b64 v[30:33], v17 offset0:224 offset1:240
	s_waitcnt lgkmcnt(0)
	s_barrier
	buffer_gl0_inv
	v_fma_f64 v[8:9], v[12:13], v[26:27], v[38:39]
	v_fma_f64 v[2:3], v[14:15], v[26:27], v[2:3]
	;; [unrolled: 1-line block ×8, first 2 shown]
	s_cbranch_vccz .LBB486_12
.LBB486_6:                              ; =>This Inner Loop Header: Depth=1
	v_mov_b32_e32 v12, 0
	v_mov_b32_e32 v13, 0
	s_and_saveexec_b32 s9, s0
	s_cbranch_execz .LBB486_10
; %bb.7:                                ;   in Loop: Header=BB486_6 Depth=1
	v_mov_b32_e32 v12, 0
	v_add_nc_u32_e32 v10, s4, v19
	v_mov_b32_e32 v13, 0
	s_mov_b32 s10, exec_lo
	v_cmpx_gt_u64_e64 s[12:13], v[10:11]
	s_cbranch_execz .LBB486_9
; %bb.8:                                ;   in Loop: Header=BB486_6 Depth=1
	v_mad_u64_u32 v[12:13], null, s18, v10, 0
	v_mad_u64_u32 v[13:14], null, s19, v10, v[13:14]
	v_lshlrev_b64 v[12:13], 3, v[12:13]
	v_add_co_u32 v12, vcc_lo, v24, v12
	v_add_co_ci_u32_e64 v13, null, v25, v13, vcc_lo
	flat_load_dwordx2 v[12:13], v[12:13]
.LBB486_9:                              ;   in Loop: Header=BB486_6 Depth=1
	s_or_b32 exec_lo, exec_lo, s10
.LBB486_10:                             ;   in Loop: Header=BB486_6 Depth=1
	s_or_b32 exec_lo, exec_lo, s9
	v_add_nc_u32_e32 v10, s4, v16
	v_mov_b32_e32 v14, 0
	v_mov_b32_e32 v15, 0
	s_waitcnt vmcnt(0) lgkmcnt(0)
	ds_write_b64 v20, v[12:13]
	v_cmp_gt_u64_e32 vcc_lo, s[12:13], v[10:11]
	s_and_b32 s10, vcc_lo, s1
	s_and_saveexec_b32 s9, s10
	s_cbranch_execz .LBB486_5
; %bb.11:                               ;   in Loop: Header=BB486_6 Depth=1
	v_lshlrev_b64 v[12:13], 3, v[10:11]
	v_add_co_u32 v12, vcc_lo, v22, v12
	v_add_co_ci_u32_e64 v13, null, v23, v13, vcc_lo
	flat_load_dwordx2 v[14:15], v[12:13]
	s_branch .LBB486_5
.LBB486_12:
	v_add_nc_u32_e32 v13, s7, v1
	v_cmp_neq_f64_e64 s4, s[36:37], 0
	v_add_nc_u32_e32 v0, s6, v0
	s_lshl_b64 s[0:1], s[42:43], 3
	s_waitcnt lgkmcnt(0)
	s_add_u32 s2, s2, s0
	v_ashrrev_i32_e32 v1, 31, v13
	v_mul_lo_u32 v12, s41, v13
	v_mad_u64_u32 v[10:11], null, s40, v13, 0
	s_addc_u32 s3, s3, s1
	v_mul_lo_u32 v1, s40, v1
	v_cmp_gt_i32_e64 s0, s8, v13
	v_cmp_le_i32_e32 vcc_lo, v0, v13
	s_and_b32 s5, s0, vcc_lo
	v_add3_u32 v11, v11, v1, v12
	v_ashrrev_i32_e32 v1, 31, v0
	v_cndmask_b32_e64 v12, 0, 1, s4
	v_lshlrev_b64 v[10:11], 3, v[10:11]
	v_add_co_u32 v14, s1, s2, v10
	v_add_co_ci_u32_e64 v15, null, s3, v11, s1
	s_and_saveexec_b32 s1, s5
	s_cbranch_execz .LBB486_16
; %bb.13:
	v_mul_f64 v[8:9], s[14:15], v[8:9]
	v_lshlrev_b64 v[10:11], 3, v[0:1]
	v_add_co_u32 v10, vcc_lo, v14, v10
	v_add_co_ci_u32_e64 v11, null, v15, v11, vcc_lo
	s_andn2_b32 vcc_lo, exec_lo, s4
	s_cbranch_vccnz .LBB486_15
; %bb.14:
	flat_load_dwordx2 v[16:17], v[10:11]
	s_waitcnt vmcnt(0) lgkmcnt(0)
	v_fma_f64 v[8:9], s[36:37], v[16:17], v[8:9]
.LBB486_15:
	flat_store_dwordx2 v[10:11], v[8:9]
.LBB486_16:
	s_or_b32 exec_lo, exec_lo, s1
	v_add_nc_u32_e32 v8, 16, v0
	v_cmp_le_i32_e32 vcc_lo, v8, v13
	v_ashrrev_i32_e32 v9, 31, v8
	s_and_b32 s0, s0, vcc_lo
	s_and_saveexec_b32 s1, s0
	s_cbranch_execz .LBB486_20
; %bb.17:
	v_mul_f64 v[6:7], s[14:15], v[6:7]
	v_lshlrev_b64 v[10:11], 3, v[8:9]
	v_cmp_ne_u32_e32 vcc_lo, 1, v12
	v_add_co_u32 v10, s0, v14, v10
	v_add_co_ci_u32_e64 v11, null, v15, v11, s0
	s_cbranch_vccnz .LBB486_19
; %bb.18:
	flat_load_dwordx2 v[14:15], v[10:11]
	s_waitcnt vmcnt(0) lgkmcnt(0)
	v_fma_f64 v[6:7], s[36:37], v[14:15], v[6:7]
.LBB486_19:
	flat_store_dwordx2 v[10:11], v[6:7]
.LBB486_20:
	s_or_b32 exec_lo, exec_lo, s1
	v_add_nc_u32_e32 v10, 16, v13
	v_ashrrev_i32_e32 v11, 31, v10
	v_mul_lo_u32 v13, s41, v10
	v_mad_u64_u32 v[6:7], null, s40, v10, 0
	v_cmp_gt_i32_e64 s0, s8, v10
	v_mul_lo_u32 v11, s40, v11
	v_cmp_le_i32_e32 vcc_lo, v0, v10
	v_add3_u32 v7, v7, v11, v13
	v_lshlrev_b64 v[6:7], 3, v[6:7]
	v_add_co_u32 v6, s1, s2, v6
	v_add_co_ci_u32_e64 v7, null, s3, v7, s1
	s_and_b32 s1, s0, vcc_lo
	s_and_saveexec_b32 s2, s1
	s_cbranch_execz .LBB486_24
; %bb.21:
	v_mul_f64 v[4:5], s[14:15], v[4:5]
	v_lshlrev_b64 v[0:1], 3, v[0:1]
	v_cmp_ne_u32_e32 vcc_lo, 1, v12
	v_add_co_u32 v0, s1, v6, v0
	v_add_co_ci_u32_e64 v1, null, v7, v1, s1
	s_cbranch_vccnz .LBB486_23
; %bb.22:
	flat_load_dwordx2 v[13:14], v[0:1]
	s_waitcnt vmcnt(0) lgkmcnt(0)
	v_fma_f64 v[4:5], s[36:37], v[13:14], v[4:5]
.LBB486_23:
	flat_store_dwordx2 v[0:1], v[4:5]
.LBB486_24:
	s_or_b32 exec_lo, exec_lo, s2
	v_cmp_le_i32_e32 vcc_lo, v8, v10
	s_and_b32 s0, s0, vcc_lo
	s_and_saveexec_b32 s1, s0
	s_cbranch_execz .LBB486_28
; %bb.25:
	v_mul_f64 v[0:1], s[14:15], v[2:3]
	v_lshlrev_b64 v[2:3], 3, v[8:9]
	v_cmp_ne_u32_e32 vcc_lo, 1, v12
	v_add_co_u32 v2, s0, v6, v2
	v_add_co_ci_u32_e64 v3, null, v7, v3, s0
	s_cbranch_vccnz .LBB486_27
; %bb.26:
	flat_load_dwordx2 v[4:5], v[2:3]
	s_waitcnt vmcnt(0) lgkmcnt(0)
	v_fma_f64 v[0:1], s[36:37], v[4:5], v[0:1]
.LBB486_27:
	flat_store_dwordx2 v[2:3], v[0:1]
.LBB486_28:
	s_endpgm
	.section	.rodata,"a",@progbits
	.p2align	6, 0x0
	.amdhsa_kernel _ZL29rocblas_internal_gemmt_kernelIlLi16ELi32ELi8ELc78ELc78ELc85ELb0ELb0EddPKPKdPKPdEviT_T9_T10_S7_lS9_S7_lS8_T11_S7_li
		.amdhsa_group_segment_fixed_size 4096
		.amdhsa_private_segment_fixed_size 0
		.amdhsa_kernarg_size 108
		.amdhsa_user_sgpr_count 6
		.amdhsa_user_sgpr_private_segment_buffer 1
		.amdhsa_user_sgpr_dispatch_ptr 0
		.amdhsa_user_sgpr_queue_ptr 0
		.amdhsa_user_sgpr_kernarg_segment_ptr 1
		.amdhsa_user_sgpr_dispatch_id 0
		.amdhsa_user_sgpr_flat_scratch_init 0
		.amdhsa_user_sgpr_private_segment_size 0
		.amdhsa_wavefront_size32 1
		.amdhsa_uses_dynamic_stack 0
		.amdhsa_system_sgpr_private_segment_wavefront_offset 0
		.amdhsa_system_sgpr_workgroup_id_x 1
		.amdhsa_system_sgpr_workgroup_id_y 1
		.amdhsa_system_sgpr_workgroup_id_z 1
		.amdhsa_system_sgpr_workgroup_info 0
		.amdhsa_system_vgpr_workitem_id 1
		.amdhsa_next_free_vgpr 46
		.amdhsa_next_free_sgpr 44
		.amdhsa_reserve_vcc 1
		.amdhsa_reserve_flat_scratch 0
		.amdhsa_float_round_mode_32 0
		.amdhsa_float_round_mode_16_64 0
		.amdhsa_float_denorm_mode_32 3
		.amdhsa_float_denorm_mode_16_64 3
		.amdhsa_dx10_clamp 1
		.amdhsa_ieee_mode 1
		.amdhsa_fp16_overflow 0
		.amdhsa_workgroup_processor_mode 1
		.amdhsa_memory_ordered 1
		.amdhsa_forward_progress 1
		.amdhsa_shared_vgpr_count 0
		.amdhsa_exception_fp_ieee_invalid_op 0
		.amdhsa_exception_fp_denorm_src 0
		.amdhsa_exception_fp_ieee_div_zero 0
		.amdhsa_exception_fp_ieee_overflow 0
		.amdhsa_exception_fp_ieee_underflow 0
		.amdhsa_exception_fp_ieee_inexact 0
		.amdhsa_exception_int_div_zero 0
	.end_amdhsa_kernel
	.section	.text._ZL29rocblas_internal_gemmt_kernelIlLi16ELi32ELi8ELc78ELc78ELc85ELb0ELb0EddPKPKdPKPdEviT_T9_T10_S7_lS9_S7_lS8_T11_S7_li,"axG",@progbits,_ZL29rocblas_internal_gemmt_kernelIlLi16ELi32ELi8ELc78ELc78ELc85ELb0ELb0EddPKPKdPKPdEviT_T9_T10_S7_lS9_S7_lS8_T11_S7_li,comdat
.Lfunc_end486:
	.size	_ZL29rocblas_internal_gemmt_kernelIlLi16ELi32ELi8ELc78ELc78ELc85ELb0ELb0EddPKPKdPKPdEviT_T9_T10_S7_lS9_S7_lS8_T11_S7_li, .Lfunc_end486-_ZL29rocblas_internal_gemmt_kernelIlLi16ELi32ELi8ELc78ELc78ELc85ELb0ELb0EddPKPKdPKPdEviT_T9_T10_S7_lS9_S7_lS8_T11_S7_li
                                        ; -- End function
	.set _ZL29rocblas_internal_gemmt_kernelIlLi16ELi32ELi8ELc78ELc78ELc85ELb0ELb0EddPKPKdPKPdEviT_T9_T10_S7_lS9_S7_lS8_T11_S7_li.num_vgpr, 46
	.set _ZL29rocblas_internal_gemmt_kernelIlLi16ELi32ELi8ELc78ELc78ELc85ELb0ELb0EddPKPKdPKPdEviT_T9_T10_S7_lS9_S7_lS8_T11_S7_li.num_agpr, 0
	.set _ZL29rocblas_internal_gemmt_kernelIlLi16ELi32ELi8ELc78ELc78ELc85ELb0ELb0EddPKPKdPKPdEviT_T9_T10_S7_lS9_S7_lS8_T11_S7_li.numbered_sgpr, 44
	.set _ZL29rocblas_internal_gemmt_kernelIlLi16ELi32ELi8ELc78ELc78ELc85ELb0ELb0EddPKPKdPKPdEviT_T9_T10_S7_lS9_S7_lS8_T11_S7_li.num_named_barrier, 0
	.set _ZL29rocblas_internal_gemmt_kernelIlLi16ELi32ELi8ELc78ELc78ELc85ELb0ELb0EddPKPKdPKPdEviT_T9_T10_S7_lS9_S7_lS8_T11_S7_li.private_seg_size, 0
	.set _ZL29rocblas_internal_gemmt_kernelIlLi16ELi32ELi8ELc78ELc78ELc85ELb0ELb0EddPKPKdPKPdEviT_T9_T10_S7_lS9_S7_lS8_T11_S7_li.uses_vcc, 1
	.set _ZL29rocblas_internal_gemmt_kernelIlLi16ELi32ELi8ELc78ELc78ELc85ELb0ELb0EddPKPKdPKPdEviT_T9_T10_S7_lS9_S7_lS8_T11_S7_li.uses_flat_scratch, 0
	.set _ZL29rocblas_internal_gemmt_kernelIlLi16ELi32ELi8ELc78ELc78ELc85ELb0ELb0EddPKPKdPKPdEviT_T9_T10_S7_lS9_S7_lS8_T11_S7_li.has_dyn_sized_stack, 0
	.set _ZL29rocblas_internal_gemmt_kernelIlLi16ELi32ELi8ELc78ELc78ELc85ELb0ELb0EddPKPKdPKPdEviT_T9_T10_S7_lS9_S7_lS8_T11_S7_li.has_recursion, 0
	.set _ZL29rocblas_internal_gemmt_kernelIlLi16ELi32ELi8ELc78ELc78ELc85ELb0ELb0EddPKPKdPKPdEviT_T9_T10_S7_lS9_S7_lS8_T11_S7_li.has_indirect_call, 0
	.section	.AMDGPU.csdata,"",@progbits
; Kernel info:
; codeLenInByte = 1668
; TotalNumSgprs: 46
; NumVgprs: 46
; ScratchSize: 0
; MemoryBound: 0
; FloatMode: 240
; IeeeMode: 1
; LDSByteSize: 4096 bytes/workgroup (compile time only)
; SGPRBlocks: 0
; VGPRBlocks: 5
; NumSGPRsForWavesPerEU: 46
; NumVGPRsForWavesPerEU: 46
; Occupancy: 16
; WaveLimiterHint : 1
; COMPUTE_PGM_RSRC2:SCRATCH_EN: 0
; COMPUTE_PGM_RSRC2:USER_SGPR: 6
; COMPUTE_PGM_RSRC2:TRAP_HANDLER: 0
; COMPUTE_PGM_RSRC2:TGID_X_EN: 1
; COMPUTE_PGM_RSRC2:TGID_Y_EN: 1
; COMPUTE_PGM_RSRC2:TGID_Z_EN: 1
; COMPUTE_PGM_RSRC2:TIDIG_COMP_CNT: 1
	.section	.text._ZL29rocblas_internal_gemmt_kernelIlLi16ELi32ELi8ELc78ELc84ELc85ELb0ELb0EddPKPKdPKPdEviT_T9_T10_S7_lS9_S7_lS8_T11_S7_li,"axG",@progbits,_ZL29rocblas_internal_gemmt_kernelIlLi16ELi32ELi8ELc78ELc84ELc85ELb0ELb0EddPKPKdPKPdEviT_T9_T10_S7_lS9_S7_lS8_T11_S7_li,comdat
	.globl	_ZL29rocblas_internal_gemmt_kernelIlLi16ELi32ELi8ELc78ELc84ELc85ELb0ELb0EddPKPKdPKPdEviT_T9_T10_S7_lS9_S7_lS8_T11_S7_li ; -- Begin function _ZL29rocblas_internal_gemmt_kernelIlLi16ELi32ELi8ELc78ELc84ELc85ELb0ELb0EddPKPKdPKPdEviT_T9_T10_S7_lS9_S7_lS8_T11_S7_li
	.p2align	8
	.type	_ZL29rocblas_internal_gemmt_kernelIlLi16ELi32ELi8ELc78ELc84ELc85ELb0ELb0EddPKPKdPKPdEviT_T9_T10_S7_lS9_S7_lS8_T11_S7_li,@function
_ZL29rocblas_internal_gemmt_kernelIlLi16ELi32ELi8ELc78ELc84ELc85ELb0ELb0EddPKPKdPKPdEviT_T9_T10_S7_lS9_S7_lS8_T11_S7_li: ; @_ZL29rocblas_internal_gemmt_kernelIlLi16ELi32ELi8ELc78ELc84ELc85ELb0ELb0EddPKPKdPKPdEviT_T9_T10_S7_lS9_S7_lS8_T11_S7_li
; %bb.0:
	s_clause 0x1
	s_load_dwordx8 s[36:43], s[4:5], 0x48
	s_load_dwordx16 s[12:27], s[4:5], 0x8
	s_waitcnt lgkmcnt(0)
	v_cmp_neq_f64_e64 s0, s[36:37], 1.0
	s_and_b32 vcc_lo, exec_lo, s0
	s_cbranch_vccnz .LBB487_2
; %bb.1:
	v_cmp_neq_f64_e64 s0, s[14:15], 0
	s_cmp_lg_u64 s[12:13], 0
	s_cselect_b32 s1, -1, 0
	s_and_b32 s0, s1, s0
.LBB487_2:
	s_andn2_b32 vcc_lo, exec_lo, s0
	s_cbranch_vccnz .LBB487_28
; %bb.3:
	v_cmp_eq_f64_e64 s10, s[14:15], 0
	s_mov_b32 s9, 0
	v_mov_b32_e32 v8, 0
	s_lshl_b64 s[0:1], s[8:9], 3
	v_mov_b32_e32 v6, 0
	s_add_u32 s2, s38, s0
	s_addc_u32 s3, s39, s1
	s_load_dword s8, s[4:5], 0x0
	s_load_dwordx2 s[2:3], s[2:3], 0x0
	v_cmp_lt_i64_e64 s4, s[12:13], 1
	v_mov_b32_e32 v4, 0
	v_mov_b32_e32 v2, 0
	;; [unrolled: 1-line block ×6, first 2 shown]
	s_lshl_b32 s6, s6, 5
	s_lshl_b32 s7, s7, 5
	s_or_b32 s4, s10, s4
	s_and_b32 vcc_lo, exec_lo, s4
	s_cbranch_vccnz .LBB487_12
; %bb.4:
	s_add_u32 s4, s22, s0
	s_addc_u32 s5, s23, s1
	s_lshl_b64 s[10:11], s[26:27], 3
	s_load_dwordx2 s[4:5], s[4:5], 0x0
	v_lshl_add_u32 v11, v1, 4, v0
	v_and_b32_e32 v16, 7, v0
	v_mov_b32_e32 v2, 0
	v_mov_b32_e32 v4, 0
	;; [unrolled: 1-line block ×3, first 2 shown]
	v_lshrrev_b32_e32 v13, 3, v11
	v_and_b32_e32 v14, 31, v11
	v_lshlrev_b32_e32 v15, 3, v16
	v_lshrrev_b32_e32 v19, 5, v11
	v_mov_b32_e32 v8, 0
	v_add_nc_u32_e32 v10, s7, v13
	v_or_b32_e32 v12, s6, v14
	v_lshlrev_b32_e32 v14, 3, v14
	v_lshl_or_b32 v21, v13, 6, v15
	v_lshlrev_b32_e32 v17, 3, v0
	v_ashrrev_i32_e32 v11, 31, v10
	v_ashrrev_i32_e32 v13, 31, v12
	v_lshl_or_b32 v20, v19, 8, v14
	v_lshl_add_u32 v18, v1, 6, 0x800
	s_waitcnt lgkmcnt(0)
	s_add_u32 s9, s4, s10
	s_addc_u32 s22, s5, s11
	s_add_u32 s0, s16, s0
	s_addc_u32 s1, s17, s1
	v_lshlrev_b64 v[14:15], 3, v[10:11]
	s_load_dwordx2 s[4:5], s[0:1], 0x0
	v_cmp_gt_i32_e64 s1, s8, v10
	v_lshlrev_b64 v[10:11], 3, v[12:13]
	s_lshl_b64 s[10:11], s[20:21], 3
	v_mov_b32_e32 v3, 0
	v_add_co_u32 v22, vcc_lo, s9, v14
	v_add_co_ci_u32_e64 v23, null, s22, v15, vcc_lo
	v_mov_b32_e32 v5, 0
	v_mov_b32_e32 v7, 0
	v_mov_b32_e32 v9, 0
	v_cmp_gt_i32_e64 s0, s8, v12
	v_add_nc_u32_e32 v21, 0x800, v21
	s_waitcnt lgkmcnt(0)
	s_add_u32 s4, s4, s10
	s_addc_u32 s5, s5, s11
	v_add_co_u32 v24, vcc_lo, s4, v10
	v_add_co_ci_u32_e64 v25, null, s5, v11, vcc_lo
	v_mov_b32_e32 v11, 0
	s_mov_b64 s[4:5], 0
	s_branch .LBB487_6
.LBB487_5:                              ;   in Loop: Header=BB487_6 Depth=1
	s_or_b32 exec_lo, exec_lo, s9
	s_waitcnt vmcnt(0) lgkmcnt(0)
	ds_write_b64 v21, v[14:15]
	s_waitcnt lgkmcnt(0)
	s_barrier
	buffer_gl0_inv
	ds_read_b128 v[12:15], v18
	ds_read2_b64 v[26:29], v17 offset1:16
	ds_read_b128 v[30:33], v18 offset:1024
	ds_read_b128 v[34:37], v18 offset:16
	ds_read2_b64 v[38:41], v17 offset0:32 offset1:48
	ds_read_b128 v[42:45], v18 offset:1040
	s_add_u32 s4, s4, 8
	s_addc_u32 s5, s5, 0
	v_cmp_gt_i64_e64 s9, s[12:13], s[4:5]
	s_and_b32 vcc_lo, exec_lo, s9
	s_waitcnt lgkmcnt(4)
	v_fma_f64 v[8:9], v[26:27], v[12:13], v[8:9]
	v_fma_f64 v[6:7], v[28:29], v[12:13], v[6:7]
	s_waitcnt lgkmcnt(3)
	v_fma_f64 v[12:13], v[26:27], v[30:31], v[4:5]
	v_fma_f64 v[26:27], v[28:29], v[30:31], v[2:3]
	ds_read2_b64 v[2:5], v17 offset0:64 offset1:80
	s_waitcnt lgkmcnt(2)
	v_fma_f64 v[28:29], v[38:39], v[14:15], v[8:9]
	v_fma_f64 v[14:15], v[40:41], v[14:15], v[6:7]
	;; [unrolled: 1-line block ×4, first 2 shown]
	ds_read2_b64 v[6:9], v17 offset0:96 offset1:112
	s_waitcnt lgkmcnt(1)
	v_fma_f64 v[28:29], v[2:3], v[34:35], v[28:29]
	v_fma_f64 v[30:31], v[4:5], v[34:35], v[14:15]
	;; [unrolled: 1-line block ×4, first 2 shown]
	ds_read_b128 v[2:5], v18 offset:32
	ds_read2_b64 v[12:15], v17 offset0:128 offset1:144
	s_waitcnt lgkmcnt(2)
	v_fma_f64 v[38:39], v[6:7], v[36:37], v[28:29]
	v_fma_f64 v[40:41], v[8:9], v[36:37], v[30:31]
	;; [unrolled: 1-line block ×4, first 2 shown]
	ds_read_b128 v[6:9], v18 offset:1056
	ds_read_b128 v[26:29], v18 offset:48
	ds_read2_b64 v[30:33], v17 offset0:160 offset1:176
	ds_read_b128 v[34:37], v18 offset:1072
	s_waitcnt lgkmcnt(4)
	v_fma_f64 v[38:39], v[12:13], v[2:3], v[38:39]
	v_fma_f64 v[2:3], v[14:15], v[2:3], v[40:41]
	s_waitcnt lgkmcnt(3)
	v_fma_f64 v[40:41], v[12:13], v[6:7], v[42:43]
	v_fma_f64 v[6:7], v[14:15], v[6:7], v[44:45]
	ds_read2_b64 v[12:15], v17 offset0:192 offset1:208
	s_waitcnt lgkmcnt(2)
	v_fma_f64 v[38:39], v[30:31], v[4:5], v[38:39]
	v_fma_f64 v[2:3], v[32:33], v[4:5], v[2:3]
	v_fma_f64 v[4:5], v[30:31], v[8:9], v[40:41]
	v_fma_f64 v[6:7], v[32:33], v[8:9], v[6:7]
	ds_read2_b64 v[30:33], v17 offset0:224 offset1:240
	s_waitcnt lgkmcnt(0)
	s_barrier
	buffer_gl0_inv
	v_fma_f64 v[8:9], v[12:13], v[26:27], v[38:39]
	v_fma_f64 v[2:3], v[14:15], v[26:27], v[2:3]
	;; [unrolled: 1-line block ×8, first 2 shown]
	s_cbranch_vccz .LBB487_12
.LBB487_6:                              ; =>This Inner Loop Header: Depth=1
	v_mov_b32_e32 v12, 0
	v_mov_b32_e32 v13, 0
	s_and_saveexec_b32 s9, s0
	s_cbranch_execz .LBB487_10
; %bb.7:                                ;   in Loop: Header=BB487_6 Depth=1
	v_mov_b32_e32 v12, 0
	v_add_nc_u32_e32 v10, s4, v19
	v_mov_b32_e32 v13, 0
	s_mov_b32 s10, exec_lo
	v_cmpx_gt_u64_e64 s[12:13], v[10:11]
	s_cbranch_execz .LBB487_9
; %bb.8:                                ;   in Loop: Header=BB487_6 Depth=1
	v_mad_u64_u32 v[12:13], null, s18, v10, 0
	v_mad_u64_u32 v[13:14], null, s19, v10, v[13:14]
	v_lshlrev_b64 v[12:13], 3, v[12:13]
	v_add_co_u32 v12, vcc_lo, v24, v12
	v_add_co_ci_u32_e64 v13, null, v25, v13, vcc_lo
	flat_load_dwordx2 v[12:13], v[12:13]
.LBB487_9:                              ;   in Loop: Header=BB487_6 Depth=1
	s_or_b32 exec_lo, exec_lo, s10
.LBB487_10:                             ;   in Loop: Header=BB487_6 Depth=1
	s_or_b32 exec_lo, exec_lo, s9
	v_add_nc_u32_e32 v10, s4, v16
	v_mov_b32_e32 v14, 0
	v_mov_b32_e32 v15, 0
	s_waitcnt vmcnt(0) lgkmcnt(0)
	ds_write_b64 v20, v[12:13]
	v_cmp_gt_u64_e32 vcc_lo, s[12:13], v[10:11]
	s_and_b32 s10, vcc_lo, s1
	s_and_saveexec_b32 s9, s10
	s_cbranch_execz .LBB487_5
; %bb.11:                               ;   in Loop: Header=BB487_6 Depth=1
	v_mad_u64_u32 v[12:13], null, s24, v10, 0
	v_mad_u64_u32 v[13:14], null, s25, v10, v[13:14]
	v_lshlrev_b64 v[12:13], 3, v[12:13]
	v_add_co_u32 v12, vcc_lo, v22, v12
	v_add_co_ci_u32_e64 v13, null, v23, v13, vcc_lo
	flat_load_dwordx2 v[14:15], v[12:13]
	s_branch .LBB487_5
.LBB487_12:
	v_add_nc_u32_e32 v13, s7, v1
	v_cmp_neq_f64_e64 s4, s[36:37], 0
	v_add_nc_u32_e32 v0, s6, v0
	s_lshl_b64 s[0:1], s[42:43], 3
	s_waitcnt lgkmcnt(0)
	s_add_u32 s2, s2, s0
	v_ashrrev_i32_e32 v1, 31, v13
	v_mul_lo_u32 v12, s41, v13
	v_mad_u64_u32 v[10:11], null, s40, v13, 0
	s_addc_u32 s3, s3, s1
	v_mul_lo_u32 v1, s40, v1
	v_cmp_gt_i32_e64 s0, s8, v13
	v_cmp_le_i32_e32 vcc_lo, v0, v13
	s_and_b32 s5, s0, vcc_lo
	v_add3_u32 v11, v11, v1, v12
	v_ashrrev_i32_e32 v1, 31, v0
	v_cndmask_b32_e64 v12, 0, 1, s4
	v_lshlrev_b64 v[10:11], 3, v[10:11]
	v_add_co_u32 v14, s1, s2, v10
	v_add_co_ci_u32_e64 v15, null, s3, v11, s1
	s_and_saveexec_b32 s1, s5
	s_cbranch_execz .LBB487_16
; %bb.13:
	v_mul_f64 v[8:9], s[14:15], v[8:9]
	v_lshlrev_b64 v[10:11], 3, v[0:1]
	v_add_co_u32 v10, vcc_lo, v14, v10
	v_add_co_ci_u32_e64 v11, null, v15, v11, vcc_lo
	s_andn2_b32 vcc_lo, exec_lo, s4
	s_cbranch_vccnz .LBB487_15
; %bb.14:
	flat_load_dwordx2 v[16:17], v[10:11]
	s_waitcnt vmcnt(0) lgkmcnt(0)
	v_fma_f64 v[8:9], s[36:37], v[16:17], v[8:9]
.LBB487_15:
	flat_store_dwordx2 v[10:11], v[8:9]
.LBB487_16:
	s_or_b32 exec_lo, exec_lo, s1
	v_add_nc_u32_e32 v8, 16, v0
	v_cmp_le_i32_e32 vcc_lo, v8, v13
	v_ashrrev_i32_e32 v9, 31, v8
	s_and_b32 s0, s0, vcc_lo
	s_and_saveexec_b32 s1, s0
	s_cbranch_execz .LBB487_20
; %bb.17:
	v_mul_f64 v[6:7], s[14:15], v[6:7]
	v_lshlrev_b64 v[10:11], 3, v[8:9]
	v_cmp_ne_u32_e32 vcc_lo, 1, v12
	v_add_co_u32 v10, s0, v14, v10
	v_add_co_ci_u32_e64 v11, null, v15, v11, s0
	s_cbranch_vccnz .LBB487_19
; %bb.18:
	flat_load_dwordx2 v[14:15], v[10:11]
	s_waitcnt vmcnt(0) lgkmcnt(0)
	v_fma_f64 v[6:7], s[36:37], v[14:15], v[6:7]
.LBB487_19:
	flat_store_dwordx2 v[10:11], v[6:7]
.LBB487_20:
	s_or_b32 exec_lo, exec_lo, s1
	v_add_nc_u32_e32 v10, 16, v13
	v_ashrrev_i32_e32 v11, 31, v10
	v_mul_lo_u32 v13, s41, v10
	v_mad_u64_u32 v[6:7], null, s40, v10, 0
	v_cmp_gt_i32_e64 s0, s8, v10
	v_mul_lo_u32 v11, s40, v11
	v_cmp_le_i32_e32 vcc_lo, v0, v10
	v_add3_u32 v7, v7, v11, v13
	v_lshlrev_b64 v[6:7], 3, v[6:7]
	v_add_co_u32 v6, s1, s2, v6
	v_add_co_ci_u32_e64 v7, null, s3, v7, s1
	s_and_b32 s1, s0, vcc_lo
	s_and_saveexec_b32 s2, s1
	s_cbranch_execz .LBB487_24
; %bb.21:
	v_mul_f64 v[4:5], s[14:15], v[4:5]
	v_lshlrev_b64 v[0:1], 3, v[0:1]
	v_cmp_ne_u32_e32 vcc_lo, 1, v12
	v_add_co_u32 v0, s1, v6, v0
	v_add_co_ci_u32_e64 v1, null, v7, v1, s1
	s_cbranch_vccnz .LBB487_23
; %bb.22:
	flat_load_dwordx2 v[13:14], v[0:1]
	s_waitcnt vmcnt(0) lgkmcnt(0)
	v_fma_f64 v[4:5], s[36:37], v[13:14], v[4:5]
.LBB487_23:
	flat_store_dwordx2 v[0:1], v[4:5]
.LBB487_24:
	s_or_b32 exec_lo, exec_lo, s2
	v_cmp_le_i32_e32 vcc_lo, v8, v10
	s_and_b32 s0, s0, vcc_lo
	s_and_saveexec_b32 s1, s0
	s_cbranch_execz .LBB487_28
; %bb.25:
	v_mul_f64 v[0:1], s[14:15], v[2:3]
	v_lshlrev_b64 v[2:3], 3, v[8:9]
	v_cmp_ne_u32_e32 vcc_lo, 1, v12
	v_add_co_u32 v2, s0, v6, v2
	v_add_co_ci_u32_e64 v3, null, v7, v3, s0
	s_cbranch_vccnz .LBB487_27
; %bb.26:
	flat_load_dwordx2 v[4:5], v[2:3]
	s_waitcnt vmcnt(0) lgkmcnt(0)
	v_fma_f64 v[0:1], s[36:37], v[4:5], v[0:1]
.LBB487_27:
	flat_store_dwordx2 v[2:3], v[0:1]
.LBB487_28:
	s_endpgm
	.section	.rodata,"a",@progbits
	.p2align	6, 0x0
	.amdhsa_kernel _ZL29rocblas_internal_gemmt_kernelIlLi16ELi32ELi8ELc78ELc84ELc85ELb0ELb0EddPKPKdPKPdEviT_T9_T10_S7_lS9_S7_lS8_T11_S7_li
		.amdhsa_group_segment_fixed_size 4096
		.amdhsa_private_segment_fixed_size 0
		.amdhsa_kernarg_size 108
		.amdhsa_user_sgpr_count 6
		.amdhsa_user_sgpr_private_segment_buffer 1
		.amdhsa_user_sgpr_dispatch_ptr 0
		.amdhsa_user_sgpr_queue_ptr 0
		.amdhsa_user_sgpr_kernarg_segment_ptr 1
		.amdhsa_user_sgpr_dispatch_id 0
		.amdhsa_user_sgpr_flat_scratch_init 0
		.amdhsa_user_sgpr_private_segment_size 0
		.amdhsa_wavefront_size32 1
		.amdhsa_uses_dynamic_stack 0
		.amdhsa_system_sgpr_private_segment_wavefront_offset 0
		.amdhsa_system_sgpr_workgroup_id_x 1
		.amdhsa_system_sgpr_workgroup_id_y 1
		.amdhsa_system_sgpr_workgroup_id_z 1
		.amdhsa_system_sgpr_workgroup_info 0
		.amdhsa_system_vgpr_workitem_id 1
		.amdhsa_next_free_vgpr 46
		.amdhsa_next_free_sgpr 44
		.amdhsa_reserve_vcc 1
		.amdhsa_reserve_flat_scratch 0
		.amdhsa_float_round_mode_32 0
		.amdhsa_float_round_mode_16_64 0
		.amdhsa_float_denorm_mode_32 3
		.amdhsa_float_denorm_mode_16_64 3
		.amdhsa_dx10_clamp 1
		.amdhsa_ieee_mode 1
		.amdhsa_fp16_overflow 0
		.amdhsa_workgroup_processor_mode 1
		.amdhsa_memory_ordered 1
		.amdhsa_forward_progress 1
		.amdhsa_shared_vgpr_count 0
		.amdhsa_exception_fp_ieee_invalid_op 0
		.amdhsa_exception_fp_denorm_src 0
		.amdhsa_exception_fp_ieee_div_zero 0
		.amdhsa_exception_fp_ieee_overflow 0
		.amdhsa_exception_fp_ieee_underflow 0
		.amdhsa_exception_fp_ieee_inexact 0
		.amdhsa_exception_int_div_zero 0
	.end_amdhsa_kernel
	.section	.text._ZL29rocblas_internal_gemmt_kernelIlLi16ELi32ELi8ELc78ELc84ELc85ELb0ELb0EddPKPKdPKPdEviT_T9_T10_S7_lS9_S7_lS8_T11_S7_li,"axG",@progbits,_ZL29rocblas_internal_gemmt_kernelIlLi16ELi32ELi8ELc78ELc84ELc85ELb0ELb0EddPKPKdPKPdEviT_T9_T10_S7_lS9_S7_lS8_T11_S7_li,comdat
.Lfunc_end487:
	.size	_ZL29rocblas_internal_gemmt_kernelIlLi16ELi32ELi8ELc78ELc84ELc85ELb0ELb0EddPKPKdPKPdEviT_T9_T10_S7_lS9_S7_lS8_T11_S7_li, .Lfunc_end487-_ZL29rocblas_internal_gemmt_kernelIlLi16ELi32ELi8ELc78ELc84ELc85ELb0ELb0EddPKPKdPKPdEviT_T9_T10_S7_lS9_S7_lS8_T11_S7_li
                                        ; -- End function
	.set _ZL29rocblas_internal_gemmt_kernelIlLi16ELi32ELi8ELc78ELc84ELc85ELb0ELb0EddPKPKdPKPdEviT_T9_T10_S7_lS9_S7_lS8_T11_S7_li.num_vgpr, 46
	.set _ZL29rocblas_internal_gemmt_kernelIlLi16ELi32ELi8ELc78ELc84ELc85ELb0ELb0EddPKPKdPKPdEviT_T9_T10_S7_lS9_S7_lS8_T11_S7_li.num_agpr, 0
	.set _ZL29rocblas_internal_gemmt_kernelIlLi16ELi32ELi8ELc78ELc84ELc85ELb0ELb0EddPKPKdPKPdEviT_T9_T10_S7_lS9_S7_lS8_T11_S7_li.numbered_sgpr, 44
	.set _ZL29rocblas_internal_gemmt_kernelIlLi16ELi32ELi8ELc78ELc84ELc85ELb0ELb0EddPKPKdPKPdEviT_T9_T10_S7_lS9_S7_lS8_T11_S7_li.num_named_barrier, 0
	.set _ZL29rocblas_internal_gemmt_kernelIlLi16ELi32ELi8ELc78ELc84ELc85ELb0ELb0EddPKPKdPKPdEviT_T9_T10_S7_lS9_S7_lS8_T11_S7_li.private_seg_size, 0
	.set _ZL29rocblas_internal_gemmt_kernelIlLi16ELi32ELi8ELc78ELc84ELc85ELb0ELb0EddPKPKdPKPdEviT_T9_T10_S7_lS9_S7_lS8_T11_S7_li.uses_vcc, 1
	.set _ZL29rocblas_internal_gemmt_kernelIlLi16ELi32ELi8ELc78ELc84ELc85ELb0ELb0EddPKPKdPKPdEviT_T9_T10_S7_lS9_S7_lS8_T11_S7_li.uses_flat_scratch, 0
	.set _ZL29rocblas_internal_gemmt_kernelIlLi16ELi32ELi8ELc78ELc84ELc85ELb0ELb0EddPKPKdPKPdEviT_T9_T10_S7_lS9_S7_lS8_T11_S7_li.has_dyn_sized_stack, 0
	.set _ZL29rocblas_internal_gemmt_kernelIlLi16ELi32ELi8ELc78ELc84ELc85ELb0ELb0EddPKPKdPKPdEviT_T9_T10_S7_lS9_S7_lS8_T11_S7_li.has_recursion, 0
	.set _ZL29rocblas_internal_gemmt_kernelIlLi16ELi32ELi8ELc78ELc84ELc85ELb0ELb0EddPKPKdPKPdEviT_T9_T10_S7_lS9_S7_lS8_T11_S7_li.has_indirect_call, 0
	.section	.AMDGPU.csdata,"",@progbits
; Kernel info:
; codeLenInByte = 1652
; TotalNumSgprs: 46
; NumVgprs: 46
; ScratchSize: 0
; MemoryBound: 0
; FloatMode: 240
; IeeeMode: 1
; LDSByteSize: 4096 bytes/workgroup (compile time only)
; SGPRBlocks: 0
; VGPRBlocks: 5
; NumSGPRsForWavesPerEU: 46
; NumVGPRsForWavesPerEU: 46
; Occupancy: 16
; WaveLimiterHint : 1
; COMPUTE_PGM_RSRC2:SCRATCH_EN: 0
; COMPUTE_PGM_RSRC2:USER_SGPR: 6
; COMPUTE_PGM_RSRC2:TRAP_HANDLER: 0
; COMPUTE_PGM_RSRC2:TGID_X_EN: 1
; COMPUTE_PGM_RSRC2:TGID_Y_EN: 1
; COMPUTE_PGM_RSRC2:TGID_Z_EN: 1
; COMPUTE_PGM_RSRC2:TIDIG_COMP_CNT: 1
	.section	.text._ZL29rocblas_internal_gemmt_kernelIlLi16ELi32ELi8ELc78ELc67ELc85ELb0ELb0EddPKPKdPKPdEviT_T9_T10_S7_lS9_S7_lS8_T11_S7_li,"axG",@progbits,_ZL29rocblas_internal_gemmt_kernelIlLi16ELi32ELi8ELc78ELc67ELc85ELb0ELb0EddPKPKdPKPdEviT_T9_T10_S7_lS9_S7_lS8_T11_S7_li,comdat
	.globl	_ZL29rocblas_internal_gemmt_kernelIlLi16ELi32ELi8ELc78ELc67ELc85ELb0ELb0EddPKPKdPKPdEviT_T9_T10_S7_lS9_S7_lS8_T11_S7_li ; -- Begin function _ZL29rocblas_internal_gemmt_kernelIlLi16ELi32ELi8ELc78ELc67ELc85ELb0ELb0EddPKPKdPKPdEviT_T9_T10_S7_lS9_S7_lS8_T11_S7_li
	.p2align	8
	.type	_ZL29rocblas_internal_gemmt_kernelIlLi16ELi32ELi8ELc78ELc67ELc85ELb0ELb0EddPKPKdPKPdEviT_T9_T10_S7_lS9_S7_lS8_T11_S7_li,@function
_ZL29rocblas_internal_gemmt_kernelIlLi16ELi32ELi8ELc78ELc67ELc85ELb0ELb0EddPKPKdPKPdEviT_T9_T10_S7_lS9_S7_lS8_T11_S7_li: ; @_ZL29rocblas_internal_gemmt_kernelIlLi16ELi32ELi8ELc78ELc67ELc85ELb0ELb0EddPKPKdPKPdEviT_T9_T10_S7_lS9_S7_lS8_T11_S7_li
; %bb.0:
	s_clause 0x1
	s_load_dwordx8 s[36:43], s[4:5], 0x48
	s_load_dwordx16 s[12:27], s[4:5], 0x8
	s_waitcnt lgkmcnt(0)
	v_cmp_neq_f64_e64 s0, s[36:37], 1.0
	s_and_b32 vcc_lo, exec_lo, s0
	s_cbranch_vccnz .LBB488_2
; %bb.1:
	v_cmp_neq_f64_e64 s0, s[14:15], 0
	s_cmp_lg_u64 s[12:13], 0
	s_cselect_b32 s1, -1, 0
	s_and_b32 s0, s1, s0
.LBB488_2:
	s_andn2_b32 vcc_lo, exec_lo, s0
	s_cbranch_vccnz .LBB488_28
; %bb.3:
	v_cmp_eq_f64_e64 s10, s[14:15], 0
	s_mov_b32 s9, 0
	v_mov_b32_e32 v8, 0
	s_lshl_b64 s[0:1], s[8:9], 3
	v_mov_b32_e32 v6, 0
	s_add_u32 s2, s38, s0
	s_addc_u32 s3, s39, s1
	s_load_dword s8, s[4:5], 0x0
	s_load_dwordx2 s[2:3], s[2:3], 0x0
	v_cmp_lt_i64_e64 s4, s[12:13], 1
	v_mov_b32_e32 v4, 0
	v_mov_b32_e32 v2, 0
	;; [unrolled: 1-line block ×6, first 2 shown]
	s_lshl_b32 s6, s6, 5
	s_lshl_b32 s7, s7, 5
	s_or_b32 s4, s10, s4
	s_and_b32 vcc_lo, exec_lo, s4
	s_cbranch_vccnz .LBB488_12
; %bb.4:
	s_add_u32 s4, s22, s0
	s_addc_u32 s5, s23, s1
	s_lshl_b64 s[10:11], s[26:27], 3
	s_load_dwordx2 s[4:5], s[4:5], 0x0
	v_lshl_add_u32 v11, v1, 4, v0
	v_and_b32_e32 v16, 7, v0
	v_mov_b32_e32 v2, 0
	v_mov_b32_e32 v4, 0
	;; [unrolled: 1-line block ×3, first 2 shown]
	v_lshrrev_b32_e32 v13, 3, v11
	v_and_b32_e32 v14, 31, v11
	v_lshlrev_b32_e32 v15, 3, v16
	v_lshrrev_b32_e32 v19, 5, v11
	v_mov_b32_e32 v8, 0
	v_add_nc_u32_e32 v10, s7, v13
	v_or_b32_e32 v12, s6, v14
	v_lshlrev_b32_e32 v14, 3, v14
	v_lshl_or_b32 v21, v13, 6, v15
	v_lshlrev_b32_e32 v17, 3, v0
	v_ashrrev_i32_e32 v11, 31, v10
	v_ashrrev_i32_e32 v13, 31, v12
	v_lshl_or_b32 v20, v19, 8, v14
	v_lshl_add_u32 v18, v1, 6, 0x800
	s_waitcnt lgkmcnt(0)
	s_add_u32 s9, s4, s10
	s_addc_u32 s22, s5, s11
	s_add_u32 s0, s16, s0
	s_addc_u32 s1, s17, s1
	v_lshlrev_b64 v[14:15], 3, v[10:11]
	s_load_dwordx2 s[4:5], s[0:1], 0x0
	v_cmp_gt_i32_e64 s1, s8, v10
	v_lshlrev_b64 v[10:11], 3, v[12:13]
	s_lshl_b64 s[10:11], s[20:21], 3
	v_mov_b32_e32 v3, 0
	v_add_co_u32 v22, vcc_lo, s9, v14
	v_add_co_ci_u32_e64 v23, null, s22, v15, vcc_lo
	v_mov_b32_e32 v5, 0
	v_mov_b32_e32 v7, 0
	;; [unrolled: 1-line block ×3, first 2 shown]
	v_cmp_gt_i32_e64 s0, s8, v12
	v_add_nc_u32_e32 v21, 0x800, v21
	s_waitcnt lgkmcnt(0)
	s_add_u32 s4, s4, s10
	s_addc_u32 s5, s5, s11
	v_add_co_u32 v24, vcc_lo, s4, v10
	v_add_co_ci_u32_e64 v25, null, s5, v11, vcc_lo
	v_mov_b32_e32 v11, 0
	s_mov_b64 s[4:5], 0
	s_branch .LBB488_6
.LBB488_5:                              ;   in Loop: Header=BB488_6 Depth=1
	s_or_b32 exec_lo, exec_lo, s9
	s_waitcnt vmcnt(0) lgkmcnt(0)
	ds_write_b64 v21, v[14:15]
	s_waitcnt lgkmcnt(0)
	s_barrier
	buffer_gl0_inv
	ds_read_b128 v[12:15], v18
	ds_read2_b64 v[26:29], v17 offset1:16
	ds_read_b128 v[30:33], v18 offset:1024
	ds_read_b128 v[34:37], v18 offset:16
	ds_read2_b64 v[38:41], v17 offset0:32 offset1:48
	ds_read_b128 v[42:45], v18 offset:1040
	s_add_u32 s4, s4, 8
	s_addc_u32 s5, s5, 0
	v_cmp_gt_i64_e64 s9, s[12:13], s[4:5]
	s_and_b32 vcc_lo, exec_lo, s9
	s_waitcnt lgkmcnt(4)
	v_fma_f64 v[8:9], v[26:27], v[12:13], v[8:9]
	v_fma_f64 v[6:7], v[28:29], v[12:13], v[6:7]
	s_waitcnt lgkmcnt(3)
	v_fma_f64 v[12:13], v[26:27], v[30:31], v[4:5]
	v_fma_f64 v[26:27], v[28:29], v[30:31], v[2:3]
	ds_read2_b64 v[2:5], v17 offset0:64 offset1:80
	s_waitcnt lgkmcnt(2)
	v_fma_f64 v[28:29], v[38:39], v[14:15], v[8:9]
	v_fma_f64 v[14:15], v[40:41], v[14:15], v[6:7]
	v_fma_f64 v[12:13], v[38:39], v[32:33], v[12:13]
	v_fma_f64 v[26:27], v[40:41], v[32:33], v[26:27]
	ds_read2_b64 v[6:9], v17 offset0:96 offset1:112
	s_waitcnt lgkmcnt(1)
	v_fma_f64 v[28:29], v[2:3], v[34:35], v[28:29]
	v_fma_f64 v[30:31], v[4:5], v[34:35], v[14:15]
	;; [unrolled: 1-line block ×4, first 2 shown]
	ds_read_b128 v[2:5], v18 offset:32
	ds_read2_b64 v[12:15], v17 offset0:128 offset1:144
	s_waitcnt lgkmcnt(2)
	v_fma_f64 v[38:39], v[6:7], v[36:37], v[28:29]
	v_fma_f64 v[40:41], v[8:9], v[36:37], v[30:31]
	;; [unrolled: 1-line block ×4, first 2 shown]
	ds_read_b128 v[6:9], v18 offset:1056
	ds_read_b128 v[26:29], v18 offset:48
	ds_read2_b64 v[30:33], v17 offset0:160 offset1:176
	ds_read_b128 v[34:37], v18 offset:1072
	s_waitcnt lgkmcnt(4)
	v_fma_f64 v[38:39], v[12:13], v[2:3], v[38:39]
	v_fma_f64 v[2:3], v[14:15], v[2:3], v[40:41]
	s_waitcnt lgkmcnt(3)
	v_fma_f64 v[40:41], v[12:13], v[6:7], v[42:43]
	v_fma_f64 v[6:7], v[14:15], v[6:7], v[44:45]
	ds_read2_b64 v[12:15], v17 offset0:192 offset1:208
	s_waitcnt lgkmcnt(2)
	v_fma_f64 v[38:39], v[30:31], v[4:5], v[38:39]
	v_fma_f64 v[2:3], v[32:33], v[4:5], v[2:3]
	;; [unrolled: 1-line block ×4, first 2 shown]
	ds_read2_b64 v[30:33], v17 offset0:224 offset1:240
	s_waitcnt lgkmcnt(0)
	s_barrier
	buffer_gl0_inv
	v_fma_f64 v[8:9], v[12:13], v[26:27], v[38:39]
	v_fma_f64 v[2:3], v[14:15], v[26:27], v[2:3]
	;; [unrolled: 1-line block ×8, first 2 shown]
	s_cbranch_vccz .LBB488_12
.LBB488_6:                              ; =>This Inner Loop Header: Depth=1
	v_mov_b32_e32 v12, 0
	v_mov_b32_e32 v13, 0
	s_and_saveexec_b32 s9, s0
	s_cbranch_execz .LBB488_10
; %bb.7:                                ;   in Loop: Header=BB488_6 Depth=1
	v_mov_b32_e32 v12, 0
	v_add_nc_u32_e32 v10, s4, v19
	v_mov_b32_e32 v13, 0
	s_mov_b32 s10, exec_lo
	v_cmpx_gt_u64_e64 s[12:13], v[10:11]
	s_cbranch_execz .LBB488_9
; %bb.8:                                ;   in Loop: Header=BB488_6 Depth=1
	v_mad_u64_u32 v[12:13], null, s18, v10, 0
	v_mad_u64_u32 v[13:14], null, s19, v10, v[13:14]
	v_lshlrev_b64 v[12:13], 3, v[12:13]
	v_add_co_u32 v12, vcc_lo, v24, v12
	v_add_co_ci_u32_e64 v13, null, v25, v13, vcc_lo
	flat_load_dwordx2 v[12:13], v[12:13]
.LBB488_9:                              ;   in Loop: Header=BB488_6 Depth=1
	s_or_b32 exec_lo, exec_lo, s10
.LBB488_10:                             ;   in Loop: Header=BB488_6 Depth=1
	s_or_b32 exec_lo, exec_lo, s9
	v_add_nc_u32_e32 v10, s4, v16
	v_mov_b32_e32 v14, 0
	v_mov_b32_e32 v15, 0
	s_waitcnt vmcnt(0) lgkmcnt(0)
	ds_write_b64 v20, v[12:13]
	v_cmp_gt_u64_e32 vcc_lo, s[12:13], v[10:11]
	s_and_b32 s10, vcc_lo, s1
	s_and_saveexec_b32 s9, s10
	s_cbranch_execz .LBB488_5
; %bb.11:                               ;   in Loop: Header=BB488_6 Depth=1
	v_mad_u64_u32 v[12:13], null, s24, v10, 0
	v_mad_u64_u32 v[13:14], null, s25, v10, v[13:14]
	v_lshlrev_b64 v[12:13], 3, v[12:13]
	v_add_co_u32 v12, vcc_lo, v22, v12
	v_add_co_ci_u32_e64 v13, null, v23, v13, vcc_lo
	flat_load_dwordx2 v[14:15], v[12:13]
	s_branch .LBB488_5
.LBB488_12:
	v_add_nc_u32_e32 v13, s7, v1
	v_cmp_neq_f64_e64 s4, s[36:37], 0
	v_add_nc_u32_e32 v0, s6, v0
	s_lshl_b64 s[0:1], s[42:43], 3
	s_waitcnt lgkmcnt(0)
	s_add_u32 s2, s2, s0
	v_ashrrev_i32_e32 v1, 31, v13
	v_mul_lo_u32 v12, s41, v13
	v_mad_u64_u32 v[10:11], null, s40, v13, 0
	s_addc_u32 s3, s3, s1
	v_mul_lo_u32 v1, s40, v1
	v_cmp_gt_i32_e64 s0, s8, v13
	v_cmp_le_i32_e32 vcc_lo, v0, v13
	s_and_b32 s5, s0, vcc_lo
	v_add3_u32 v11, v11, v1, v12
	v_ashrrev_i32_e32 v1, 31, v0
	v_cndmask_b32_e64 v12, 0, 1, s4
	v_lshlrev_b64 v[10:11], 3, v[10:11]
	v_add_co_u32 v14, s1, s2, v10
	v_add_co_ci_u32_e64 v15, null, s3, v11, s1
	s_and_saveexec_b32 s1, s5
	s_cbranch_execz .LBB488_16
; %bb.13:
	v_mul_f64 v[8:9], s[14:15], v[8:9]
	v_lshlrev_b64 v[10:11], 3, v[0:1]
	v_add_co_u32 v10, vcc_lo, v14, v10
	v_add_co_ci_u32_e64 v11, null, v15, v11, vcc_lo
	s_andn2_b32 vcc_lo, exec_lo, s4
	s_cbranch_vccnz .LBB488_15
; %bb.14:
	flat_load_dwordx2 v[16:17], v[10:11]
	s_waitcnt vmcnt(0) lgkmcnt(0)
	v_fma_f64 v[8:9], s[36:37], v[16:17], v[8:9]
.LBB488_15:
	flat_store_dwordx2 v[10:11], v[8:9]
.LBB488_16:
	s_or_b32 exec_lo, exec_lo, s1
	v_add_nc_u32_e32 v8, 16, v0
	v_cmp_le_i32_e32 vcc_lo, v8, v13
	v_ashrrev_i32_e32 v9, 31, v8
	s_and_b32 s0, s0, vcc_lo
	s_and_saveexec_b32 s1, s0
	s_cbranch_execz .LBB488_20
; %bb.17:
	v_mul_f64 v[6:7], s[14:15], v[6:7]
	v_lshlrev_b64 v[10:11], 3, v[8:9]
	v_cmp_ne_u32_e32 vcc_lo, 1, v12
	v_add_co_u32 v10, s0, v14, v10
	v_add_co_ci_u32_e64 v11, null, v15, v11, s0
	s_cbranch_vccnz .LBB488_19
; %bb.18:
	flat_load_dwordx2 v[14:15], v[10:11]
	s_waitcnt vmcnt(0) lgkmcnt(0)
	v_fma_f64 v[6:7], s[36:37], v[14:15], v[6:7]
.LBB488_19:
	flat_store_dwordx2 v[10:11], v[6:7]
.LBB488_20:
	s_or_b32 exec_lo, exec_lo, s1
	v_add_nc_u32_e32 v10, 16, v13
	v_ashrrev_i32_e32 v11, 31, v10
	v_mul_lo_u32 v13, s41, v10
	v_mad_u64_u32 v[6:7], null, s40, v10, 0
	v_cmp_gt_i32_e64 s0, s8, v10
	v_mul_lo_u32 v11, s40, v11
	v_cmp_le_i32_e32 vcc_lo, v0, v10
	v_add3_u32 v7, v7, v11, v13
	v_lshlrev_b64 v[6:7], 3, v[6:7]
	v_add_co_u32 v6, s1, s2, v6
	v_add_co_ci_u32_e64 v7, null, s3, v7, s1
	s_and_b32 s1, s0, vcc_lo
	s_and_saveexec_b32 s2, s1
	s_cbranch_execz .LBB488_24
; %bb.21:
	v_mul_f64 v[4:5], s[14:15], v[4:5]
	v_lshlrev_b64 v[0:1], 3, v[0:1]
	v_cmp_ne_u32_e32 vcc_lo, 1, v12
	v_add_co_u32 v0, s1, v6, v0
	v_add_co_ci_u32_e64 v1, null, v7, v1, s1
	s_cbranch_vccnz .LBB488_23
; %bb.22:
	flat_load_dwordx2 v[13:14], v[0:1]
	s_waitcnt vmcnt(0) lgkmcnt(0)
	v_fma_f64 v[4:5], s[36:37], v[13:14], v[4:5]
.LBB488_23:
	flat_store_dwordx2 v[0:1], v[4:5]
.LBB488_24:
	s_or_b32 exec_lo, exec_lo, s2
	v_cmp_le_i32_e32 vcc_lo, v8, v10
	s_and_b32 s0, s0, vcc_lo
	s_and_saveexec_b32 s1, s0
	s_cbranch_execz .LBB488_28
; %bb.25:
	v_mul_f64 v[0:1], s[14:15], v[2:3]
	v_lshlrev_b64 v[2:3], 3, v[8:9]
	v_cmp_ne_u32_e32 vcc_lo, 1, v12
	v_add_co_u32 v2, s0, v6, v2
	v_add_co_ci_u32_e64 v3, null, v7, v3, s0
	s_cbranch_vccnz .LBB488_27
; %bb.26:
	flat_load_dwordx2 v[4:5], v[2:3]
	s_waitcnt vmcnt(0) lgkmcnt(0)
	v_fma_f64 v[0:1], s[36:37], v[4:5], v[0:1]
.LBB488_27:
	flat_store_dwordx2 v[2:3], v[0:1]
.LBB488_28:
	s_endpgm
	.section	.rodata,"a",@progbits
	.p2align	6, 0x0
	.amdhsa_kernel _ZL29rocblas_internal_gemmt_kernelIlLi16ELi32ELi8ELc78ELc67ELc85ELb0ELb0EddPKPKdPKPdEviT_T9_T10_S7_lS9_S7_lS8_T11_S7_li
		.amdhsa_group_segment_fixed_size 4096
		.amdhsa_private_segment_fixed_size 0
		.amdhsa_kernarg_size 108
		.amdhsa_user_sgpr_count 6
		.amdhsa_user_sgpr_private_segment_buffer 1
		.amdhsa_user_sgpr_dispatch_ptr 0
		.amdhsa_user_sgpr_queue_ptr 0
		.amdhsa_user_sgpr_kernarg_segment_ptr 1
		.amdhsa_user_sgpr_dispatch_id 0
		.amdhsa_user_sgpr_flat_scratch_init 0
		.amdhsa_user_sgpr_private_segment_size 0
		.amdhsa_wavefront_size32 1
		.amdhsa_uses_dynamic_stack 0
		.amdhsa_system_sgpr_private_segment_wavefront_offset 0
		.amdhsa_system_sgpr_workgroup_id_x 1
		.amdhsa_system_sgpr_workgroup_id_y 1
		.amdhsa_system_sgpr_workgroup_id_z 1
		.amdhsa_system_sgpr_workgroup_info 0
		.amdhsa_system_vgpr_workitem_id 1
		.amdhsa_next_free_vgpr 46
		.amdhsa_next_free_sgpr 44
		.amdhsa_reserve_vcc 1
		.amdhsa_reserve_flat_scratch 0
		.amdhsa_float_round_mode_32 0
		.amdhsa_float_round_mode_16_64 0
		.amdhsa_float_denorm_mode_32 3
		.amdhsa_float_denorm_mode_16_64 3
		.amdhsa_dx10_clamp 1
		.amdhsa_ieee_mode 1
		.amdhsa_fp16_overflow 0
		.amdhsa_workgroup_processor_mode 1
		.amdhsa_memory_ordered 1
		.amdhsa_forward_progress 1
		.amdhsa_shared_vgpr_count 0
		.amdhsa_exception_fp_ieee_invalid_op 0
		.amdhsa_exception_fp_denorm_src 0
		.amdhsa_exception_fp_ieee_div_zero 0
		.amdhsa_exception_fp_ieee_overflow 0
		.amdhsa_exception_fp_ieee_underflow 0
		.amdhsa_exception_fp_ieee_inexact 0
		.amdhsa_exception_int_div_zero 0
	.end_amdhsa_kernel
	.section	.text._ZL29rocblas_internal_gemmt_kernelIlLi16ELi32ELi8ELc78ELc67ELc85ELb0ELb0EddPKPKdPKPdEviT_T9_T10_S7_lS9_S7_lS8_T11_S7_li,"axG",@progbits,_ZL29rocblas_internal_gemmt_kernelIlLi16ELi32ELi8ELc78ELc67ELc85ELb0ELb0EddPKPKdPKPdEviT_T9_T10_S7_lS9_S7_lS8_T11_S7_li,comdat
.Lfunc_end488:
	.size	_ZL29rocblas_internal_gemmt_kernelIlLi16ELi32ELi8ELc78ELc67ELc85ELb0ELb0EddPKPKdPKPdEviT_T9_T10_S7_lS9_S7_lS8_T11_S7_li, .Lfunc_end488-_ZL29rocblas_internal_gemmt_kernelIlLi16ELi32ELi8ELc78ELc67ELc85ELb0ELb0EddPKPKdPKPdEviT_T9_T10_S7_lS9_S7_lS8_T11_S7_li
                                        ; -- End function
	.set _ZL29rocblas_internal_gemmt_kernelIlLi16ELi32ELi8ELc78ELc67ELc85ELb0ELb0EddPKPKdPKPdEviT_T9_T10_S7_lS9_S7_lS8_T11_S7_li.num_vgpr, 46
	.set _ZL29rocblas_internal_gemmt_kernelIlLi16ELi32ELi8ELc78ELc67ELc85ELb0ELb0EddPKPKdPKPdEviT_T9_T10_S7_lS9_S7_lS8_T11_S7_li.num_agpr, 0
	.set _ZL29rocblas_internal_gemmt_kernelIlLi16ELi32ELi8ELc78ELc67ELc85ELb0ELb0EddPKPKdPKPdEviT_T9_T10_S7_lS9_S7_lS8_T11_S7_li.numbered_sgpr, 44
	.set _ZL29rocblas_internal_gemmt_kernelIlLi16ELi32ELi8ELc78ELc67ELc85ELb0ELb0EddPKPKdPKPdEviT_T9_T10_S7_lS9_S7_lS8_T11_S7_li.num_named_barrier, 0
	.set _ZL29rocblas_internal_gemmt_kernelIlLi16ELi32ELi8ELc78ELc67ELc85ELb0ELb0EddPKPKdPKPdEviT_T9_T10_S7_lS9_S7_lS8_T11_S7_li.private_seg_size, 0
	.set _ZL29rocblas_internal_gemmt_kernelIlLi16ELi32ELi8ELc78ELc67ELc85ELb0ELb0EddPKPKdPKPdEviT_T9_T10_S7_lS9_S7_lS8_T11_S7_li.uses_vcc, 1
	.set _ZL29rocblas_internal_gemmt_kernelIlLi16ELi32ELi8ELc78ELc67ELc85ELb0ELb0EddPKPKdPKPdEviT_T9_T10_S7_lS9_S7_lS8_T11_S7_li.uses_flat_scratch, 0
	.set _ZL29rocblas_internal_gemmt_kernelIlLi16ELi32ELi8ELc78ELc67ELc85ELb0ELb0EddPKPKdPKPdEviT_T9_T10_S7_lS9_S7_lS8_T11_S7_li.has_dyn_sized_stack, 0
	.set _ZL29rocblas_internal_gemmt_kernelIlLi16ELi32ELi8ELc78ELc67ELc85ELb0ELb0EddPKPKdPKPdEviT_T9_T10_S7_lS9_S7_lS8_T11_S7_li.has_recursion, 0
	.set _ZL29rocblas_internal_gemmt_kernelIlLi16ELi32ELi8ELc78ELc67ELc85ELb0ELb0EddPKPKdPKPdEviT_T9_T10_S7_lS9_S7_lS8_T11_S7_li.has_indirect_call, 0
	.section	.AMDGPU.csdata,"",@progbits
; Kernel info:
; codeLenInByte = 1652
; TotalNumSgprs: 46
; NumVgprs: 46
; ScratchSize: 0
; MemoryBound: 0
; FloatMode: 240
; IeeeMode: 1
; LDSByteSize: 4096 bytes/workgroup (compile time only)
; SGPRBlocks: 0
; VGPRBlocks: 5
; NumSGPRsForWavesPerEU: 46
; NumVGPRsForWavesPerEU: 46
; Occupancy: 16
; WaveLimiterHint : 1
; COMPUTE_PGM_RSRC2:SCRATCH_EN: 0
; COMPUTE_PGM_RSRC2:USER_SGPR: 6
; COMPUTE_PGM_RSRC2:TRAP_HANDLER: 0
; COMPUTE_PGM_RSRC2:TGID_X_EN: 1
; COMPUTE_PGM_RSRC2:TGID_Y_EN: 1
; COMPUTE_PGM_RSRC2:TGID_Z_EN: 1
; COMPUTE_PGM_RSRC2:TIDIG_COMP_CNT: 1
	.section	.text._ZL29rocblas_internal_gemmt_kernelIlLi16ELi32ELi8ELc84ELc78ELc85ELb0ELb0EddPKPKdPKPdEviT_T9_T10_S7_lS9_S7_lS8_T11_S7_li,"axG",@progbits,_ZL29rocblas_internal_gemmt_kernelIlLi16ELi32ELi8ELc84ELc78ELc85ELb0ELb0EddPKPKdPKPdEviT_T9_T10_S7_lS9_S7_lS8_T11_S7_li,comdat
	.globl	_ZL29rocblas_internal_gemmt_kernelIlLi16ELi32ELi8ELc84ELc78ELc85ELb0ELb0EddPKPKdPKPdEviT_T9_T10_S7_lS9_S7_lS8_T11_S7_li ; -- Begin function _ZL29rocblas_internal_gemmt_kernelIlLi16ELi32ELi8ELc84ELc78ELc85ELb0ELb0EddPKPKdPKPdEviT_T9_T10_S7_lS9_S7_lS8_T11_S7_li
	.p2align	8
	.type	_ZL29rocblas_internal_gemmt_kernelIlLi16ELi32ELi8ELc84ELc78ELc85ELb0ELb0EddPKPKdPKPdEviT_T9_T10_S7_lS9_S7_lS8_T11_S7_li,@function
_ZL29rocblas_internal_gemmt_kernelIlLi16ELi32ELi8ELc84ELc78ELc85ELb0ELb0EddPKPKdPKPdEviT_T9_T10_S7_lS9_S7_lS8_T11_S7_li: ; @_ZL29rocblas_internal_gemmt_kernelIlLi16ELi32ELi8ELc84ELc78ELc85ELb0ELb0EddPKPKdPKPdEviT_T9_T10_S7_lS9_S7_lS8_T11_S7_li
; %bb.0:
	s_clause 0x1
	s_load_dwordx8 s[36:43], s[4:5], 0x48
	s_load_dwordx16 s[12:27], s[4:5], 0x8
	s_waitcnt lgkmcnt(0)
	v_cmp_neq_f64_e64 s0, s[36:37], 1.0
	s_and_b32 vcc_lo, exec_lo, s0
	s_cbranch_vccnz .LBB489_2
; %bb.1:
	v_cmp_neq_f64_e64 s0, s[14:15], 0
	s_cmp_lg_u64 s[12:13], 0
	s_cselect_b32 s1, -1, 0
	s_and_b32 s0, s1, s0
.LBB489_2:
	s_andn2_b32 vcc_lo, exec_lo, s0
	s_cbranch_vccnz .LBB489_28
; %bb.3:
	v_cmp_eq_f64_e64 s10, s[14:15], 0
	s_mov_b32 s9, 0
	v_mov_b32_e32 v8, 0
	s_lshl_b64 s[0:1], s[8:9], 3
	v_mov_b32_e32 v6, 0
	s_add_u32 s2, s38, s0
	s_addc_u32 s3, s39, s1
	s_load_dword s8, s[4:5], 0x0
	s_load_dwordx2 s[2:3], s[2:3], 0x0
	v_cmp_lt_i64_e64 s4, s[12:13], 1
	v_mov_b32_e32 v4, 0
	v_mov_b32_e32 v2, 0
	;; [unrolled: 1-line block ×6, first 2 shown]
	s_lshl_b32 s6, s6, 5
	s_lshl_b32 s7, s7, 5
	s_or_b32 s4, s10, s4
	s_and_b32 vcc_lo, exec_lo, s4
	s_cbranch_vccnz .LBB489_12
; %bb.4:
	s_add_u32 s4, s22, s0
	s_addc_u32 s5, s23, s1
	s_lshl_b64 s[10:11], s[26:27], 3
	s_load_dwordx2 s[4:5], s[4:5], 0x0
	v_lshl_add_u32 v12, v1, 4, v0
	v_and_b32_e32 v16, 7, v0
	v_mov_b32_e32 v2, 0
	v_mov_b32_e32 v4, 0
	;; [unrolled: 1-line block ×3, first 2 shown]
	v_lshrrev_b32_e32 v14, 3, v12
	v_and_b32_e32 v13, 31, v12
	v_lshlrev_b32_e32 v23, 3, v16
	v_mov_b32_e32 v8, 0
	v_lshlrev_b32_e32 v17, 3, v0
	v_add_nc_u32_e32 v15, s7, v14
	v_or_b32_e32 v20, s6, v13
	v_lshlrev_b32_e32 v24, 3, v13
	v_lshl_or_b32 v14, v14, 6, v23
	v_lshl_add_u32 v18, v1, 6, 0x800
	v_ashrrev_i32_e32 v19, 31, v15
	v_mul_lo_u32 v21, s25, v15
	v_mad_u64_u32 v[10:11], null, s24, v15, 0
	s_waitcnt lgkmcnt(0)
	s_add_u32 s9, s4, s10
	s_addc_u32 s10, s5, s11
	s_add_u32 s0, s16, s0
	s_addc_u32 s1, s17, s1
	v_mul_lo_u32 v22, s24, v19
	s_load_dwordx2 s[0:1], s[0:1], 0x0
	v_lshrrev_b32_e32 v19, 5, v12
	v_mul_lo_u32 v25, s19, v20
	v_mad_u64_u32 v[12:13], null, s18, v20, 0
	s_lshl_b64 s[4:5], s[20:21], 3
	v_mov_b32_e32 v3, 0
	v_add3_u32 v11, v11, v22, v21
	v_mov_b32_e32 v5, 0
	v_mov_b32_e32 v7, 0
	;; [unrolled: 1-line block ×3, first 2 shown]
	v_add_nc_u32_e32 v21, 0x800, v14
	v_lshlrev_b64 v[10:11], 3, v[10:11]
	v_add_co_u32 v22, vcc_lo, s9, v10
	s_waitcnt lgkmcnt(0)
	s_add_u32 s4, s0, s4
	s_addc_u32 s5, s1, s5
	s_ashr_i32 s0, s6, 31
	v_add_co_ci_u32_e64 v23, null, s10, v11, vcc_lo
	s_mul_i32 s1, s18, s0
	v_cmp_gt_i32_e64 s0, s8, v20
	v_add3_u32 v13, v13, s1, v25
	v_lshl_or_b32 v20, v19, 8, v24
	v_cmp_gt_i32_e64 s1, s8, v15
	v_mov_b32_e32 v11, 0
	v_lshlrev_b64 v[12:13], 3, v[12:13]
	v_add_co_u32 v24, vcc_lo, s4, v12
	v_add_co_ci_u32_e64 v25, null, s5, v13, vcc_lo
	s_mov_b64 s[4:5], 0
	s_branch .LBB489_6
.LBB489_5:                              ;   in Loop: Header=BB489_6 Depth=1
	s_or_b32 exec_lo, exec_lo, s9
	s_waitcnt vmcnt(0) lgkmcnt(0)
	ds_write_b64 v21, v[14:15]
	s_waitcnt lgkmcnt(0)
	s_barrier
	buffer_gl0_inv
	ds_read_b128 v[12:15], v18
	ds_read2_b64 v[26:29], v17 offset1:16
	ds_read_b128 v[30:33], v18 offset:1024
	ds_read_b128 v[34:37], v18 offset:16
	ds_read2_b64 v[38:41], v17 offset0:32 offset1:48
	ds_read_b128 v[42:45], v18 offset:1040
	s_add_u32 s4, s4, 8
	s_addc_u32 s5, s5, 0
	v_cmp_gt_i64_e64 s9, s[12:13], s[4:5]
	s_and_b32 vcc_lo, exec_lo, s9
	s_waitcnt lgkmcnt(4)
	v_fma_f64 v[8:9], v[26:27], v[12:13], v[8:9]
	v_fma_f64 v[6:7], v[28:29], v[12:13], v[6:7]
	s_waitcnt lgkmcnt(3)
	v_fma_f64 v[12:13], v[26:27], v[30:31], v[4:5]
	v_fma_f64 v[26:27], v[28:29], v[30:31], v[2:3]
	ds_read2_b64 v[2:5], v17 offset0:64 offset1:80
	s_waitcnt lgkmcnt(2)
	v_fma_f64 v[28:29], v[38:39], v[14:15], v[8:9]
	v_fma_f64 v[14:15], v[40:41], v[14:15], v[6:7]
	;; [unrolled: 1-line block ×4, first 2 shown]
	ds_read2_b64 v[6:9], v17 offset0:96 offset1:112
	s_waitcnt lgkmcnt(1)
	v_fma_f64 v[28:29], v[2:3], v[34:35], v[28:29]
	v_fma_f64 v[30:31], v[4:5], v[34:35], v[14:15]
	v_fma_f64 v[32:33], v[2:3], v[42:43], v[12:13]
	v_fma_f64 v[26:27], v[4:5], v[42:43], v[26:27]
	ds_read_b128 v[2:5], v18 offset:32
	ds_read2_b64 v[12:15], v17 offset0:128 offset1:144
	s_waitcnt lgkmcnt(2)
	v_fma_f64 v[38:39], v[6:7], v[36:37], v[28:29]
	v_fma_f64 v[40:41], v[8:9], v[36:37], v[30:31]
	;; [unrolled: 1-line block ×4, first 2 shown]
	ds_read_b128 v[6:9], v18 offset:1056
	ds_read_b128 v[26:29], v18 offset:48
	ds_read2_b64 v[30:33], v17 offset0:160 offset1:176
	ds_read_b128 v[34:37], v18 offset:1072
	s_waitcnt lgkmcnt(4)
	v_fma_f64 v[38:39], v[12:13], v[2:3], v[38:39]
	v_fma_f64 v[2:3], v[14:15], v[2:3], v[40:41]
	s_waitcnt lgkmcnt(3)
	v_fma_f64 v[40:41], v[12:13], v[6:7], v[42:43]
	v_fma_f64 v[6:7], v[14:15], v[6:7], v[44:45]
	ds_read2_b64 v[12:15], v17 offset0:192 offset1:208
	s_waitcnt lgkmcnt(2)
	v_fma_f64 v[38:39], v[30:31], v[4:5], v[38:39]
	v_fma_f64 v[2:3], v[32:33], v[4:5], v[2:3]
	;; [unrolled: 1-line block ×4, first 2 shown]
	ds_read2_b64 v[30:33], v17 offset0:224 offset1:240
	s_waitcnt lgkmcnt(0)
	s_barrier
	buffer_gl0_inv
	v_fma_f64 v[8:9], v[12:13], v[26:27], v[38:39]
	v_fma_f64 v[2:3], v[14:15], v[26:27], v[2:3]
	;; [unrolled: 1-line block ×8, first 2 shown]
	s_cbranch_vccz .LBB489_12
.LBB489_6:                              ; =>This Inner Loop Header: Depth=1
	v_mov_b32_e32 v12, 0
	v_mov_b32_e32 v13, 0
	s_and_saveexec_b32 s9, s0
	s_cbranch_execz .LBB489_10
; %bb.7:                                ;   in Loop: Header=BB489_6 Depth=1
	v_mov_b32_e32 v12, 0
	v_add_nc_u32_e32 v10, s4, v19
	v_mov_b32_e32 v13, 0
	s_mov_b32 s10, exec_lo
	v_cmpx_gt_u64_e64 s[12:13], v[10:11]
	s_cbranch_execz .LBB489_9
; %bb.8:                                ;   in Loop: Header=BB489_6 Depth=1
	v_lshlrev_b64 v[12:13], 3, v[10:11]
	v_add_co_u32 v12, vcc_lo, v24, v12
	v_add_co_ci_u32_e64 v13, null, v25, v13, vcc_lo
	flat_load_dwordx2 v[12:13], v[12:13]
.LBB489_9:                              ;   in Loop: Header=BB489_6 Depth=1
	s_or_b32 exec_lo, exec_lo, s10
.LBB489_10:                             ;   in Loop: Header=BB489_6 Depth=1
	s_or_b32 exec_lo, exec_lo, s9
	v_add_nc_u32_e32 v10, s4, v16
	v_mov_b32_e32 v14, 0
	v_mov_b32_e32 v15, 0
	s_waitcnt vmcnt(0) lgkmcnt(0)
	ds_write_b64 v20, v[12:13]
	v_cmp_gt_u64_e32 vcc_lo, s[12:13], v[10:11]
	s_and_b32 s10, vcc_lo, s1
	s_and_saveexec_b32 s9, s10
	s_cbranch_execz .LBB489_5
; %bb.11:                               ;   in Loop: Header=BB489_6 Depth=1
	v_lshlrev_b64 v[12:13], 3, v[10:11]
	v_add_co_u32 v12, vcc_lo, v22, v12
	v_add_co_ci_u32_e64 v13, null, v23, v13, vcc_lo
	flat_load_dwordx2 v[14:15], v[12:13]
	s_branch .LBB489_5
.LBB489_12:
	v_add_nc_u32_e32 v13, s7, v1
	v_cmp_neq_f64_e64 s4, s[36:37], 0
	v_add_nc_u32_e32 v0, s6, v0
	s_lshl_b64 s[0:1], s[42:43], 3
	s_waitcnt lgkmcnt(0)
	s_add_u32 s2, s2, s0
	v_ashrrev_i32_e32 v1, 31, v13
	v_mul_lo_u32 v12, s41, v13
	v_mad_u64_u32 v[10:11], null, s40, v13, 0
	s_addc_u32 s3, s3, s1
	v_mul_lo_u32 v1, s40, v1
	v_cmp_gt_i32_e64 s0, s8, v13
	v_cmp_le_i32_e32 vcc_lo, v0, v13
	s_and_b32 s5, s0, vcc_lo
	v_add3_u32 v11, v11, v1, v12
	v_ashrrev_i32_e32 v1, 31, v0
	v_cndmask_b32_e64 v12, 0, 1, s4
	v_lshlrev_b64 v[10:11], 3, v[10:11]
	v_add_co_u32 v14, s1, s2, v10
	v_add_co_ci_u32_e64 v15, null, s3, v11, s1
	s_and_saveexec_b32 s1, s5
	s_cbranch_execz .LBB489_16
; %bb.13:
	v_mul_f64 v[8:9], s[14:15], v[8:9]
	v_lshlrev_b64 v[10:11], 3, v[0:1]
	v_add_co_u32 v10, vcc_lo, v14, v10
	v_add_co_ci_u32_e64 v11, null, v15, v11, vcc_lo
	s_andn2_b32 vcc_lo, exec_lo, s4
	s_cbranch_vccnz .LBB489_15
; %bb.14:
	flat_load_dwordx2 v[16:17], v[10:11]
	s_waitcnt vmcnt(0) lgkmcnt(0)
	v_fma_f64 v[8:9], s[36:37], v[16:17], v[8:9]
.LBB489_15:
	flat_store_dwordx2 v[10:11], v[8:9]
.LBB489_16:
	s_or_b32 exec_lo, exec_lo, s1
	v_add_nc_u32_e32 v8, 16, v0
	v_cmp_le_i32_e32 vcc_lo, v8, v13
	v_ashrrev_i32_e32 v9, 31, v8
	s_and_b32 s0, s0, vcc_lo
	s_and_saveexec_b32 s1, s0
	s_cbranch_execz .LBB489_20
; %bb.17:
	v_mul_f64 v[6:7], s[14:15], v[6:7]
	v_lshlrev_b64 v[10:11], 3, v[8:9]
	v_cmp_ne_u32_e32 vcc_lo, 1, v12
	v_add_co_u32 v10, s0, v14, v10
	v_add_co_ci_u32_e64 v11, null, v15, v11, s0
	s_cbranch_vccnz .LBB489_19
; %bb.18:
	flat_load_dwordx2 v[14:15], v[10:11]
	s_waitcnt vmcnt(0) lgkmcnt(0)
	v_fma_f64 v[6:7], s[36:37], v[14:15], v[6:7]
.LBB489_19:
	flat_store_dwordx2 v[10:11], v[6:7]
.LBB489_20:
	s_or_b32 exec_lo, exec_lo, s1
	v_add_nc_u32_e32 v10, 16, v13
	v_ashrrev_i32_e32 v11, 31, v10
	v_mul_lo_u32 v13, s41, v10
	v_mad_u64_u32 v[6:7], null, s40, v10, 0
	v_cmp_gt_i32_e64 s0, s8, v10
	v_mul_lo_u32 v11, s40, v11
	v_cmp_le_i32_e32 vcc_lo, v0, v10
	v_add3_u32 v7, v7, v11, v13
	v_lshlrev_b64 v[6:7], 3, v[6:7]
	v_add_co_u32 v6, s1, s2, v6
	v_add_co_ci_u32_e64 v7, null, s3, v7, s1
	s_and_b32 s1, s0, vcc_lo
	s_and_saveexec_b32 s2, s1
	s_cbranch_execz .LBB489_24
; %bb.21:
	v_mul_f64 v[4:5], s[14:15], v[4:5]
	v_lshlrev_b64 v[0:1], 3, v[0:1]
	v_cmp_ne_u32_e32 vcc_lo, 1, v12
	v_add_co_u32 v0, s1, v6, v0
	v_add_co_ci_u32_e64 v1, null, v7, v1, s1
	s_cbranch_vccnz .LBB489_23
; %bb.22:
	flat_load_dwordx2 v[13:14], v[0:1]
	s_waitcnt vmcnt(0) lgkmcnt(0)
	v_fma_f64 v[4:5], s[36:37], v[13:14], v[4:5]
.LBB489_23:
	flat_store_dwordx2 v[0:1], v[4:5]
.LBB489_24:
	s_or_b32 exec_lo, exec_lo, s2
	v_cmp_le_i32_e32 vcc_lo, v8, v10
	s_and_b32 s0, s0, vcc_lo
	s_and_saveexec_b32 s1, s0
	s_cbranch_execz .LBB489_28
; %bb.25:
	v_mul_f64 v[0:1], s[14:15], v[2:3]
	v_lshlrev_b64 v[2:3], 3, v[8:9]
	v_cmp_ne_u32_e32 vcc_lo, 1, v12
	v_add_co_u32 v2, s0, v6, v2
	v_add_co_ci_u32_e64 v3, null, v7, v3, s0
	s_cbranch_vccnz .LBB489_27
; %bb.26:
	flat_load_dwordx2 v[4:5], v[2:3]
	s_waitcnt vmcnt(0) lgkmcnt(0)
	v_fma_f64 v[0:1], s[36:37], v[4:5], v[0:1]
.LBB489_27:
	flat_store_dwordx2 v[2:3], v[0:1]
.LBB489_28:
	s_endpgm
	.section	.rodata,"a",@progbits
	.p2align	6, 0x0
	.amdhsa_kernel _ZL29rocblas_internal_gemmt_kernelIlLi16ELi32ELi8ELc84ELc78ELc85ELb0ELb0EddPKPKdPKPdEviT_T9_T10_S7_lS9_S7_lS8_T11_S7_li
		.amdhsa_group_segment_fixed_size 4096
		.amdhsa_private_segment_fixed_size 0
		.amdhsa_kernarg_size 108
		.amdhsa_user_sgpr_count 6
		.amdhsa_user_sgpr_private_segment_buffer 1
		.amdhsa_user_sgpr_dispatch_ptr 0
		.amdhsa_user_sgpr_queue_ptr 0
		.amdhsa_user_sgpr_kernarg_segment_ptr 1
		.amdhsa_user_sgpr_dispatch_id 0
		.amdhsa_user_sgpr_flat_scratch_init 0
		.amdhsa_user_sgpr_private_segment_size 0
		.amdhsa_wavefront_size32 1
		.amdhsa_uses_dynamic_stack 0
		.amdhsa_system_sgpr_private_segment_wavefront_offset 0
		.amdhsa_system_sgpr_workgroup_id_x 1
		.amdhsa_system_sgpr_workgroup_id_y 1
		.amdhsa_system_sgpr_workgroup_id_z 1
		.amdhsa_system_sgpr_workgroup_info 0
		.amdhsa_system_vgpr_workitem_id 1
		.amdhsa_next_free_vgpr 46
		.amdhsa_next_free_sgpr 44
		.amdhsa_reserve_vcc 1
		.amdhsa_reserve_flat_scratch 0
		.amdhsa_float_round_mode_32 0
		.amdhsa_float_round_mode_16_64 0
		.amdhsa_float_denorm_mode_32 3
		.amdhsa_float_denorm_mode_16_64 3
		.amdhsa_dx10_clamp 1
		.amdhsa_ieee_mode 1
		.amdhsa_fp16_overflow 0
		.amdhsa_workgroup_processor_mode 1
		.amdhsa_memory_ordered 1
		.amdhsa_forward_progress 1
		.amdhsa_shared_vgpr_count 0
		.amdhsa_exception_fp_ieee_invalid_op 0
		.amdhsa_exception_fp_denorm_src 0
		.amdhsa_exception_fp_ieee_div_zero 0
		.amdhsa_exception_fp_ieee_overflow 0
		.amdhsa_exception_fp_ieee_underflow 0
		.amdhsa_exception_fp_ieee_inexact 0
		.amdhsa_exception_int_div_zero 0
	.end_amdhsa_kernel
	.section	.text._ZL29rocblas_internal_gemmt_kernelIlLi16ELi32ELi8ELc84ELc78ELc85ELb0ELb0EddPKPKdPKPdEviT_T9_T10_S7_lS9_S7_lS8_T11_S7_li,"axG",@progbits,_ZL29rocblas_internal_gemmt_kernelIlLi16ELi32ELi8ELc84ELc78ELc85ELb0ELb0EddPKPKdPKPdEviT_T9_T10_S7_lS9_S7_lS8_T11_S7_li,comdat
.Lfunc_end489:
	.size	_ZL29rocblas_internal_gemmt_kernelIlLi16ELi32ELi8ELc84ELc78ELc85ELb0ELb0EddPKPKdPKPdEviT_T9_T10_S7_lS9_S7_lS8_T11_S7_li, .Lfunc_end489-_ZL29rocblas_internal_gemmt_kernelIlLi16ELi32ELi8ELc84ELc78ELc85ELb0ELb0EddPKPKdPKPdEviT_T9_T10_S7_lS9_S7_lS8_T11_S7_li
                                        ; -- End function
	.set _ZL29rocblas_internal_gemmt_kernelIlLi16ELi32ELi8ELc84ELc78ELc85ELb0ELb0EddPKPKdPKPdEviT_T9_T10_S7_lS9_S7_lS8_T11_S7_li.num_vgpr, 46
	.set _ZL29rocblas_internal_gemmt_kernelIlLi16ELi32ELi8ELc84ELc78ELc85ELb0ELb0EddPKPKdPKPdEviT_T9_T10_S7_lS9_S7_lS8_T11_S7_li.num_agpr, 0
	.set _ZL29rocblas_internal_gemmt_kernelIlLi16ELi32ELi8ELc84ELc78ELc85ELb0ELb0EddPKPKdPKPdEviT_T9_T10_S7_lS9_S7_lS8_T11_S7_li.numbered_sgpr, 44
	.set _ZL29rocblas_internal_gemmt_kernelIlLi16ELi32ELi8ELc84ELc78ELc85ELb0ELb0EddPKPKdPKPdEviT_T9_T10_S7_lS9_S7_lS8_T11_S7_li.num_named_barrier, 0
	.set _ZL29rocblas_internal_gemmt_kernelIlLi16ELi32ELi8ELc84ELc78ELc85ELb0ELb0EddPKPKdPKPdEviT_T9_T10_S7_lS9_S7_lS8_T11_S7_li.private_seg_size, 0
	.set _ZL29rocblas_internal_gemmt_kernelIlLi16ELi32ELi8ELc84ELc78ELc85ELb0ELb0EddPKPKdPKPdEviT_T9_T10_S7_lS9_S7_lS8_T11_S7_li.uses_vcc, 1
	.set _ZL29rocblas_internal_gemmt_kernelIlLi16ELi32ELi8ELc84ELc78ELc85ELb0ELb0EddPKPKdPKPdEviT_T9_T10_S7_lS9_S7_lS8_T11_S7_li.uses_flat_scratch, 0
	.set _ZL29rocblas_internal_gemmt_kernelIlLi16ELi32ELi8ELc84ELc78ELc85ELb0ELb0EddPKPKdPKPdEviT_T9_T10_S7_lS9_S7_lS8_T11_S7_li.has_dyn_sized_stack, 0
	.set _ZL29rocblas_internal_gemmt_kernelIlLi16ELi32ELi8ELc84ELc78ELc85ELb0ELb0EddPKPKdPKPdEviT_T9_T10_S7_lS9_S7_lS8_T11_S7_li.has_recursion, 0
	.set _ZL29rocblas_internal_gemmt_kernelIlLi16ELi32ELi8ELc84ELc78ELc85ELb0ELb0EddPKPKdPKPdEviT_T9_T10_S7_lS9_S7_lS8_T11_S7_li.has_indirect_call, 0
	.section	.AMDGPU.csdata,"",@progbits
; Kernel info:
; codeLenInByte = 1680
; TotalNumSgprs: 46
; NumVgprs: 46
; ScratchSize: 0
; MemoryBound: 0
; FloatMode: 240
; IeeeMode: 1
; LDSByteSize: 4096 bytes/workgroup (compile time only)
; SGPRBlocks: 0
; VGPRBlocks: 5
; NumSGPRsForWavesPerEU: 46
; NumVGPRsForWavesPerEU: 46
; Occupancy: 16
; WaveLimiterHint : 1
; COMPUTE_PGM_RSRC2:SCRATCH_EN: 0
; COMPUTE_PGM_RSRC2:USER_SGPR: 6
; COMPUTE_PGM_RSRC2:TRAP_HANDLER: 0
; COMPUTE_PGM_RSRC2:TGID_X_EN: 1
; COMPUTE_PGM_RSRC2:TGID_Y_EN: 1
; COMPUTE_PGM_RSRC2:TGID_Z_EN: 1
; COMPUTE_PGM_RSRC2:TIDIG_COMP_CNT: 1
	.section	.text._ZL29rocblas_internal_gemmt_kernelIlLi16ELi32ELi8ELc84ELc84ELc85ELb0ELb0EddPKPKdPKPdEviT_T9_T10_S7_lS9_S7_lS8_T11_S7_li,"axG",@progbits,_ZL29rocblas_internal_gemmt_kernelIlLi16ELi32ELi8ELc84ELc84ELc85ELb0ELb0EddPKPKdPKPdEviT_T9_T10_S7_lS9_S7_lS8_T11_S7_li,comdat
	.globl	_ZL29rocblas_internal_gemmt_kernelIlLi16ELi32ELi8ELc84ELc84ELc85ELb0ELb0EddPKPKdPKPdEviT_T9_T10_S7_lS9_S7_lS8_T11_S7_li ; -- Begin function _ZL29rocblas_internal_gemmt_kernelIlLi16ELi32ELi8ELc84ELc84ELc85ELb0ELb0EddPKPKdPKPdEviT_T9_T10_S7_lS9_S7_lS8_T11_S7_li
	.p2align	8
	.type	_ZL29rocblas_internal_gemmt_kernelIlLi16ELi32ELi8ELc84ELc84ELc85ELb0ELb0EddPKPKdPKPdEviT_T9_T10_S7_lS9_S7_lS8_T11_S7_li,@function
_ZL29rocblas_internal_gemmt_kernelIlLi16ELi32ELi8ELc84ELc84ELc85ELb0ELb0EddPKPKdPKPdEviT_T9_T10_S7_lS9_S7_lS8_T11_S7_li: ; @_ZL29rocblas_internal_gemmt_kernelIlLi16ELi32ELi8ELc84ELc84ELc85ELb0ELb0EddPKPKdPKPdEviT_T9_T10_S7_lS9_S7_lS8_T11_S7_li
; %bb.0:
	s_clause 0x1
	s_load_dwordx8 s[36:43], s[4:5], 0x48
	s_load_dwordx16 s[12:27], s[4:5], 0x8
	s_waitcnt lgkmcnt(0)
	v_cmp_neq_f64_e64 s0, s[36:37], 1.0
	s_and_b32 vcc_lo, exec_lo, s0
	s_cbranch_vccnz .LBB490_2
; %bb.1:
	v_cmp_neq_f64_e64 s0, s[14:15], 0
	s_cmp_lg_u64 s[12:13], 0
	s_cselect_b32 s1, -1, 0
	s_and_b32 s0, s1, s0
.LBB490_2:
	s_andn2_b32 vcc_lo, exec_lo, s0
	s_cbranch_vccnz .LBB490_28
; %bb.3:
	v_cmp_eq_f64_e64 s10, s[14:15], 0
	s_mov_b32 s9, 0
	v_mov_b32_e32 v8, 0
	s_lshl_b64 s[0:1], s[8:9], 3
	v_mov_b32_e32 v6, 0
	s_add_u32 s2, s38, s0
	s_addc_u32 s3, s39, s1
	s_load_dword s8, s[4:5], 0x0
	s_load_dwordx2 s[2:3], s[2:3], 0x0
	v_cmp_lt_i64_e64 s4, s[12:13], 1
	v_mov_b32_e32 v4, 0
	v_mov_b32_e32 v2, 0
	;; [unrolled: 1-line block ×6, first 2 shown]
	s_lshl_b32 s6, s6, 5
	s_lshl_b32 s7, s7, 5
	s_or_b32 s4, s10, s4
	s_and_b32 vcc_lo, exec_lo, s4
	s_cbranch_vccnz .LBB490_12
; %bb.4:
	s_add_u32 s4, s22, s0
	s_addc_u32 s5, s23, s1
	s_lshl_b64 s[10:11], s[26:27], 3
	s_load_dwordx2 s[4:5], s[4:5], 0x0
	v_lshl_add_u32 v10, v1, 4, v0
	v_and_b32_e32 v16, 7, v0
	v_mov_b32_e32 v2, 0
	v_mov_b32_e32 v4, 0
	;; [unrolled: 1-line block ×3, first 2 shown]
	v_and_b32_e32 v11, 31, v10
	v_lshrrev_b32_e32 v14, 3, v10
	v_lshrrev_b32_e32 v19, 5, v10
	v_lshlrev_b32_e32 v20, 3, v16
	v_mov_b32_e32 v8, 0
	v_or_b32_e32 v15, s6, v11
	v_add_nc_u32_e32 v10, s7, v14
	v_lshlrev_b32_e32 v21, 3, v11
	v_lshl_or_b32 v23, v14, 6, v20
	v_lshlrev_b32_e32 v17, 3, v0
	v_mul_lo_u32 v22, s19, v15
	v_mad_u64_u32 v[12:13], null, s18, v15, 0
	v_ashrrev_i32_e32 v11, 31, v10
	s_waitcnt lgkmcnt(0)
	s_add_u32 s9, s4, s10
	s_addc_u32 s10, s5, s11
	s_add_u32 s0, s16, s0
	s_addc_u32 s1, s17, s1
	s_lshl_b64 s[4:5], s[20:21], 3
	s_load_dwordx2 s[0:1], s[0:1], 0x0
	v_lshl_or_b32 v20, v19, 8, v21
	v_add_nc_u32_e32 v21, 0x800, v23
	v_lshl_add_u32 v18, v1, 6, 0x800
	v_mov_b32_e32 v3, 0
	v_mov_b32_e32 v5, 0
	;; [unrolled: 1-line block ×4, first 2 shown]
	s_waitcnt lgkmcnt(0)
	s_add_u32 s4, s0, s4
	s_addc_u32 s5, s1, s5
	s_ashr_i32 s0, s6, 31
	s_mul_i32 s1, s18, s0
	v_cmp_gt_i32_e64 s0, s8, v15
	v_add3_u32 v13, v13, s1, v22
	v_lshlrev_b64 v[14:15], 3, v[10:11]
	v_cmp_gt_i32_e64 s1, s8, v10
	v_lshlrev_b64 v[10:11], 3, v[12:13]
	v_add_co_u32 v22, vcc_lo, s9, v14
	v_add_co_ci_u32_e64 v23, null, s10, v15, vcc_lo
	v_add_co_u32 v24, vcc_lo, s4, v10
	v_add_co_ci_u32_e64 v25, null, s5, v11, vcc_lo
	v_mov_b32_e32 v11, 0
	s_mov_b64 s[4:5], 0
	s_branch .LBB490_6
.LBB490_5:                              ;   in Loop: Header=BB490_6 Depth=1
	s_or_b32 exec_lo, exec_lo, s9
	s_waitcnt vmcnt(0) lgkmcnt(0)
	ds_write_b64 v21, v[14:15]
	s_waitcnt lgkmcnt(0)
	s_barrier
	buffer_gl0_inv
	ds_read_b128 v[12:15], v18
	ds_read2_b64 v[26:29], v17 offset1:16
	ds_read_b128 v[30:33], v18 offset:1024
	ds_read_b128 v[34:37], v18 offset:16
	ds_read2_b64 v[38:41], v17 offset0:32 offset1:48
	ds_read_b128 v[42:45], v18 offset:1040
	s_add_u32 s4, s4, 8
	s_addc_u32 s5, s5, 0
	v_cmp_gt_i64_e64 s9, s[12:13], s[4:5]
	s_and_b32 vcc_lo, exec_lo, s9
	s_waitcnt lgkmcnt(4)
	v_fma_f64 v[8:9], v[26:27], v[12:13], v[8:9]
	v_fma_f64 v[6:7], v[28:29], v[12:13], v[6:7]
	s_waitcnt lgkmcnt(3)
	v_fma_f64 v[12:13], v[26:27], v[30:31], v[4:5]
	v_fma_f64 v[26:27], v[28:29], v[30:31], v[2:3]
	ds_read2_b64 v[2:5], v17 offset0:64 offset1:80
	s_waitcnt lgkmcnt(2)
	v_fma_f64 v[28:29], v[38:39], v[14:15], v[8:9]
	v_fma_f64 v[14:15], v[40:41], v[14:15], v[6:7]
	;; [unrolled: 1-line block ×4, first 2 shown]
	ds_read2_b64 v[6:9], v17 offset0:96 offset1:112
	s_waitcnt lgkmcnt(1)
	v_fma_f64 v[28:29], v[2:3], v[34:35], v[28:29]
	v_fma_f64 v[30:31], v[4:5], v[34:35], v[14:15]
	;; [unrolled: 1-line block ×4, first 2 shown]
	ds_read_b128 v[2:5], v18 offset:32
	ds_read2_b64 v[12:15], v17 offset0:128 offset1:144
	s_waitcnt lgkmcnt(2)
	v_fma_f64 v[38:39], v[6:7], v[36:37], v[28:29]
	v_fma_f64 v[40:41], v[8:9], v[36:37], v[30:31]
	;; [unrolled: 1-line block ×4, first 2 shown]
	ds_read_b128 v[6:9], v18 offset:1056
	ds_read_b128 v[26:29], v18 offset:48
	ds_read2_b64 v[30:33], v17 offset0:160 offset1:176
	ds_read_b128 v[34:37], v18 offset:1072
	s_waitcnt lgkmcnt(4)
	v_fma_f64 v[38:39], v[12:13], v[2:3], v[38:39]
	v_fma_f64 v[2:3], v[14:15], v[2:3], v[40:41]
	s_waitcnt lgkmcnt(3)
	v_fma_f64 v[40:41], v[12:13], v[6:7], v[42:43]
	v_fma_f64 v[6:7], v[14:15], v[6:7], v[44:45]
	ds_read2_b64 v[12:15], v17 offset0:192 offset1:208
	s_waitcnt lgkmcnt(2)
	v_fma_f64 v[38:39], v[30:31], v[4:5], v[38:39]
	v_fma_f64 v[2:3], v[32:33], v[4:5], v[2:3]
	;; [unrolled: 1-line block ×4, first 2 shown]
	ds_read2_b64 v[30:33], v17 offset0:224 offset1:240
	s_waitcnt lgkmcnt(0)
	s_barrier
	buffer_gl0_inv
	v_fma_f64 v[8:9], v[12:13], v[26:27], v[38:39]
	v_fma_f64 v[2:3], v[14:15], v[26:27], v[2:3]
	;; [unrolled: 1-line block ×8, first 2 shown]
	s_cbranch_vccz .LBB490_12
.LBB490_6:                              ; =>This Inner Loop Header: Depth=1
	v_mov_b32_e32 v12, 0
	v_mov_b32_e32 v13, 0
	s_and_saveexec_b32 s9, s0
	s_cbranch_execz .LBB490_10
; %bb.7:                                ;   in Loop: Header=BB490_6 Depth=1
	v_mov_b32_e32 v12, 0
	v_add_nc_u32_e32 v10, s4, v19
	v_mov_b32_e32 v13, 0
	s_mov_b32 s10, exec_lo
	v_cmpx_gt_u64_e64 s[12:13], v[10:11]
	s_cbranch_execz .LBB490_9
; %bb.8:                                ;   in Loop: Header=BB490_6 Depth=1
	v_lshlrev_b64 v[12:13], 3, v[10:11]
	v_add_co_u32 v12, vcc_lo, v24, v12
	v_add_co_ci_u32_e64 v13, null, v25, v13, vcc_lo
	flat_load_dwordx2 v[12:13], v[12:13]
.LBB490_9:                              ;   in Loop: Header=BB490_6 Depth=1
	s_or_b32 exec_lo, exec_lo, s10
.LBB490_10:                             ;   in Loop: Header=BB490_6 Depth=1
	s_or_b32 exec_lo, exec_lo, s9
	v_add_nc_u32_e32 v10, s4, v16
	v_mov_b32_e32 v14, 0
	v_mov_b32_e32 v15, 0
	s_waitcnt vmcnt(0) lgkmcnt(0)
	ds_write_b64 v20, v[12:13]
	v_cmp_gt_u64_e32 vcc_lo, s[12:13], v[10:11]
	s_and_b32 s10, vcc_lo, s1
	s_and_saveexec_b32 s9, s10
	s_cbranch_execz .LBB490_5
; %bb.11:                               ;   in Loop: Header=BB490_6 Depth=1
	v_mad_u64_u32 v[12:13], null, s24, v10, 0
	v_mad_u64_u32 v[13:14], null, s25, v10, v[13:14]
	v_lshlrev_b64 v[12:13], 3, v[12:13]
	v_add_co_u32 v12, vcc_lo, v22, v12
	v_add_co_ci_u32_e64 v13, null, v23, v13, vcc_lo
	flat_load_dwordx2 v[14:15], v[12:13]
	s_branch .LBB490_5
.LBB490_12:
	v_add_nc_u32_e32 v13, s7, v1
	v_cmp_neq_f64_e64 s4, s[36:37], 0
	v_add_nc_u32_e32 v0, s6, v0
	s_lshl_b64 s[0:1], s[42:43], 3
	s_waitcnt lgkmcnt(0)
	s_add_u32 s2, s2, s0
	v_ashrrev_i32_e32 v1, 31, v13
	v_mul_lo_u32 v12, s41, v13
	v_mad_u64_u32 v[10:11], null, s40, v13, 0
	s_addc_u32 s3, s3, s1
	v_mul_lo_u32 v1, s40, v1
	v_cmp_gt_i32_e64 s0, s8, v13
	v_cmp_le_i32_e32 vcc_lo, v0, v13
	s_and_b32 s5, s0, vcc_lo
	v_add3_u32 v11, v11, v1, v12
	v_ashrrev_i32_e32 v1, 31, v0
	v_cndmask_b32_e64 v12, 0, 1, s4
	v_lshlrev_b64 v[10:11], 3, v[10:11]
	v_add_co_u32 v14, s1, s2, v10
	v_add_co_ci_u32_e64 v15, null, s3, v11, s1
	s_and_saveexec_b32 s1, s5
	s_cbranch_execz .LBB490_16
; %bb.13:
	v_mul_f64 v[8:9], s[14:15], v[8:9]
	v_lshlrev_b64 v[10:11], 3, v[0:1]
	v_add_co_u32 v10, vcc_lo, v14, v10
	v_add_co_ci_u32_e64 v11, null, v15, v11, vcc_lo
	s_andn2_b32 vcc_lo, exec_lo, s4
	s_cbranch_vccnz .LBB490_15
; %bb.14:
	flat_load_dwordx2 v[16:17], v[10:11]
	s_waitcnt vmcnt(0) lgkmcnt(0)
	v_fma_f64 v[8:9], s[36:37], v[16:17], v[8:9]
.LBB490_15:
	flat_store_dwordx2 v[10:11], v[8:9]
.LBB490_16:
	s_or_b32 exec_lo, exec_lo, s1
	v_add_nc_u32_e32 v8, 16, v0
	v_cmp_le_i32_e32 vcc_lo, v8, v13
	v_ashrrev_i32_e32 v9, 31, v8
	s_and_b32 s0, s0, vcc_lo
	s_and_saveexec_b32 s1, s0
	s_cbranch_execz .LBB490_20
; %bb.17:
	v_mul_f64 v[6:7], s[14:15], v[6:7]
	v_lshlrev_b64 v[10:11], 3, v[8:9]
	v_cmp_ne_u32_e32 vcc_lo, 1, v12
	v_add_co_u32 v10, s0, v14, v10
	v_add_co_ci_u32_e64 v11, null, v15, v11, s0
	s_cbranch_vccnz .LBB490_19
; %bb.18:
	flat_load_dwordx2 v[14:15], v[10:11]
	s_waitcnt vmcnt(0) lgkmcnt(0)
	v_fma_f64 v[6:7], s[36:37], v[14:15], v[6:7]
.LBB490_19:
	flat_store_dwordx2 v[10:11], v[6:7]
.LBB490_20:
	s_or_b32 exec_lo, exec_lo, s1
	v_add_nc_u32_e32 v10, 16, v13
	v_ashrrev_i32_e32 v11, 31, v10
	v_mul_lo_u32 v13, s41, v10
	v_mad_u64_u32 v[6:7], null, s40, v10, 0
	v_cmp_gt_i32_e64 s0, s8, v10
	v_mul_lo_u32 v11, s40, v11
	v_cmp_le_i32_e32 vcc_lo, v0, v10
	v_add3_u32 v7, v7, v11, v13
	v_lshlrev_b64 v[6:7], 3, v[6:7]
	v_add_co_u32 v6, s1, s2, v6
	v_add_co_ci_u32_e64 v7, null, s3, v7, s1
	s_and_b32 s1, s0, vcc_lo
	s_and_saveexec_b32 s2, s1
	s_cbranch_execz .LBB490_24
; %bb.21:
	v_mul_f64 v[4:5], s[14:15], v[4:5]
	v_lshlrev_b64 v[0:1], 3, v[0:1]
	v_cmp_ne_u32_e32 vcc_lo, 1, v12
	v_add_co_u32 v0, s1, v6, v0
	v_add_co_ci_u32_e64 v1, null, v7, v1, s1
	s_cbranch_vccnz .LBB490_23
; %bb.22:
	flat_load_dwordx2 v[13:14], v[0:1]
	s_waitcnt vmcnt(0) lgkmcnt(0)
	v_fma_f64 v[4:5], s[36:37], v[13:14], v[4:5]
.LBB490_23:
	flat_store_dwordx2 v[0:1], v[4:5]
.LBB490_24:
	s_or_b32 exec_lo, exec_lo, s2
	v_cmp_le_i32_e32 vcc_lo, v8, v10
	s_and_b32 s0, s0, vcc_lo
	s_and_saveexec_b32 s1, s0
	s_cbranch_execz .LBB490_28
; %bb.25:
	v_mul_f64 v[0:1], s[14:15], v[2:3]
	v_lshlrev_b64 v[2:3], 3, v[8:9]
	v_cmp_ne_u32_e32 vcc_lo, 1, v12
	v_add_co_u32 v2, s0, v6, v2
	v_add_co_ci_u32_e64 v3, null, v7, v3, s0
	s_cbranch_vccnz .LBB490_27
; %bb.26:
	flat_load_dwordx2 v[4:5], v[2:3]
	s_waitcnt vmcnt(0) lgkmcnt(0)
	v_fma_f64 v[0:1], s[36:37], v[4:5], v[0:1]
.LBB490_27:
	flat_store_dwordx2 v[2:3], v[0:1]
.LBB490_28:
	s_endpgm
	.section	.rodata,"a",@progbits
	.p2align	6, 0x0
	.amdhsa_kernel _ZL29rocblas_internal_gemmt_kernelIlLi16ELi32ELi8ELc84ELc84ELc85ELb0ELb0EddPKPKdPKPdEviT_T9_T10_S7_lS9_S7_lS8_T11_S7_li
		.amdhsa_group_segment_fixed_size 4096
		.amdhsa_private_segment_fixed_size 0
		.amdhsa_kernarg_size 108
		.amdhsa_user_sgpr_count 6
		.amdhsa_user_sgpr_private_segment_buffer 1
		.amdhsa_user_sgpr_dispatch_ptr 0
		.amdhsa_user_sgpr_queue_ptr 0
		.amdhsa_user_sgpr_kernarg_segment_ptr 1
		.amdhsa_user_sgpr_dispatch_id 0
		.amdhsa_user_sgpr_flat_scratch_init 0
		.amdhsa_user_sgpr_private_segment_size 0
		.amdhsa_wavefront_size32 1
		.amdhsa_uses_dynamic_stack 0
		.amdhsa_system_sgpr_private_segment_wavefront_offset 0
		.amdhsa_system_sgpr_workgroup_id_x 1
		.amdhsa_system_sgpr_workgroup_id_y 1
		.amdhsa_system_sgpr_workgroup_id_z 1
		.amdhsa_system_sgpr_workgroup_info 0
		.amdhsa_system_vgpr_workitem_id 1
		.amdhsa_next_free_vgpr 46
		.amdhsa_next_free_sgpr 44
		.amdhsa_reserve_vcc 1
		.amdhsa_reserve_flat_scratch 0
		.amdhsa_float_round_mode_32 0
		.amdhsa_float_round_mode_16_64 0
		.amdhsa_float_denorm_mode_32 3
		.amdhsa_float_denorm_mode_16_64 3
		.amdhsa_dx10_clamp 1
		.amdhsa_ieee_mode 1
		.amdhsa_fp16_overflow 0
		.amdhsa_workgroup_processor_mode 1
		.amdhsa_memory_ordered 1
		.amdhsa_forward_progress 1
		.amdhsa_shared_vgpr_count 0
		.amdhsa_exception_fp_ieee_invalid_op 0
		.amdhsa_exception_fp_denorm_src 0
		.amdhsa_exception_fp_ieee_div_zero 0
		.amdhsa_exception_fp_ieee_overflow 0
		.amdhsa_exception_fp_ieee_underflow 0
		.amdhsa_exception_fp_ieee_inexact 0
		.amdhsa_exception_int_div_zero 0
	.end_amdhsa_kernel
	.section	.text._ZL29rocblas_internal_gemmt_kernelIlLi16ELi32ELi8ELc84ELc84ELc85ELb0ELb0EddPKPKdPKPdEviT_T9_T10_S7_lS9_S7_lS8_T11_S7_li,"axG",@progbits,_ZL29rocblas_internal_gemmt_kernelIlLi16ELi32ELi8ELc84ELc84ELc85ELb0ELb0EddPKPKdPKPdEviT_T9_T10_S7_lS9_S7_lS8_T11_S7_li,comdat
.Lfunc_end490:
	.size	_ZL29rocblas_internal_gemmt_kernelIlLi16ELi32ELi8ELc84ELc84ELc85ELb0ELb0EddPKPKdPKPdEviT_T9_T10_S7_lS9_S7_lS8_T11_S7_li, .Lfunc_end490-_ZL29rocblas_internal_gemmt_kernelIlLi16ELi32ELi8ELc84ELc84ELc85ELb0ELb0EddPKPKdPKPdEviT_T9_T10_S7_lS9_S7_lS8_T11_S7_li
                                        ; -- End function
	.set _ZL29rocblas_internal_gemmt_kernelIlLi16ELi32ELi8ELc84ELc84ELc85ELb0ELb0EddPKPKdPKPdEviT_T9_T10_S7_lS9_S7_lS8_T11_S7_li.num_vgpr, 46
	.set _ZL29rocblas_internal_gemmt_kernelIlLi16ELi32ELi8ELc84ELc84ELc85ELb0ELb0EddPKPKdPKPdEviT_T9_T10_S7_lS9_S7_lS8_T11_S7_li.num_agpr, 0
	.set _ZL29rocblas_internal_gemmt_kernelIlLi16ELi32ELi8ELc84ELc84ELc85ELb0ELb0EddPKPKdPKPdEviT_T9_T10_S7_lS9_S7_lS8_T11_S7_li.numbered_sgpr, 44
	.set _ZL29rocblas_internal_gemmt_kernelIlLi16ELi32ELi8ELc84ELc84ELc85ELb0ELb0EddPKPKdPKPdEviT_T9_T10_S7_lS9_S7_lS8_T11_S7_li.num_named_barrier, 0
	.set _ZL29rocblas_internal_gemmt_kernelIlLi16ELi32ELi8ELc84ELc84ELc85ELb0ELb0EddPKPKdPKPdEviT_T9_T10_S7_lS9_S7_lS8_T11_S7_li.private_seg_size, 0
	.set _ZL29rocblas_internal_gemmt_kernelIlLi16ELi32ELi8ELc84ELc84ELc85ELb0ELb0EddPKPKdPKPdEviT_T9_T10_S7_lS9_S7_lS8_T11_S7_li.uses_vcc, 1
	.set _ZL29rocblas_internal_gemmt_kernelIlLi16ELi32ELi8ELc84ELc84ELc85ELb0ELb0EddPKPKdPKPdEviT_T9_T10_S7_lS9_S7_lS8_T11_S7_li.uses_flat_scratch, 0
	.set _ZL29rocblas_internal_gemmt_kernelIlLi16ELi32ELi8ELc84ELc84ELc85ELb0ELb0EddPKPKdPKPdEviT_T9_T10_S7_lS9_S7_lS8_T11_S7_li.has_dyn_sized_stack, 0
	.set _ZL29rocblas_internal_gemmt_kernelIlLi16ELi32ELi8ELc84ELc84ELc85ELb0ELb0EddPKPKdPKPdEviT_T9_T10_S7_lS9_S7_lS8_T11_S7_li.has_recursion, 0
	.set _ZL29rocblas_internal_gemmt_kernelIlLi16ELi32ELi8ELc84ELc84ELc85ELb0ELb0EddPKPKdPKPdEviT_T9_T10_S7_lS9_S7_lS8_T11_S7_li.has_indirect_call, 0
	.section	.AMDGPU.csdata,"",@progbits
; Kernel info:
; codeLenInByte = 1664
; TotalNumSgprs: 46
; NumVgprs: 46
; ScratchSize: 0
; MemoryBound: 0
; FloatMode: 240
; IeeeMode: 1
; LDSByteSize: 4096 bytes/workgroup (compile time only)
; SGPRBlocks: 0
; VGPRBlocks: 5
; NumSGPRsForWavesPerEU: 46
; NumVGPRsForWavesPerEU: 46
; Occupancy: 16
; WaveLimiterHint : 1
; COMPUTE_PGM_RSRC2:SCRATCH_EN: 0
; COMPUTE_PGM_RSRC2:USER_SGPR: 6
; COMPUTE_PGM_RSRC2:TRAP_HANDLER: 0
; COMPUTE_PGM_RSRC2:TGID_X_EN: 1
; COMPUTE_PGM_RSRC2:TGID_Y_EN: 1
; COMPUTE_PGM_RSRC2:TGID_Z_EN: 1
; COMPUTE_PGM_RSRC2:TIDIG_COMP_CNT: 1
	.section	.text._ZL29rocblas_internal_gemmt_kernelIlLi16ELi32ELi8ELc84ELc67ELc85ELb0ELb0EddPKPKdPKPdEviT_T9_T10_S7_lS9_S7_lS8_T11_S7_li,"axG",@progbits,_ZL29rocblas_internal_gemmt_kernelIlLi16ELi32ELi8ELc84ELc67ELc85ELb0ELb0EddPKPKdPKPdEviT_T9_T10_S7_lS9_S7_lS8_T11_S7_li,comdat
	.globl	_ZL29rocblas_internal_gemmt_kernelIlLi16ELi32ELi8ELc84ELc67ELc85ELb0ELb0EddPKPKdPKPdEviT_T9_T10_S7_lS9_S7_lS8_T11_S7_li ; -- Begin function _ZL29rocblas_internal_gemmt_kernelIlLi16ELi32ELi8ELc84ELc67ELc85ELb0ELb0EddPKPKdPKPdEviT_T9_T10_S7_lS9_S7_lS8_T11_S7_li
	.p2align	8
	.type	_ZL29rocblas_internal_gemmt_kernelIlLi16ELi32ELi8ELc84ELc67ELc85ELb0ELb0EddPKPKdPKPdEviT_T9_T10_S7_lS9_S7_lS8_T11_S7_li,@function
_ZL29rocblas_internal_gemmt_kernelIlLi16ELi32ELi8ELc84ELc67ELc85ELb0ELb0EddPKPKdPKPdEviT_T9_T10_S7_lS9_S7_lS8_T11_S7_li: ; @_ZL29rocblas_internal_gemmt_kernelIlLi16ELi32ELi8ELc84ELc67ELc85ELb0ELb0EddPKPKdPKPdEviT_T9_T10_S7_lS9_S7_lS8_T11_S7_li
; %bb.0:
	s_clause 0x1
	s_load_dwordx8 s[36:43], s[4:5], 0x48
	s_load_dwordx16 s[12:27], s[4:5], 0x8
	s_waitcnt lgkmcnt(0)
	v_cmp_neq_f64_e64 s0, s[36:37], 1.0
	s_and_b32 vcc_lo, exec_lo, s0
	s_cbranch_vccnz .LBB491_2
; %bb.1:
	v_cmp_neq_f64_e64 s0, s[14:15], 0
	s_cmp_lg_u64 s[12:13], 0
	s_cselect_b32 s1, -1, 0
	s_and_b32 s0, s1, s0
.LBB491_2:
	s_andn2_b32 vcc_lo, exec_lo, s0
	s_cbranch_vccnz .LBB491_28
; %bb.3:
	v_cmp_eq_f64_e64 s10, s[14:15], 0
	s_mov_b32 s9, 0
	v_mov_b32_e32 v8, 0
	s_lshl_b64 s[0:1], s[8:9], 3
	v_mov_b32_e32 v6, 0
	s_add_u32 s2, s38, s0
	s_addc_u32 s3, s39, s1
	s_load_dword s8, s[4:5], 0x0
	s_load_dwordx2 s[2:3], s[2:3], 0x0
	v_cmp_lt_i64_e64 s4, s[12:13], 1
	v_mov_b32_e32 v4, 0
	v_mov_b32_e32 v2, 0
	;; [unrolled: 1-line block ×6, first 2 shown]
	s_lshl_b32 s6, s6, 5
	s_lshl_b32 s7, s7, 5
	s_or_b32 s4, s10, s4
	s_and_b32 vcc_lo, exec_lo, s4
	s_cbranch_vccnz .LBB491_12
; %bb.4:
	s_add_u32 s4, s22, s0
	s_addc_u32 s5, s23, s1
	s_lshl_b64 s[10:11], s[26:27], 3
	s_load_dwordx2 s[4:5], s[4:5], 0x0
	v_lshl_add_u32 v10, v1, 4, v0
	v_and_b32_e32 v16, 7, v0
	v_mov_b32_e32 v2, 0
	v_mov_b32_e32 v4, 0
	;; [unrolled: 1-line block ×3, first 2 shown]
	v_and_b32_e32 v11, 31, v10
	v_lshrrev_b32_e32 v14, 3, v10
	v_lshrrev_b32_e32 v19, 5, v10
	v_lshlrev_b32_e32 v20, 3, v16
	v_mov_b32_e32 v8, 0
	v_or_b32_e32 v15, s6, v11
	v_add_nc_u32_e32 v10, s7, v14
	v_lshlrev_b32_e32 v21, 3, v11
	v_lshl_or_b32 v23, v14, 6, v20
	v_lshlrev_b32_e32 v17, 3, v0
	v_mul_lo_u32 v22, s19, v15
	v_mad_u64_u32 v[12:13], null, s18, v15, 0
	v_ashrrev_i32_e32 v11, 31, v10
	s_waitcnt lgkmcnt(0)
	s_add_u32 s9, s4, s10
	s_addc_u32 s10, s5, s11
	s_add_u32 s0, s16, s0
	s_addc_u32 s1, s17, s1
	s_lshl_b64 s[4:5], s[20:21], 3
	s_load_dwordx2 s[0:1], s[0:1], 0x0
	v_lshl_or_b32 v20, v19, 8, v21
	v_add_nc_u32_e32 v21, 0x800, v23
	v_lshl_add_u32 v18, v1, 6, 0x800
	v_mov_b32_e32 v3, 0
	v_mov_b32_e32 v5, 0
	;; [unrolled: 1-line block ×4, first 2 shown]
	s_waitcnt lgkmcnt(0)
	s_add_u32 s4, s0, s4
	s_addc_u32 s5, s1, s5
	s_ashr_i32 s0, s6, 31
	s_mul_i32 s1, s18, s0
	v_cmp_gt_i32_e64 s0, s8, v15
	v_add3_u32 v13, v13, s1, v22
	v_lshlrev_b64 v[14:15], 3, v[10:11]
	v_cmp_gt_i32_e64 s1, s8, v10
	v_lshlrev_b64 v[10:11], 3, v[12:13]
	v_add_co_u32 v22, vcc_lo, s9, v14
	v_add_co_ci_u32_e64 v23, null, s10, v15, vcc_lo
	v_add_co_u32 v24, vcc_lo, s4, v10
	v_add_co_ci_u32_e64 v25, null, s5, v11, vcc_lo
	v_mov_b32_e32 v11, 0
	s_mov_b64 s[4:5], 0
	s_branch .LBB491_6
.LBB491_5:                              ;   in Loop: Header=BB491_6 Depth=1
	s_or_b32 exec_lo, exec_lo, s9
	s_waitcnt vmcnt(0) lgkmcnt(0)
	ds_write_b64 v21, v[14:15]
	s_waitcnt lgkmcnt(0)
	s_barrier
	buffer_gl0_inv
	ds_read_b128 v[12:15], v18
	ds_read2_b64 v[26:29], v17 offset1:16
	ds_read_b128 v[30:33], v18 offset:1024
	ds_read_b128 v[34:37], v18 offset:16
	ds_read2_b64 v[38:41], v17 offset0:32 offset1:48
	ds_read_b128 v[42:45], v18 offset:1040
	s_add_u32 s4, s4, 8
	s_addc_u32 s5, s5, 0
	v_cmp_gt_i64_e64 s9, s[12:13], s[4:5]
	s_and_b32 vcc_lo, exec_lo, s9
	s_waitcnt lgkmcnt(4)
	v_fma_f64 v[8:9], v[26:27], v[12:13], v[8:9]
	v_fma_f64 v[6:7], v[28:29], v[12:13], v[6:7]
	s_waitcnt lgkmcnt(3)
	v_fma_f64 v[12:13], v[26:27], v[30:31], v[4:5]
	v_fma_f64 v[26:27], v[28:29], v[30:31], v[2:3]
	ds_read2_b64 v[2:5], v17 offset0:64 offset1:80
	s_waitcnt lgkmcnt(2)
	v_fma_f64 v[28:29], v[38:39], v[14:15], v[8:9]
	v_fma_f64 v[14:15], v[40:41], v[14:15], v[6:7]
	;; [unrolled: 1-line block ×4, first 2 shown]
	ds_read2_b64 v[6:9], v17 offset0:96 offset1:112
	s_waitcnt lgkmcnt(1)
	v_fma_f64 v[28:29], v[2:3], v[34:35], v[28:29]
	v_fma_f64 v[30:31], v[4:5], v[34:35], v[14:15]
	;; [unrolled: 1-line block ×4, first 2 shown]
	ds_read_b128 v[2:5], v18 offset:32
	ds_read2_b64 v[12:15], v17 offset0:128 offset1:144
	s_waitcnt lgkmcnt(2)
	v_fma_f64 v[38:39], v[6:7], v[36:37], v[28:29]
	v_fma_f64 v[40:41], v[8:9], v[36:37], v[30:31]
	;; [unrolled: 1-line block ×4, first 2 shown]
	ds_read_b128 v[6:9], v18 offset:1056
	ds_read_b128 v[26:29], v18 offset:48
	ds_read2_b64 v[30:33], v17 offset0:160 offset1:176
	ds_read_b128 v[34:37], v18 offset:1072
	s_waitcnt lgkmcnt(4)
	v_fma_f64 v[38:39], v[12:13], v[2:3], v[38:39]
	v_fma_f64 v[2:3], v[14:15], v[2:3], v[40:41]
	s_waitcnt lgkmcnt(3)
	v_fma_f64 v[40:41], v[12:13], v[6:7], v[42:43]
	v_fma_f64 v[6:7], v[14:15], v[6:7], v[44:45]
	ds_read2_b64 v[12:15], v17 offset0:192 offset1:208
	s_waitcnt lgkmcnt(2)
	v_fma_f64 v[38:39], v[30:31], v[4:5], v[38:39]
	v_fma_f64 v[2:3], v[32:33], v[4:5], v[2:3]
	;; [unrolled: 1-line block ×4, first 2 shown]
	ds_read2_b64 v[30:33], v17 offset0:224 offset1:240
	s_waitcnt lgkmcnt(0)
	s_barrier
	buffer_gl0_inv
	v_fma_f64 v[8:9], v[12:13], v[26:27], v[38:39]
	v_fma_f64 v[2:3], v[14:15], v[26:27], v[2:3]
	;; [unrolled: 1-line block ×8, first 2 shown]
	s_cbranch_vccz .LBB491_12
.LBB491_6:                              ; =>This Inner Loop Header: Depth=1
	v_mov_b32_e32 v12, 0
	v_mov_b32_e32 v13, 0
	s_and_saveexec_b32 s9, s0
	s_cbranch_execz .LBB491_10
; %bb.7:                                ;   in Loop: Header=BB491_6 Depth=1
	v_mov_b32_e32 v12, 0
	v_add_nc_u32_e32 v10, s4, v19
	v_mov_b32_e32 v13, 0
	s_mov_b32 s10, exec_lo
	v_cmpx_gt_u64_e64 s[12:13], v[10:11]
	s_cbranch_execz .LBB491_9
; %bb.8:                                ;   in Loop: Header=BB491_6 Depth=1
	v_lshlrev_b64 v[12:13], 3, v[10:11]
	v_add_co_u32 v12, vcc_lo, v24, v12
	v_add_co_ci_u32_e64 v13, null, v25, v13, vcc_lo
	flat_load_dwordx2 v[12:13], v[12:13]
.LBB491_9:                              ;   in Loop: Header=BB491_6 Depth=1
	s_or_b32 exec_lo, exec_lo, s10
.LBB491_10:                             ;   in Loop: Header=BB491_6 Depth=1
	s_or_b32 exec_lo, exec_lo, s9
	v_add_nc_u32_e32 v10, s4, v16
	v_mov_b32_e32 v14, 0
	v_mov_b32_e32 v15, 0
	s_waitcnt vmcnt(0) lgkmcnt(0)
	ds_write_b64 v20, v[12:13]
	v_cmp_gt_u64_e32 vcc_lo, s[12:13], v[10:11]
	s_and_b32 s10, vcc_lo, s1
	s_and_saveexec_b32 s9, s10
	s_cbranch_execz .LBB491_5
; %bb.11:                               ;   in Loop: Header=BB491_6 Depth=1
	v_mad_u64_u32 v[12:13], null, s24, v10, 0
	v_mad_u64_u32 v[13:14], null, s25, v10, v[13:14]
	v_lshlrev_b64 v[12:13], 3, v[12:13]
	v_add_co_u32 v12, vcc_lo, v22, v12
	v_add_co_ci_u32_e64 v13, null, v23, v13, vcc_lo
	flat_load_dwordx2 v[14:15], v[12:13]
	s_branch .LBB491_5
.LBB491_12:
	v_add_nc_u32_e32 v13, s7, v1
	v_cmp_neq_f64_e64 s4, s[36:37], 0
	v_add_nc_u32_e32 v0, s6, v0
	s_lshl_b64 s[0:1], s[42:43], 3
	s_waitcnt lgkmcnt(0)
	s_add_u32 s2, s2, s0
	v_ashrrev_i32_e32 v1, 31, v13
	v_mul_lo_u32 v12, s41, v13
	v_mad_u64_u32 v[10:11], null, s40, v13, 0
	s_addc_u32 s3, s3, s1
	v_mul_lo_u32 v1, s40, v1
	v_cmp_gt_i32_e64 s0, s8, v13
	v_cmp_le_i32_e32 vcc_lo, v0, v13
	s_and_b32 s5, s0, vcc_lo
	v_add3_u32 v11, v11, v1, v12
	v_ashrrev_i32_e32 v1, 31, v0
	v_cndmask_b32_e64 v12, 0, 1, s4
	v_lshlrev_b64 v[10:11], 3, v[10:11]
	v_add_co_u32 v14, s1, s2, v10
	v_add_co_ci_u32_e64 v15, null, s3, v11, s1
	s_and_saveexec_b32 s1, s5
	s_cbranch_execz .LBB491_16
; %bb.13:
	v_mul_f64 v[8:9], s[14:15], v[8:9]
	v_lshlrev_b64 v[10:11], 3, v[0:1]
	v_add_co_u32 v10, vcc_lo, v14, v10
	v_add_co_ci_u32_e64 v11, null, v15, v11, vcc_lo
	s_andn2_b32 vcc_lo, exec_lo, s4
	s_cbranch_vccnz .LBB491_15
; %bb.14:
	flat_load_dwordx2 v[16:17], v[10:11]
	s_waitcnt vmcnt(0) lgkmcnt(0)
	v_fma_f64 v[8:9], s[36:37], v[16:17], v[8:9]
.LBB491_15:
	flat_store_dwordx2 v[10:11], v[8:9]
.LBB491_16:
	s_or_b32 exec_lo, exec_lo, s1
	v_add_nc_u32_e32 v8, 16, v0
	v_cmp_le_i32_e32 vcc_lo, v8, v13
	v_ashrrev_i32_e32 v9, 31, v8
	s_and_b32 s0, s0, vcc_lo
	s_and_saveexec_b32 s1, s0
	s_cbranch_execz .LBB491_20
; %bb.17:
	v_mul_f64 v[6:7], s[14:15], v[6:7]
	v_lshlrev_b64 v[10:11], 3, v[8:9]
	v_cmp_ne_u32_e32 vcc_lo, 1, v12
	v_add_co_u32 v10, s0, v14, v10
	v_add_co_ci_u32_e64 v11, null, v15, v11, s0
	s_cbranch_vccnz .LBB491_19
; %bb.18:
	flat_load_dwordx2 v[14:15], v[10:11]
	s_waitcnt vmcnt(0) lgkmcnt(0)
	v_fma_f64 v[6:7], s[36:37], v[14:15], v[6:7]
.LBB491_19:
	flat_store_dwordx2 v[10:11], v[6:7]
.LBB491_20:
	s_or_b32 exec_lo, exec_lo, s1
	v_add_nc_u32_e32 v10, 16, v13
	v_ashrrev_i32_e32 v11, 31, v10
	v_mul_lo_u32 v13, s41, v10
	v_mad_u64_u32 v[6:7], null, s40, v10, 0
	v_cmp_gt_i32_e64 s0, s8, v10
	v_mul_lo_u32 v11, s40, v11
	v_cmp_le_i32_e32 vcc_lo, v0, v10
	v_add3_u32 v7, v7, v11, v13
	v_lshlrev_b64 v[6:7], 3, v[6:7]
	v_add_co_u32 v6, s1, s2, v6
	v_add_co_ci_u32_e64 v7, null, s3, v7, s1
	s_and_b32 s1, s0, vcc_lo
	s_and_saveexec_b32 s2, s1
	s_cbranch_execz .LBB491_24
; %bb.21:
	v_mul_f64 v[4:5], s[14:15], v[4:5]
	v_lshlrev_b64 v[0:1], 3, v[0:1]
	v_cmp_ne_u32_e32 vcc_lo, 1, v12
	v_add_co_u32 v0, s1, v6, v0
	v_add_co_ci_u32_e64 v1, null, v7, v1, s1
	s_cbranch_vccnz .LBB491_23
; %bb.22:
	flat_load_dwordx2 v[13:14], v[0:1]
	s_waitcnt vmcnt(0) lgkmcnt(0)
	v_fma_f64 v[4:5], s[36:37], v[13:14], v[4:5]
.LBB491_23:
	flat_store_dwordx2 v[0:1], v[4:5]
.LBB491_24:
	s_or_b32 exec_lo, exec_lo, s2
	v_cmp_le_i32_e32 vcc_lo, v8, v10
	s_and_b32 s0, s0, vcc_lo
	s_and_saveexec_b32 s1, s0
	s_cbranch_execz .LBB491_28
; %bb.25:
	v_mul_f64 v[0:1], s[14:15], v[2:3]
	v_lshlrev_b64 v[2:3], 3, v[8:9]
	v_cmp_ne_u32_e32 vcc_lo, 1, v12
	v_add_co_u32 v2, s0, v6, v2
	v_add_co_ci_u32_e64 v3, null, v7, v3, s0
	s_cbranch_vccnz .LBB491_27
; %bb.26:
	flat_load_dwordx2 v[4:5], v[2:3]
	s_waitcnt vmcnt(0) lgkmcnt(0)
	v_fma_f64 v[0:1], s[36:37], v[4:5], v[0:1]
.LBB491_27:
	flat_store_dwordx2 v[2:3], v[0:1]
.LBB491_28:
	s_endpgm
	.section	.rodata,"a",@progbits
	.p2align	6, 0x0
	.amdhsa_kernel _ZL29rocblas_internal_gemmt_kernelIlLi16ELi32ELi8ELc84ELc67ELc85ELb0ELb0EddPKPKdPKPdEviT_T9_T10_S7_lS9_S7_lS8_T11_S7_li
		.amdhsa_group_segment_fixed_size 4096
		.amdhsa_private_segment_fixed_size 0
		.amdhsa_kernarg_size 108
		.amdhsa_user_sgpr_count 6
		.amdhsa_user_sgpr_private_segment_buffer 1
		.amdhsa_user_sgpr_dispatch_ptr 0
		.amdhsa_user_sgpr_queue_ptr 0
		.amdhsa_user_sgpr_kernarg_segment_ptr 1
		.amdhsa_user_sgpr_dispatch_id 0
		.amdhsa_user_sgpr_flat_scratch_init 0
		.amdhsa_user_sgpr_private_segment_size 0
		.amdhsa_wavefront_size32 1
		.amdhsa_uses_dynamic_stack 0
		.amdhsa_system_sgpr_private_segment_wavefront_offset 0
		.amdhsa_system_sgpr_workgroup_id_x 1
		.amdhsa_system_sgpr_workgroup_id_y 1
		.amdhsa_system_sgpr_workgroup_id_z 1
		.amdhsa_system_sgpr_workgroup_info 0
		.amdhsa_system_vgpr_workitem_id 1
		.amdhsa_next_free_vgpr 46
		.amdhsa_next_free_sgpr 44
		.amdhsa_reserve_vcc 1
		.amdhsa_reserve_flat_scratch 0
		.amdhsa_float_round_mode_32 0
		.amdhsa_float_round_mode_16_64 0
		.amdhsa_float_denorm_mode_32 3
		.amdhsa_float_denorm_mode_16_64 3
		.amdhsa_dx10_clamp 1
		.amdhsa_ieee_mode 1
		.amdhsa_fp16_overflow 0
		.amdhsa_workgroup_processor_mode 1
		.amdhsa_memory_ordered 1
		.amdhsa_forward_progress 1
		.amdhsa_shared_vgpr_count 0
		.amdhsa_exception_fp_ieee_invalid_op 0
		.amdhsa_exception_fp_denorm_src 0
		.amdhsa_exception_fp_ieee_div_zero 0
		.amdhsa_exception_fp_ieee_overflow 0
		.amdhsa_exception_fp_ieee_underflow 0
		.amdhsa_exception_fp_ieee_inexact 0
		.amdhsa_exception_int_div_zero 0
	.end_amdhsa_kernel
	.section	.text._ZL29rocblas_internal_gemmt_kernelIlLi16ELi32ELi8ELc84ELc67ELc85ELb0ELb0EddPKPKdPKPdEviT_T9_T10_S7_lS9_S7_lS8_T11_S7_li,"axG",@progbits,_ZL29rocblas_internal_gemmt_kernelIlLi16ELi32ELi8ELc84ELc67ELc85ELb0ELb0EddPKPKdPKPdEviT_T9_T10_S7_lS9_S7_lS8_T11_S7_li,comdat
.Lfunc_end491:
	.size	_ZL29rocblas_internal_gemmt_kernelIlLi16ELi32ELi8ELc84ELc67ELc85ELb0ELb0EddPKPKdPKPdEviT_T9_T10_S7_lS9_S7_lS8_T11_S7_li, .Lfunc_end491-_ZL29rocblas_internal_gemmt_kernelIlLi16ELi32ELi8ELc84ELc67ELc85ELb0ELb0EddPKPKdPKPdEviT_T9_T10_S7_lS9_S7_lS8_T11_S7_li
                                        ; -- End function
	.set _ZL29rocblas_internal_gemmt_kernelIlLi16ELi32ELi8ELc84ELc67ELc85ELb0ELb0EddPKPKdPKPdEviT_T9_T10_S7_lS9_S7_lS8_T11_S7_li.num_vgpr, 46
	.set _ZL29rocblas_internal_gemmt_kernelIlLi16ELi32ELi8ELc84ELc67ELc85ELb0ELb0EddPKPKdPKPdEviT_T9_T10_S7_lS9_S7_lS8_T11_S7_li.num_agpr, 0
	.set _ZL29rocblas_internal_gemmt_kernelIlLi16ELi32ELi8ELc84ELc67ELc85ELb0ELb0EddPKPKdPKPdEviT_T9_T10_S7_lS9_S7_lS8_T11_S7_li.numbered_sgpr, 44
	.set _ZL29rocblas_internal_gemmt_kernelIlLi16ELi32ELi8ELc84ELc67ELc85ELb0ELb0EddPKPKdPKPdEviT_T9_T10_S7_lS9_S7_lS8_T11_S7_li.num_named_barrier, 0
	.set _ZL29rocblas_internal_gemmt_kernelIlLi16ELi32ELi8ELc84ELc67ELc85ELb0ELb0EddPKPKdPKPdEviT_T9_T10_S7_lS9_S7_lS8_T11_S7_li.private_seg_size, 0
	.set _ZL29rocblas_internal_gemmt_kernelIlLi16ELi32ELi8ELc84ELc67ELc85ELb0ELb0EddPKPKdPKPdEviT_T9_T10_S7_lS9_S7_lS8_T11_S7_li.uses_vcc, 1
	.set _ZL29rocblas_internal_gemmt_kernelIlLi16ELi32ELi8ELc84ELc67ELc85ELb0ELb0EddPKPKdPKPdEviT_T9_T10_S7_lS9_S7_lS8_T11_S7_li.uses_flat_scratch, 0
	.set _ZL29rocblas_internal_gemmt_kernelIlLi16ELi32ELi8ELc84ELc67ELc85ELb0ELb0EddPKPKdPKPdEviT_T9_T10_S7_lS9_S7_lS8_T11_S7_li.has_dyn_sized_stack, 0
	.set _ZL29rocblas_internal_gemmt_kernelIlLi16ELi32ELi8ELc84ELc67ELc85ELb0ELb0EddPKPKdPKPdEviT_T9_T10_S7_lS9_S7_lS8_T11_S7_li.has_recursion, 0
	.set _ZL29rocblas_internal_gemmt_kernelIlLi16ELi32ELi8ELc84ELc67ELc85ELb0ELb0EddPKPKdPKPdEviT_T9_T10_S7_lS9_S7_lS8_T11_S7_li.has_indirect_call, 0
	.section	.AMDGPU.csdata,"",@progbits
; Kernel info:
; codeLenInByte = 1664
; TotalNumSgprs: 46
; NumVgprs: 46
; ScratchSize: 0
; MemoryBound: 0
; FloatMode: 240
; IeeeMode: 1
; LDSByteSize: 4096 bytes/workgroup (compile time only)
; SGPRBlocks: 0
; VGPRBlocks: 5
; NumSGPRsForWavesPerEU: 46
; NumVGPRsForWavesPerEU: 46
; Occupancy: 16
; WaveLimiterHint : 1
; COMPUTE_PGM_RSRC2:SCRATCH_EN: 0
; COMPUTE_PGM_RSRC2:USER_SGPR: 6
; COMPUTE_PGM_RSRC2:TRAP_HANDLER: 0
; COMPUTE_PGM_RSRC2:TGID_X_EN: 1
; COMPUTE_PGM_RSRC2:TGID_Y_EN: 1
; COMPUTE_PGM_RSRC2:TGID_Z_EN: 1
; COMPUTE_PGM_RSRC2:TIDIG_COMP_CNT: 1
	.section	.text._ZL29rocblas_internal_gemmt_kernelIlLi16ELi32ELi8ELc67ELc78ELc85ELb0ELb0EddPKPKdPKPdEviT_T9_T10_S7_lS9_S7_lS8_T11_S7_li,"axG",@progbits,_ZL29rocblas_internal_gemmt_kernelIlLi16ELi32ELi8ELc67ELc78ELc85ELb0ELb0EddPKPKdPKPdEviT_T9_T10_S7_lS9_S7_lS8_T11_S7_li,comdat
	.globl	_ZL29rocblas_internal_gemmt_kernelIlLi16ELi32ELi8ELc67ELc78ELc85ELb0ELb0EddPKPKdPKPdEviT_T9_T10_S7_lS9_S7_lS8_T11_S7_li ; -- Begin function _ZL29rocblas_internal_gemmt_kernelIlLi16ELi32ELi8ELc67ELc78ELc85ELb0ELb0EddPKPKdPKPdEviT_T9_T10_S7_lS9_S7_lS8_T11_S7_li
	.p2align	8
	.type	_ZL29rocblas_internal_gemmt_kernelIlLi16ELi32ELi8ELc67ELc78ELc85ELb0ELb0EddPKPKdPKPdEviT_T9_T10_S7_lS9_S7_lS8_T11_S7_li,@function
_ZL29rocblas_internal_gemmt_kernelIlLi16ELi32ELi8ELc67ELc78ELc85ELb0ELb0EddPKPKdPKPdEviT_T9_T10_S7_lS9_S7_lS8_T11_S7_li: ; @_ZL29rocblas_internal_gemmt_kernelIlLi16ELi32ELi8ELc67ELc78ELc85ELb0ELb0EddPKPKdPKPdEviT_T9_T10_S7_lS9_S7_lS8_T11_S7_li
; %bb.0:
	s_clause 0x1
	s_load_dwordx8 s[36:43], s[4:5], 0x48
	s_load_dwordx16 s[12:27], s[4:5], 0x8
	s_waitcnt lgkmcnt(0)
	v_cmp_neq_f64_e64 s0, s[36:37], 1.0
	s_and_b32 vcc_lo, exec_lo, s0
	s_cbranch_vccnz .LBB492_2
; %bb.1:
	v_cmp_neq_f64_e64 s0, s[14:15], 0
	s_cmp_lg_u64 s[12:13], 0
	s_cselect_b32 s1, -1, 0
	s_and_b32 s0, s1, s0
.LBB492_2:
	s_andn2_b32 vcc_lo, exec_lo, s0
	s_cbranch_vccnz .LBB492_28
; %bb.3:
	v_cmp_eq_f64_e64 s10, s[14:15], 0
	s_mov_b32 s9, 0
	v_mov_b32_e32 v8, 0
	s_lshl_b64 s[0:1], s[8:9], 3
	v_mov_b32_e32 v6, 0
	s_add_u32 s2, s38, s0
	s_addc_u32 s3, s39, s1
	s_load_dword s8, s[4:5], 0x0
	s_load_dwordx2 s[2:3], s[2:3], 0x0
	v_cmp_lt_i64_e64 s4, s[12:13], 1
	v_mov_b32_e32 v4, 0
	v_mov_b32_e32 v2, 0
	;; [unrolled: 1-line block ×6, first 2 shown]
	s_lshl_b32 s6, s6, 5
	s_lshl_b32 s7, s7, 5
	s_or_b32 s4, s10, s4
	s_and_b32 vcc_lo, exec_lo, s4
	s_cbranch_vccnz .LBB492_12
; %bb.4:
	s_add_u32 s4, s22, s0
	s_addc_u32 s5, s23, s1
	s_lshl_b64 s[10:11], s[26:27], 3
	s_load_dwordx2 s[4:5], s[4:5], 0x0
	v_lshl_add_u32 v12, v1, 4, v0
	v_and_b32_e32 v16, 7, v0
	v_mov_b32_e32 v2, 0
	v_mov_b32_e32 v4, 0
	;; [unrolled: 1-line block ×3, first 2 shown]
	v_lshrrev_b32_e32 v14, 3, v12
	v_and_b32_e32 v13, 31, v12
	v_lshlrev_b32_e32 v23, 3, v16
	v_mov_b32_e32 v8, 0
	v_lshlrev_b32_e32 v17, 3, v0
	v_add_nc_u32_e32 v15, s7, v14
	v_or_b32_e32 v20, s6, v13
	v_lshlrev_b32_e32 v24, 3, v13
	v_lshl_or_b32 v14, v14, 6, v23
	v_lshl_add_u32 v18, v1, 6, 0x800
	v_ashrrev_i32_e32 v19, 31, v15
	v_mul_lo_u32 v21, s25, v15
	v_mad_u64_u32 v[10:11], null, s24, v15, 0
	s_waitcnt lgkmcnt(0)
	s_add_u32 s9, s4, s10
	s_addc_u32 s10, s5, s11
	s_add_u32 s0, s16, s0
	s_addc_u32 s1, s17, s1
	v_mul_lo_u32 v22, s24, v19
	s_load_dwordx2 s[0:1], s[0:1], 0x0
	v_lshrrev_b32_e32 v19, 5, v12
	v_mul_lo_u32 v25, s19, v20
	v_mad_u64_u32 v[12:13], null, s18, v20, 0
	s_lshl_b64 s[4:5], s[20:21], 3
	v_mov_b32_e32 v3, 0
	v_add3_u32 v11, v11, v22, v21
	v_mov_b32_e32 v5, 0
	v_mov_b32_e32 v7, 0
	;; [unrolled: 1-line block ×3, first 2 shown]
	v_add_nc_u32_e32 v21, 0x800, v14
	v_lshlrev_b64 v[10:11], 3, v[10:11]
	v_add_co_u32 v22, vcc_lo, s9, v10
	s_waitcnt lgkmcnt(0)
	s_add_u32 s4, s0, s4
	s_addc_u32 s5, s1, s5
	s_ashr_i32 s0, s6, 31
	v_add_co_ci_u32_e64 v23, null, s10, v11, vcc_lo
	s_mul_i32 s1, s18, s0
	v_cmp_gt_i32_e64 s0, s8, v20
	v_add3_u32 v13, v13, s1, v25
	v_lshl_or_b32 v20, v19, 8, v24
	v_cmp_gt_i32_e64 s1, s8, v15
	v_mov_b32_e32 v11, 0
	v_lshlrev_b64 v[12:13], 3, v[12:13]
	v_add_co_u32 v24, vcc_lo, s4, v12
	v_add_co_ci_u32_e64 v25, null, s5, v13, vcc_lo
	s_mov_b64 s[4:5], 0
	s_branch .LBB492_6
.LBB492_5:                              ;   in Loop: Header=BB492_6 Depth=1
	s_or_b32 exec_lo, exec_lo, s9
	s_waitcnt vmcnt(0) lgkmcnt(0)
	ds_write_b64 v21, v[14:15]
	s_waitcnt lgkmcnt(0)
	s_barrier
	buffer_gl0_inv
	ds_read_b128 v[12:15], v18
	ds_read2_b64 v[26:29], v17 offset1:16
	ds_read_b128 v[30:33], v18 offset:1024
	ds_read_b128 v[34:37], v18 offset:16
	ds_read2_b64 v[38:41], v17 offset0:32 offset1:48
	ds_read_b128 v[42:45], v18 offset:1040
	s_add_u32 s4, s4, 8
	s_addc_u32 s5, s5, 0
	v_cmp_gt_i64_e64 s9, s[12:13], s[4:5]
	s_and_b32 vcc_lo, exec_lo, s9
	s_waitcnt lgkmcnt(4)
	v_fma_f64 v[8:9], v[26:27], v[12:13], v[8:9]
	v_fma_f64 v[6:7], v[28:29], v[12:13], v[6:7]
	s_waitcnt lgkmcnt(3)
	v_fma_f64 v[12:13], v[26:27], v[30:31], v[4:5]
	v_fma_f64 v[26:27], v[28:29], v[30:31], v[2:3]
	ds_read2_b64 v[2:5], v17 offset0:64 offset1:80
	s_waitcnt lgkmcnt(2)
	v_fma_f64 v[28:29], v[38:39], v[14:15], v[8:9]
	v_fma_f64 v[14:15], v[40:41], v[14:15], v[6:7]
	;; [unrolled: 1-line block ×4, first 2 shown]
	ds_read2_b64 v[6:9], v17 offset0:96 offset1:112
	s_waitcnt lgkmcnt(1)
	v_fma_f64 v[28:29], v[2:3], v[34:35], v[28:29]
	v_fma_f64 v[30:31], v[4:5], v[34:35], v[14:15]
	;; [unrolled: 1-line block ×4, first 2 shown]
	ds_read_b128 v[2:5], v18 offset:32
	ds_read2_b64 v[12:15], v17 offset0:128 offset1:144
	s_waitcnt lgkmcnt(2)
	v_fma_f64 v[38:39], v[6:7], v[36:37], v[28:29]
	v_fma_f64 v[40:41], v[8:9], v[36:37], v[30:31]
	;; [unrolled: 1-line block ×4, first 2 shown]
	ds_read_b128 v[6:9], v18 offset:1056
	ds_read_b128 v[26:29], v18 offset:48
	ds_read2_b64 v[30:33], v17 offset0:160 offset1:176
	ds_read_b128 v[34:37], v18 offset:1072
	s_waitcnt lgkmcnt(4)
	v_fma_f64 v[38:39], v[12:13], v[2:3], v[38:39]
	v_fma_f64 v[2:3], v[14:15], v[2:3], v[40:41]
	s_waitcnt lgkmcnt(3)
	v_fma_f64 v[40:41], v[12:13], v[6:7], v[42:43]
	v_fma_f64 v[6:7], v[14:15], v[6:7], v[44:45]
	ds_read2_b64 v[12:15], v17 offset0:192 offset1:208
	s_waitcnt lgkmcnt(2)
	v_fma_f64 v[38:39], v[30:31], v[4:5], v[38:39]
	v_fma_f64 v[2:3], v[32:33], v[4:5], v[2:3]
	;; [unrolled: 1-line block ×4, first 2 shown]
	ds_read2_b64 v[30:33], v17 offset0:224 offset1:240
	s_waitcnt lgkmcnt(0)
	s_barrier
	buffer_gl0_inv
	v_fma_f64 v[8:9], v[12:13], v[26:27], v[38:39]
	v_fma_f64 v[2:3], v[14:15], v[26:27], v[2:3]
	;; [unrolled: 1-line block ×8, first 2 shown]
	s_cbranch_vccz .LBB492_12
.LBB492_6:                              ; =>This Inner Loop Header: Depth=1
	v_mov_b32_e32 v12, 0
	v_mov_b32_e32 v13, 0
	s_and_saveexec_b32 s9, s0
	s_cbranch_execz .LBB492_10
; %bb.7:                                ;   in Loop: Header=BB492_6 Depth=1
	v_mov_b32_e32 v12, 0
	v_add_nc_u32_e32 v10, s4, v19
	v_mov_b32_e32 v13, 0
	s_mov_b32 s10, exec_lo
	v_cmpx_gt_u64_e64 s[12:13], v[10:11]
	s_cbranch_execz .LBB492_9
; %bb.8:                                ;   in Loop: Header=BB492_6 Depth=1
	v_lshlrev_b64 v[12:13], 3, v[10:11]
	v_add_co_u32 v12, vcc_lo, v24, v12
	v_add_co_ci_u32_e64 v13, null, v25, v13, vcc_lo
	flat_load_dwordx2 v[12:13], v[12:13]
.LBB492_9:                              ;   in Loop: Header=BB492_6 Depth=1
	s_or_b32 exec_lo, exec_lo, s10
.LBB492_10:                             ;   in Loop: Header=BB492_6 Depth=1
	s_or_b32 exec_lo, exec_lo, s9
	v_add_nc_u32_e32 v10, s4, v16
	v_mov_b32_e32 v14, 0
	v_mov_b32_e32 v15, 0
	s_waitcnt vmcnt(0) lgkmcnt(0)
	ds_write_b64 v20, v[12:13]
	v_cmp_gt_u64_e32 vcc_lo, s[12:13], v[10:11]
	s_and_b32 s10, vcc_lo, s1
	s_and_saveexec_b32 s9, s10
	s_cbranch_execz .LBB492_5
; %bb.11:                               ;   in Loop: Header=BB492_6 Depth=1
	v_lshlrev_b64 v[12:13], 3, v[10:11]
	v_add_co_u32 v12, vcc_lo, v22, v12
	v_add_co_ci_u32_e64 v13, null, v23, v13, vcc_lo
	flat_load_dwordx2 v[14:15], v[12:13]
	s_branch .LBB492_5
.LBB492_12:
	v_add_nc_u32_e32 v13, s7, v1
	v_cmp_neq_f64_e64 s4, s[36:37], 0
	v_add_nc_u32_e32 v0, s6, v0
	s_lshl_b64 s[0:1], s[42:43], 3
	s_waitcnt lgkmcnt(0)
	s_add_u32 s2, s2, s0
	v_ashrrev_i32_e32 v1, 31, v13
	v_mul_lo_u32 v12, s41, v13
	v_mad_u64_u32 v[10:11], null, s40, v13, 0
	s_addc_u32 s3, s3, s1
	v_mul_lo_u32 v1, s40, v1
	v_cmp_gt_i32_e64 s0, s8, v13
	v_cmp_le_i32_e32 vcc_lo, v0, v13
	s_and_b32 s5, s0, vcc_lo
	v_add3_u32 v11, v11, v1, v12
	v_ashrrev_i32_e32 v1, 31, v0
	v_cndmask_b32_e64 v12, 0, 1, s4
	v_lshlrev_b64 v[10:11], 3, v[10:11]
	v_add_co_u32 v14, s1, s2, v10
	v_add_co_ci_u32_e64 v15, null, s3, v11, s1
	s_and_saveexec_b32 s1, s5
	s_cbranch_execz .LBB492_16
; %bb.13:
	v_mul_f64 v[8:9], s[14:15], v[8:9]
	v_lshlrev_b64 v[10:11], 3, v[0:1]
	v_add_co_u32 v10, vcc_lo, v14, v10
	v_add_co_ci_u32_e64 v11, null, v15, v11, vcc_lo
	s_andn2_b32 vcc_lo, exec_lo, s4
	s_cbranch_vccnz .LBB492_15
; %bb.14:
	flat_load_dwordx2 v[16:17], v[10:11]
	s_waitcnt vmcnt(0) lgkmcnt(0)
	v_fma_f64 v[8:9], s[36:37], v[16:17], v[8:9]
.LBB492_15:
	flat_store_dwordx2 v[10:11], v[8:9]
.LBB492_16:
	s_or_b32 exec_lo, exec_lo, s1
	v_add_nc_u32_e32 v8, 16, v0
	v_cmp_le_i32_e32 vcc_lo, v8, v13
	v_ashrrev_i32_e32 v9, 31, v8
	s_and_b32 s0, s0, vcc_lo
	s_and_saveexec_b32 s1, s0
	s_cbranch_execz .LBB492_20
; %bb.17:
	v_mul_f64 v[6:7], s[14:15], v[6:7]
	v_lshlrev_b64 v[10:11], 3, v[8:9]
	v_cmp_ne_u32_e32 vcc_lo, 1, v12
	v_add_co_u32 v10, s0, v14, v10
	v_add_co_ci_u32_e64 v11, null, v15, v11, s0
	s_cbranch_vccnz .LBB492_19
; %bb.18:
	flat_load_dwordx2 v[14:15], v[10:11]
	s_waitcnt vmcnt(0) lgkmcnt(0)
	v_fma_f64 v[6:7], s[36:37], v[14:15], v[6:7]
.LBB492_19:
	flat_store_dwordx2 v[10:11], v[6:7]
.LBB492_20:
	s_or_b32 exec_lo, exec_lo, s1
	v_add_nc_u32_e32 v10, 16, v13
	v_ashrrev_i32_e32 v11, 31, v10
	v_mul_lo_u32 v13, s41, v10
	v_mad_u64_u32 v[6:7], null, s40, v10, 0
	v_cmp_gt_i32_e64 s0, s8, v10
	v_mul_lo_u32 v11, s40, v11
	v_cmp_le_i32_e32 vcc_lo, v0, v10
	v_add3_u32 v7, v7, v11, v13
	v_lshlrev_b64 v[6:7], 3, v[6:7]
	v_add_co_u32 v6, s1, s2, v6
	v_add_co_ci_u32_e64 v7, null, s3, v7, s1
	s_and_b32 s1, s0, vcc_lo
	s_and_saveexec_b32 s2, s1
	s_cbranch_execz .LBB492_24
; %bb.21:
	v_mul_f64 v[4:5], s[14:15], v[4:5]
	v_lshlrev_b64 v[0:1], 3, v[0:1]
	v_cmp_ne_u32_e32 vcc_lo, 1, v12
	v_add_co_u32 v0, s1, v6, v0
	v_add_co_ci_u32_e64 v1, null, v7, v1, s1
	s_cbranch_vccnz .LBB492_23
; %bb.22:
	flat_load_dwordx2 v[13:14], v[0:1]
	s_waitcnt vmcnt(0) lgkmcnt(0)
	v_fma_f64 v[4:5], s[36:37], v[13:14], v[4:5]
.LBB492_23:
	flat_store_dwordx2 v[0:1], v[4:5]
.LBB492_24:
	s_or_b32 exec_lo, exec_lo, s2
	v_cmp_le_i32_e32 vcc_lo, v8, v10
	s_and_b32 s0, s0, vcc_lo
	s_and_saveexec_b32 s1, s0
	s_cbranch_execz .LBB492_28
; %bb.25:
	v_mul_f64 v[0:1], s[14:15], v[2:3]
	v_lshlrev_b64 v[2:3], 3, v[8:9]
	v_cmp_ne_u32_e32 vcc_lo, 1, v12
	v_add_co_u32 v2, s0, v6, v2
	v_add_co_ci_u32_e64 v3, null, v7, v3, s0
	s_cbranch_vccnz .LBB492_27
; %bb.26:
	flat_load_dwordx2 v[4:5], v[2:3]
	s_waitcnt vmcnt(0) lgkmcnt(0)
	v_fma_f64 v[0:1], s[36:37], v[4:5], v[0:1]
.LBB492_27:
	flat_store_dwordx2 v[2:3], v[0:1]
.LBB492_28:
	s_endpgm
	.section	.rodata,"a",@progbits
	.p2align	6, 0x0
	.amdhsa_kernel _ZL29rocblas_internal_gemmt_kernelIlLi16ELi32ELi8ELc67ELc78ELc85ELb0ELb0EddPKPKdPKPdEviT_T9_T10_S7_lS9_S7_lS8_T11_S7_li
		.amdhsa_group_segment_fixed_size 4096
		.amdhsa_private_segment_fixed_size 0
		.amdhsa_kernarg_size 108
		.amdhsa_user_sgpr_count 6
		.amdhsa_user_sgpr_private_segment_buffer 1
		.amdhsa_user_sgpr_dispatch_ptr 0
		.amdhsa_user_sgpr_queue_ptr 0
		.amdhsa_user_sgpr_kernarg_segment_ptr 1
		.amdhsa_user_sgpr_dispatch_id 0
		.amdhsa_user_sgpr_flat_scratch_init 0
		.amdhsa_user_sgpr_private_segment_size 0
		.amdhsa_wavefront_size32 1
		.amdhsa_uses_dynamic_stack 0
		.amdhsa_system_sgpr_private_segment_wavefront_offset 0
		.amdhsa_system_sgpr_workgroup_id_x 1
		.amdhsa_system_sgpr_workgroup_id_y 1
		.amdhsa_system_sgpr_workgroup_id_z 1
		.amdhsa_system_sgpr_workgroup_info 0
		.amdhsa_system_vgpr_workitem_id 1
		.amdhsa_next_free_vgpr 46
		.amdhsa_next_free_sgpr 44
		.amdhsa_reserve_vcc 1
		.amdhsa_reserve_flat_scratch 0
		.amdhsa_float_round_mode_32 0
		.amdhsa_float_round_mode_16_64 0
		.amdhsa_float_denorm_mode_32 3
		.amdhsa_float_denorm_mode_16_64 3
		.amdhsa_dx10_clamp 1
		.amdhsa_ieee_mode 1
		.amdhsa_fp16_overflow 0
		.amdhsa_workgroup_processor_mode 1
		.amdhsa_memory_ordered 1
		.amdhsa_forward_progress 1
		.amdhsa_shared_vgpr_count 0
		.amdhsa_exception_fp_ieee_invalid_op 0
		.amdhsa_exception_fp_denorm_src 0
		.amdhsa_exception_fp_ieee_div_zero 0
		.amdhsa_exception_fp_ieee_overflow 0
		.amdhsa_exception_fp_ieee_underflow 0
		.amdhsa_exception_fp_ieee_inexact 0
		.amdhsa_exception_int_div_zero 0
	.end_amdhsa_kernel
	.section	.text._ZL29rocblas_internal_gemmt_kernelIlLi16ELi32ELi8ELc67ELc78ELc85ELb0ELb0EddPKPKdPKPdEviT_T9_T10_S7_lS9_S7_lS8_T11_S7_li,"axG",@progbits,_ZL29rocblas_internal_gemmt_kernelIlLi16ELi32ELi8ELc67ELc78ELc85ELb0ELb0EddPKPKdPKPdEviT_T9_T10_S7_lS9_S7_lS8_T11_S7_li,comdat
.Lfunc_end492:
	.size	_ZL29rocblas_internal_gemmt_kernelIlLi16ELi32ELi8ELc67ELc78ELc85ELb0ELb0EddPKPKdPKPdEviT_T9_T10_S7_lS9_S7_lS8_T11_S7_li, .Lfunc_end492-_ZL29rocblas_internal_gemmt_kernelIlLi16ELi32ELi8ELc67ELc78ELc85ELb0ELb0EddPKPKdPKPdEviT_T9_T10_S7_lS9_S7_lS8_T11_S7_li
                                        ; -- End function
	.set _ZL29rocblas_internal_gemmt_kernelIlLi16ELi32ELi8ELc67ELc78ELc85ELb0ELb0EddPKPKdPKPdEviT_T9_T10_S7_lS9_S7_lS8_T11_S7_li.num_vgpr, 46
	.set _ZL29rocblas_internal_gemmt_kernelIlLi16ELi32ELi8ELc67ELc78ELc85ELb0ELb0EddPKPKdPKPdEviT_T9_T10_S7_lS9_S7_lS8_T11_S7_li.num_agpr, 0
	.set _ZL29rocblas_internal_gemmt_kernelIlLi16ELi32ELi8ELc67ELc78ELc85ELb0ELb0EddPKPKdPKPdEviT_T9_T10_S7_lS9_S7_lS8_T11_S7_li.numbered_sgpr, 44
	.set _ZL29rocblas_internal_gemmt_kernelIlLi16ELi32ELi8ELc67ELc78ELc85ELb0ELb0EddPKPKdPKPdEviT_T9_T10_S7_lS9_S7_lS8_T11_S7_li.num_named_barrier, 0
	.set _ZL29rocblas_internal_gemmt_kernelIlLi16ELi32ELi8ELc67ELc78ELc85ELb0ELb0EddPKPKdPKPdEviT_T9_T10_S7_lS9_S7_lS8_T11_S7_li.private_seg_size, 0
	.set _ZL29rocblas_internal_gemmt_kernelIlLi16ELi32ELi8ELc67ELc78ELc85ELb0ELb0EddPKPKdPKPdEviT_T9_T10_S7_lS9_S7_lS8_T11_S7_li.uses_vcc, 1
	.set _ZL29rocblas_internal_gemmt_kernelIlLi16ELi32ELi8ELc67ELc78ELc85ELb0ELb0EddPKPKdPKPdEviT_T9_T10_S7_lS9_S7_lS8_T11_S7_li.uses_flat_scratch, 0
	.set _ZL29rocblas_internal_gemmt_kernelIlLi16ELi32ELi8ELc67ELc78ELc85ELb0ELb0EddPKPKdPKPdEviT_T9_T10_S7_lS9_S7_lS8_T11_S7_li.has_dyn_sized_stack, 0
	.set _ZL29rocblas_internal_gemmt_kernelIlLi16ELi32ELi8ELc67ELc78ELc85ELb0ELb0EddPKPKdPKPdEviT_T9_T10_S7_lS9_S7_lS8_T11_S7_li.has_recursion, 0
	.set _ZL29rocblas_internal_gemmt_kernelIlLi16ELi32ELi8ELc67ELc78ELc85ELb0ELb0EddPKPKdPKPdEviT_T9_T10_S7_lS9_S7_lS8_T11_S7_li.has_indirect_call, 0
	.section	.AMDGPU.csdata,"",@progbits
; Kernel info:
; codeLenInByte = 1680
; TotalNumSgprs: 46
; NumVgprs: 46
; ScratchSize: 0
; MemoryBound: 0
; FloatMode: 240
; IeeeMode: 1
; LDSByteSize: 4096 bytes/workgroup (compile time only)
; SGPRBlocks: 0
; VGPRBlocks: 5
; NumSGPRsForWavesPerEU: 46
; NumVGPRsForWavesPerEU: 46
; Occupancy: 16
; WaveLimiterHint : 1
; COMPUTE_PGM_RSRC2:SCRATCH_EN: 0
; COMPUTE_PGM_RSRC2:USER_SGPR: 6
; COMPUTE_PGM_RSRC2:TRAP_HANDLER: 0
; COMPUTE_PGM_RSRC2:TGID_X_EN: 1
; COMPUTE_PGM_RSRC2:TGID_Y_EN: 1
; COMPUTE_PGM_RSRC2:TGID_Z_EN: 1
; COMPUTE_PGM_RSRC2:TIDIG_COMP_CNT: 1
	.section	.text._ZL29rocblas_internal_gemmt_kernelIlLi16ELi32ELi8ELc67ELc84ELc85ELb0ELb0EddPKPKdPKPdEviT_T9_T10_S7_lS9_S7_lS8_T11_S7_li,"axG",@progbits,_ZL29rocblas_internal_gemmt_kernelIlLi16ELi32ELi8ELc67ELc84ELc85ELb0ELb0EddPKPKdPKPdEviT_T9_T10_S7_lS9_S7_lS8_T11_S7_li,comdat
	.globl	_ZL29rocblas_internal_gemmt_kernelIlLi16ELi32ELi8ELc67ELc84ELc85ELb0ELb0EddPKPKdPKPdEviT_T9_T10_S7_lS9_S7_lS8_T11_S7_li ; -- Begin function _ZL29rocblas_internal_gemmt_kernelIlLi16ELi32ELi8ELc67ELc84ELc85ELb0ELb0EddPKPKdPKPdEviT_T9_T10_S7_lS9_S7_lS8_T11_S7_li
	.p2align	8
	.type	_ZL29rocblas_internal_gemmt_kernelIlLi16ELi32ELi8ELc67ELc84ELc85ELb0ELb0EddPKPKdPKPdEviT_T9_T10_S7_lS9_S7_lS8_T11_S7_li,@function
_ZL29rocblas_internal_gemmt_kernelIlLi16ELi32ELi8ELc67ELc84ELc85ELb0ELb0EddPKPKdPKPdEviT_T9_T10_S7_lS9_S7_lS8_T11_S7_li: ; @_ZL29rocblas_internal_gemmt_kernelIlLi16ELi32ELi8ELc67ELc84ELc85ELb0ELb0EddPKPKdPKPdEviT_T9_T10_S7_lS9_S7_lS8_T11_S7_li
; %bb.0:
	s_clause 0x1
	s_load_dwordx8 s[36:43], s[4:5], 0x48
	s_load_dwordx16 s[12:27], s[4:5], 0x8
	s_waitcnt lgkmcnt(0)
	v_cmp_neq_f64_e64 s0, s[36:37], 1.0
	s_and_b32 vcc_lo, exec_lo, s0
	s_cbranch_vccnz .LBB493_2
; %bb.1:
	v_cmp_neq_f64_e64 s0, s[14:15], 0
	s_cmp_lg_u64 s[12:13], 0
	s_cselect_b32 s1, -1, 0
	s_and_b32 s0, s1, s0
.LBB493_2:
	s_andn2_b32 vcc_lo, exec_lo, s0
	s_cbranch_vccnz .LBB493_28
; %bb.3:
	v_cmp_eq_f64_e64 s10, s[14:15], 0
	s_mov_b32 s9, 0
	v_mov_b32_e32 v8, 0
	s_lshl_b64 s[0:1], s[8:9], 3
	v_mov_b32_e32 v6, 0
	s_add_u32 s2, s38, s0
	s_addc_u32 s3, s39, s1
	s_load_dword s8, s[4:5], 0x0
	s_load_dwordx2 s[2:3], s[2:3], 0x0
	v_cmp_lt_i64_e64 s4, s[12:13], 1
	v_mov_b32_e32 v4, 0
	v_mov_b32_e32 v2, 0
	;; [unrolled: 1-line block ×6, first 2 shown]
	s_lshl_b32 s6, s6, 5
	s_lshl_b32 s7, s7, 5
	s_or_b32 s4, s10, s4
	s_and_b32 vcc_lo, exec_lo, s4
	s_cbranch_vccnz .LBB493_12
; %bb.4:
	s_add_u32 s4, s22, s0
	s_addc_u32 s5, s23, s1
	s_lshl_b64 s[10:11], s[26:27], 3
	s_load_dwordx2 s[4:5], s[4:5], 0x0
	v_lshl_add_u32 v10, v1, 4, v0
	v_and_b32_e32 v16, 7, v0
	v_mov_b32_e32 v2, 0
	v_mov_b32_e32 v4, 0
	;; [unrolled: 1-line block ×3, first 2 shown]
	v_and_b32_e32 v11, 31, v10
	v_lshrrev_b32_e32 v14, 3, v10
	v_lshrrev_b32_e32 v19, 5, v10
	v_lshlrev_b32_e32 v20, 3, v16
	v_mov_b32_e32 v8, 0
	v_or_b32_e32 v15, s6, v11
	v_add_nc_u32_e32 v10, s7, v14
	v_lshlrev_b32_e32 v21, 3, v11
	v_lshl_or_b32 v23, v14, 6, v20
	v_lshlrev_b32_e32 v17, 3, v0
	v_mul_lo_u32 v22, s19, v15
	v_mad_u64_u32 v[12:13], null, s18, v15, 0
	v_ashrrev_i32_e32 v11, 31, v10
	s_waitcnt lgkmcnt(0)
	s_add_u32 s9, s4, s10
	s_addc_u32 s10, s5, s11
	s_add_u32 s0, s16, s0
	s_addc_u32 s1, s17, s1
	s_lshl_b64 s[4:5], s[20:21], 3
	s_load_dwordx2 s[0:1], s[0:1], 0x0
	v_lshl_or_b32 v20, v19, 8, v21
	v_add_nc_u32_e32 v21, 0x800, v23
	v_lshl_add_u32 v18, v1, 6, 0x800
	v_mov_b32_e32 v3, 0
	v_mov_b32_e32 v5, 0
	;; [unrolled: 1-line block ×4, first 2 shown]
	s_waitcnt lgkmcnt(0)
	s_add_u32 s4, s0, s4
	s_addc_u32 s5, s1, s5
	s_ashr_i32 s0, s6, 31
	s_mul_i32 s1, s18, s0
	v_cmp_gt_i32_e64 s0, s8, v15
	v_add3_u32 v13, v13, s1, v22
	v_lshlrev_b64 v[14:15], 3, v[10:11]
	v_cmp_gt_i32_e64 s1, s8, v10
	v_lshlrev_b64 v[10:11], 3, v[12:13]
	v_add_co_u32 v22, vcc_lo, s9, v14
	v_add_co_ci_u32_e64 v23, null, s10, v15, vcc_lo
	v_add_co_u32 v24, vcc_lo, s4, v10
	v_add_co_ci_u32_e64 v25, null, s5, v11, vcc_lo
	v_mov_b32_e32 v11, 0
	s_mov_b64 s[4:5], 0
	s_branch .LBB493_6
.LBB493_5:                              ;   in Loop: Header=BB493_6 Depth=1
	s_or_b32 exec_lo, exec_lo, s9
	s_waitcnt vmcnt(0) lgkmcnt(0)
	ds_write_b64 v21, v[14:15]
	s_waitcnt lgkmcnt(0)
	s_barrier
	buffer_gl0_inv
	ds_read_b128 v[12:15], v18
	ds_read2_b64 v[26:29], v17 offset1:16
	ds_read_b128 v[30:33], v18 offset:1024
	ds_read_b128 v[34:37], v18 offset:16
	ds_read2_b64 v[38:41], v17 offset0:32 offset1:48
	ds_read_b128 v[42:45], v18 offset:1040
	s_add_u32 s4, s4, 8
	s_addc_u32 s5, s5, 0
	v_cmp_gt_i64_e64 s9, s[12:13], s[4:5]
	s_and_b32 vcc_lo, exec_lo, s9
	s_waitcnt lgkmcnt(4)
	v_fma_f64 v[8:9], v[26:27], v[12:13], v[8:9]
	v_fma_f64 v[6:7], v[28:29], v[12:13], v[6:7]
	s_waitcnt lgkmcnt(3)
	v_fma_f64 v[12:13], v[26:27], v[30:31], v[4:5]
	v_fma_f64 v[26:27], v[28:29], v[30:31], v[2:3]
	ds_read2_b64 v[2:5], v17 offset0:64 offset1:80
	s_waitcnt lgkmcnt(2)
	v_fma_f64 v[28:29], v[38:39], v[14:15], v[8:9]
	v_fma_f64 v[14:15], v[40:41], v[14:15], v[6:7]
	;; [unrolled: 1-line block ×4, first 2 shown]
	ds_read2_b64 v[6:9], v17 offset0:96 offset1:112
	s_waitcnt lgkmcnt(1)
	v_fma_f64 v[28:29], v[2:3], v[34:35], v[28:29]
	v_fma_f64 v[30:31], v[4:5], v[34:35], v[14:15]
	;; [unrolled: 1-line block ×4, first 2 shown]
	ds_read_b128 v[2:5], v18 offset:32
	ds_read2_b64 v[12:15], v17 offset0:128 offset1:144
	s_waitcnt lgkmcnt(2)
	v_fma_f64 v[38:39], v[6:7], v[36:37], v[28:29]
	v_fma_f64 v[40:41], v[8:9], v[36:37], v[30:31]
	;; [unrolled: 1-line block ×4, first 2 shown]
	ds_read_b128 v[6:9], v18 offset:1056
	ds_read_b128 v[26:29], v18 offset:48
	ds_read2_b64 v[30:33], v17 offset0:160 offset1:176
	ds_read_b128 v[34:37], v18 offset:1072
	s_waitcnt lgkmcnt(4)
	v_fma_f64 v[38:39], v[12:13], v[2:3], v[38:39]
	v_fma_f64 v[2:3], v[14:15], v[2:3], v[40:41]
	s_waitcnt lgkmcnt(3)
	v_fma_f64 v[40:41], v[12:13], v[6:7], v[42:43]
	v_fma_f64 v[6:7], v[14:15], v[6:7], v[44:45]
	ds_read2_b64 v[12:15], v17 offset0:192 offset1:208
	s_waitcnt lgkmcnt(2)
	v_fma_f64 v[38:39], v[30:31], v[4:5], v[38:39]
	v_fma_f64 v[2:3], v[32:33], v[4:5], v[2:3]
	;; [unrolled: 1-line block ×4, first 2 shown]
	ds_read2_b64 v[30:33], v17 offset0:224 offset1:240
	s_waitcnt lgkmcnt(0)
	s_barrier
	buffer_gl0_inv
	v_fma_f64 v[8:9], v[12:13], v[26:27], v[38:39]
	v_fma_f64 v[2:3], v[14:15], v[26:27], v[2:3]
	;; [unrolled: 1-line block ×8, first 2 shown]
	s_cbranch_vccz .LBB493_12
.LBB493_6:                              ; =>This Inner Loop Header: Depth=1
	v_mov_b32_e32 v12, 0
	v_mov_b32_e32 v13, 0
	s_and_saveexec_b32 s9, s0
	s_cbranch_execz .LBB493_10
; %bb.7:                                ;   in Loop: Header=BB493_6 Depth=1
	v_mov_b32_e32 v12, 0
	v_add_nc_u32_e32 v10, s4, v19
	v_mov_b32_e32 v13, 0
	s_mov_b32 s10, exec_lo
	v_cmpx_gt_u64_e64 s[12:13], v[10:11]
	s_cbranch_execz .LBB493_9
; %bb.8:                                ;   in Loop: Header=BB493_6 Depth=1
	v_lshlrev_b64 v[12:13], 3, v[10:11]
	v_add_co_u32 v12, vcc_lo, v24, v12
	v_add_co_ci_u32_e64 v13, null, v25, v13, vcc_lo
	flat_load_dwordx2 v[12:13], v[12:13]
.LBB493_9:                              ;   in Loop: Header=BB493_6 Depth=1
	s_or_b32 exec_lo, exec_lo, s10
.LBB493_10:                             ;   in Loop: Header=BB493_6 Depth=1
	s_or_b32 exec_lo, exec_lo, s9
	v_add_nc_u32_e32 v10, s4, v16
	v_mov_b32_e32 v14, 0
	v_mov_b32_e32 v15, 0
	s_waitcnt vmcnt(0) lgkmcnt(0)
	ds_write_b64 v20, v[12:13]
	v_cmp_gt_u64_e32 vcc_lo, s[12:13], v[10:11]
	s_and_b32 s10, vcc_lo, s1
	s_and_saveexec_b32 s9, s10
	s_cbranch_execz .LBB493_5
; %bb.11:                               ;   in Loop: Header=BB493_6 Depth=1
	v_mad_u64_u32 v[12:13], null, s24, v10, 0
	v_mad_u64_u32 v[13:14], null, s25, v10, v[13:14]
	v_lshlrev_b64 v[12:13], 3, v[12:13]
	v_add_co_u32 v12, vcc_lo, v22, v12
	v_add_co_ci_u32_e64 v13, null, v23, v13, vcc_lo
	flat_load_dwordx2 v[14:15], v[12:13]
	s_branch .LBB493_5
.LBB493_12:
	v_add_nc_u32_e32 v13, s7, v1
	v_cmp_neq_f64_e64 s4, s[36:37], 0
	v_add_nc_u32_e32 v0, s6, v0
	s_lshl_b64 s[0:1], s[42:43], 3
	s_waitcnt lgkmcnt(0)
	s_add_u32 s2, s2, s0
	v_ashrrev_i32_e32 v1, 31, v13
	v_mul_lo_u32 v12, s41, v13
	v_mad_u64_u32 v[10:11], null, s40, v13, 0
	s_addc_u32 s3, s3, s1
	v_mul_lo_u32 v1, s40, v1
	v_cmp_gt_i32_e64 s0, s8, v13
	v_cmp_le_i32_e32 vcc_lo, v0, v13
	s_and_b32 s5, s0, vcc_lo
	v_add3_u32 v11, v11, v1, v12
	v_ashrrev_i32_e32 v1, 31, v0
	v_cndmask_b32_e64 v12, 0, 1, s4
	v_lshlrev_b64 v[10:11], 3, v[10:11]
	v_add_co_u32 v14, s1, s2, v10
	v_add_co_ci_u32_e64 v15, null, s3, v11, s1
	s_and_saveexec_b32 s1, s5
	s_cbranch_execz .LBB493_16
; %bb.13:
	v_mul_f64 v[8:9], s[14:15], v[8:9]
	v_lshlrev_b64 v[10:11], 3, v[0:1]
	v_add_co_u32 v10, vcc_lo, v14, v10
	v_add_co_ci_u32_e64 v11, null, v15, v11, vcc_lo
	s_andn2_b32 vcc_lo, exec_lo, s4
	s_cbranch_vccnz .LBB493_15
; %bb.14:
	flat_load_dwordx2 v[16:17], v[10:11]
	s_waitcnt vmcnt(0) lgkmcnt(0)
	v_fma_f64 v[8:9], s[36:37], v[16:17], v[8:9]
.LBB493_15:
	flat_store_dwordx2 v[10:11], v[8:9]
.LBB493_16:
	s_or_b32 exec_lo, exec_lo, s1
	v_add_nc_u32_e32 v8, 16, v0
	v_cmp_le_i32_e32 vcc_lo, v8, v13
	v_ashrrev_i32_e32 v9, 31, v8
	s_and_b32 s0, s0, vcc_lo
	s_and_saveexec_b32 s1, s0
	s_cbranch_execz .LBB493_20
; %bb.17:
	v_mul_f64 v[6:7], s[14:15], v[6:7]
	v_lshlrev_b64 v[10:11], 3, v[8:9]
	v_cmp_ne_u32_e32 vcc_lo, 1, v12
	v_add_co_u32 v10, s0, v14, v10
	v_add_co_ci_u32_e64 v11, null, v15, v11, s0
	s_cbranch_vccnz .LBB493_19
; %bb.18:
	flat_load_dwordx2 v[14:15], v[10:11]
	s_waitcnt vmcnt(0) lgkmcnt(0)
	v_fma_f64 v[6:7], s[36:37], v[14:15], v[6:7]
.LBB493_19:
	flat_store_dwordx2 v[10:11], v[6:7]
.LBB493_20:
	s_or_b32 exec_lo, exec_lo, s1
	v_add_nc_u32_e32 v10, 16, v13
	v_ashrrev_i32_e32 v11, 31, v10
	v_mul_lo_u32 v13, s41, v10
	v_mad_u64_u32 v[6:7], null, s40, v10, 0
	v_cmp_gt_i32_e64 s0, s8, v10
	v_mul_lo_u32 v11, s40, v11
	v_cmp_le_i32_e32 vcc_lo, v0, v10
	v_add3_u32 v7, v7, v11, v13
	v_lshlrev_b64 v[6:7], 3, v[6:7]
	v_add_co_u32 v6, s1, s2, v6
	v_add_co_ci_u32_e64 v7, null, s3, v7, s1
	s_and_b32 s1, s0, vcc_lo
	s_and_saveexec_b32 s2, s1
	s_cbranch_execz .LBB493_24
; %bb.21:
	v_mul_f64 v[4:5], s[14:15], v[4:5]
	v_lshlrev_b64 v[0:1], 3, v[0:1]
	v_cmp_ne_u32_e32 vcc_lo, 1, v12
	v_add_co_u32 v0, s1, v6, v0
	v_add_co_ci_u32_e64 v1, null, v7, v1, s1
	s_cbranch_vccnz .LBB493_23
; %bb.22:
	flat_load_dwordx2 v[13:14], v[0:1]
	s_waitcnt vmcnt(0) lgkmcnt(0)
	v_fma_f64 v[4:5], s[36:37], v[13:14], v[4:5]
.LBB493_23:
	flat_store_dwordx2 v[0:1], v[4:5]
.LBB493_24:
	s_or_b32 exec_lo, exec_lo, s2
	v_cmp_le_i32_e32 vcc_lo, v8, v10
	s_and_b32 s0, s0, vcc_lo
	s_and_saveexec_b32 s1, s0
	s_cbranch_execz .LBB493_28
; %bb.25:
	v_mul_f64 v[0:1], s[14:15], v[2:3]
	v_lshlrev_b64 v[2:3], 3, v[8:9]
	v_cmp_ne_u32_e32 vcc_lo, 1, v12
	v_add_co_u32 v2, s0, v6, v2
	v_add_co_ci_u32_e64 v3, null, v7, v3, s0
	s_cbranch_vccnz .LBB493_27
; %bb.26:
	flat_load_dwordx2 v[4:5], v[2:3]
	s_waitcnt vmcnt(0) lgkmcnt(0)
	v_fma_f64 v[0:1], s[36:37], v[4:5], v[0:1]
.LBB493_27:
	flat_store_dwordx2 v[2:3], v[0:1]
.LBB493_28:
	s_endpgm
	.section	.rodata,"a",@progbits
	.p2align	6, 0x0
	.amdhsa_kernel _ZL29rocblas_internal_gemmt_kernelIlLi16ELi32ELi8ELc67ELc84ELc85ELb0ELb0EddPKPKdPKPdEviT_T9_T10_S7_lS9_S7_lS8_T11_S7_li
		.amdhsa_group_segment_fixed_size 4096
		.amdhsa_private_segment_fixed_size 0
		.amdhsa_kernarg_size 108
		.amdhsa_user_sgpr_count 6
		.amdhsa_user_sgpr_private_segment_buffer 1
		.amdhsa_user_sgpr_dispatch_ptr 0
		.amdhsa_user_sgpr_queue_ptr 0
		.amdhsa_user_sgpr_kernarg_segment_ptr 1
		.amdhsa_user_sgpr_dispatch_id 0
		.amdhsa_user_sgpr_flat_scratch_init 0
		.amdhsa_user_sgpr_private_segment_size 0
		.amdhsa_wavefront_size32 1
		.amdhsa_uses_dynamic_stack 0
		.amdhsa_system_sgpr_private_segment_wavefront_offset 0
		.amdhsa_system_sgpr_workgroup_id_x 1
		.amdhsa_system_sgpr_workgroup_id_y 1
		.amdhsa_system_sgpr_workgroup_id_z 1
		.amdhsa_system_sgpr_workgroup_info 0
		.amdhsa_system_vgpr_workitem_id 1
		.amdhsa_next_free_vgpr 46
		.amdhsa_next_free_sgpr 44
		.amdhsa_reserve_vcc 1
		.amdhsa_reserve_flat_scratch 0
		.amdhsa_float_round_mode_32 0
		.amdhsa_float_round_mode_16_64 0
		.amdhsa_float_denorm_mode_32 3
		.amdhsa_float_denorm_mode_16_64 3
		.amdhsa_dx10_clamp 1
		.amdhsa_ieee_mode 1
		.amdhsa_fp16_overflow 0
		.amdhsa_workgroup_processor_mode 1
		.amdhsa_memory_ordered 1
		.amdhsa_forward_progress 1
		.amdhsa_shared_vgpr_count 0
		.amdhsa_exception_fp_ieee_invalid_op 0
		.amdhsa_exception_fp_denorm_src 0
		.amdhsa_exception_fp_ieee_div_zero 0
		.amdhsa_exception_fp_ieee_overflow 0
		.amdhsa_exception_fp_ieee_underflow 0
		.amdhsa_exception_fp_ieee_inexact 0
		.amdhsa_exception_int_div_zero 0
	.end_amdhsa_kernel
	.section	.text._ZL29rocblas_internal_gemmt_kernelIlLi16ELi32ELi8ELc67ELc84ELc85ELb0ELb0EddPKPKdPKPdEviT_T9_T10_S7_lS9_S7_lS8_T11_S7_li,"axG",@progbits,_ZL29rocblas_internal_gemmt_kernelIlLi16ELi32ELi8ELc67ELc84ELc85ELb0ELb0EddPKPKdPKPdEviT_T9_T10_S7_lS9_S7_lS8_T11_S7_li,comdat
.Lfunc_end493:
	.size	_ZL29rocblas_internal_gemmt_kernelIlLi16ELi32ELi8ELc67ELc84ELc85ELb0ELb0EddPKPKdPKPdEviT_T9_T10_S7_lS9_S7_lS8_T11_S7_li, .Lfunc_end493-_ZL29rocblas_internal_gemmt_kernelIlLi16ELi32ELi8ELc67ELc84ELc85ELb0ELb0EddPKPKdPKPdEviT_T9_T10_S7_lS9_S7_lS8_T11_S7_li
                                        ; -- End function
	.set _ZL29rocblas_internal_gemmt_kernelIlLi16ELi32ELi8ELc67ELc84ELc85ELb0ELb0EddPKPKdPKPdEviT_T9_T10_S7_lS9_S7_lS8_T11_S7_li.num_vgpr, 46
	.set _ZL29rocblas_internal_gemmt_kernelIlLi16ELi32ELi8ELc67ELc84ELc85ELb0ELb0EddPKPKdPKPdEviT_T9_T10_S7_lS9_S7_lS8_T11_S7_li.num_agpr, 0
	.set _ZL29rocblas_internal_gemmt_kernelIlLi16ELi32ELi8ELc67ELc84ELc85ELb0ELb0EddPKPKdPKPdEviT_T9_T10_S7_lS9_S7_lS8_T11_S7_li.numbered_sgpr, 44
	.set _ZL29rocblas_internal_gemmt_kernelIlLi16ELi32ELi8ELc67ELc84ELc85ELb0ELb0EddPKPKdPKPdEviT_T9_T10_S7_lS9_S7_lS8_T11_S7_li.num_named_barrier, 0
	.set _ZL29rocblas_internal_gemmt_kernelIlLi16ELi32ELi8ELc67ELc84ELc85ELb0ELb0EddPKPKdPKPdEviT_T9_T10_S7_lS9_S7_lS8_T11_S7_li.private_seg_size, 0
	.set _ZL29rocblas_internal_gemmt_kernelIlLi16ELi32ELi8ELc67ELc84ELc85ELb0ELb0EddPKPKdPKPdEviT_T9_T10_S7_lS9_S7_lS8_T11_S7_li.uses_vcc, 1
	.set _ZL29rocblas_internal_gemmt_kernelIlLi16ELi32ELi8ELc67ELc84ELc85ELb0ELb0EddPKPKdPKPdEviT_T9_T10_S7_lS9_S7_lS8_T11_S7_li.uses_flat_scratch, 0
	.set _ZL29rocblas_internal_gemmt_kernelIlLi16ELi32ELi8ELc67ELc84ELc85ELb0ELb0EddPKPKdPKPdEviT_T9_T10_S7_lS9_S7_lS8_T11_S7_li.has_dyn_sized_stack, 0
	.set _ZL29rocblas_internal_gemmt_kernelIlLi16ELi32ELi8ELc67ELc84ELc85ELb0ELb0EddPKPKdPKPdEviT_T9_T10_S7_lS9_S7_lS8_T11_S7_li.has_recursion, 0
	.set _ZL29rocblas_internal_gemmt_kernelIlLi16ELi32ELi8ELc67ELc84ELc85ELb0ELb0EddPKPKdPKPdEviT_T9_T10_S7_lS9_S7_lS8_T11_S7_li.has_indirect_call, 0
	.section	.AMDGPU.csdata,"",@progbits
; Kernel info:
; codeLenInByte = 1664
; TotalNumSgprs: 46
; NumVgprs: 46
; ScratchSize: 0
; MemoryBound: 0
; FloatMode: 240
; IeeeMode: 1
; LDSByteSize: 4096 bytes/workgroup (compile time only)
; SGPRBlocks: 0
; VGPRBlocks: 5
; NumSGPRsForWavesPerEU: 46
; NumVGPRsForWavesPerEU: 46
; Occupancy: 16
; WaveLimiterHint : 1
; COMPUTE_PGM_RSRC2:SCRATCH_EN: 0
; COMPUTE_PGM_RSRC2:USER_SGPR: 6
; COMPUTE_PGM_RSRC2:TRAP_HANDLER: 0
; COMPUTE_PGM_RSRC2:TGID_X_EN: 1
; COMPUTE_PGM_RSRC2:TGID_Y_EN: 1
; COMPUTE_PGM_RSRC2:TGID_Z_EN: 1
; COMPUTE_PGM_RSRC2:TIDIG_COMP_CNT: 1
	.section	.text._ZL29rocblas_internal_gemmt_kernelIlLi16ELi32ELi8ELc67ELc67ELc85ELb0ELb0EddPKPKdPKPdEviT_T9_T10_S7_lS9_S7_lS8_T11_S7_li,"axG",@progbits,_ZL29rocblas_internal_gemmt_kernelIlLi16ELi32ELi8ELc67ELc67ELc85ELb0ELb0EddPKPKdPKPdEviT_T9_T10_S7_lS9_S7_lS8_T11_S7_li,comdat
	.globl	_ZL29rocblas_internal_gemmt_kernelIlLi16ELi32ELi8ELc67ELc67ELc85ELb0ELb0EddPKPKdPKPdEviT_T9_T10_S7_lS9_S7_lS8_T11_S7_li ; -- Begin function _ZL29rocblas_internal_gemmt_kernelIlLi16ELi32ELi8ELc67ELc67ELc85ELb0ELb0EddPKPKdPKPdEviT_T9_T10_S7_lS9_S7_lS8_T11_S7_li
	.p2align	8
	.type	_ZL29rocblas_internal_gemmt_kernelIlLi16ELi32ELi8ELc67ELc67ELc85ELb0ELb0EddPKPKdPKPdEviT_T9_T10_S7_lS9_S7_lS8_T11_S7_li,@function
_ZL29rocblas_internal_gemmt_kernelIlLi16ELi32ELi8ELc67ELc67ELc85ELb0ELb0EddPKPKdPKPdEviT_T9_T10_S7_lS9_S7_lS8_T11_S7_li: ; @_ZL29rocblas_internal_gemmt_kernelIlLi16ELi32ELi8ELc67ELc67ELc85ELb0ELb0EddPKPKdPKPdEviT_T9_T10_S7_lS9_S7_lS8_T11_S7_li
; %bb.0:
	s_clause 0x1
	s_load_dwordx8 s[36:43], s[4:5], 0x48
	s_load_dwordx16 s[12:27], s[4:5], 0x8
	s_waitcnt lgkmcnt(0)
	v_cmp_neq_f64_e64 s0, s[36:37], 1.0
	s_and_b32 vcc_lo, exec_lo, s0
	s_cbranch_vccnz .LBB494_2
; %bb.1:
	v_cmp_neq_f64_e64 s0, s[14:15], 0
	s_cmp_lg_u64 s[12:13], 0
	s_cselect_b32 s1, -1, 0
	s_and_b32 s0, s1, s0
.LBB494_2:
	s_andn2_b32 vcc_lo, exec_lo, s0
	s_cbranch_vccnz .LBB494_28
; %bb.3:
	v_cmp_eq_f64_e64 s10, s[14:15], 0
	s_mov_b32 s9, 0
	v_mov_b32_e32 v8, 0
	s_lshl_b64 s[0:1], s[8:9], 3
	v_mov_b32_e32 v6, 0
	s_add_u32 s2, s38, s0
	s_addc_u32 s3, s39, s1
	s_load_dword s8, s[4:5], 0x0
	s_load_dwordx2 s[2:3], s[2:3], 0x0
	v_cmp_lt_i64_e64 s4, s[12:13], 1
	v_mov_b32_e32 v4, 0
	v_mov_b32_e32 v2, 0
	;; [unrolled: 1-line block ×6, first 2 shown]
	s_lshl_b32 s6, s6, 5
	s_lshl_b32 s7, s7, 5
	s_or_b32 s4, s10, s4
	s_and_b32 vcc_lo, exec_lo, s4
	s_cbranch_vccnz .LBB494_12
; %bb.4:
	s_add_u32 s4, s22, s0
	s_addc_u32 s5, s23, s1
	s_lshl_b64 s[10:11], s[26:27], 3
	s_load_dwordx2 s[4:5], s[4:5], 0x0
	v_lshl_add_u32 v10, v1, 4, v0
	v_and_b32_e32 v16, 7, v0
	v_mov_b32_e32 v2, 0
	v_mov_b32_e32 v4, 0
	;; [unrolled: 1-line block ×3, first 2 shown]
	v_and_b32_e32 v11, 31, v10
	v_lshrrev_b32_e32 v14, 3, v10
	v_lshrrev_b32_e32 v19, 5, v10
	v_lshlrev_b32_e32 v20, 3, v16
	v_mov_b32_e32 v8, 0
	v_or_b32_e32 v15, s6, v11
	v_add_nc_u32_e32 v10, s7, v14
	v_lshlrev_b32_e32 v21, 3, v11
	v_lshl_or_b32 v23, v14, 6, v20
	v_lshlrev_b32_e32 v17, 3, v0
	v_mul_lo_u32 v22, s19, v15
	v_mad_u64_u32 v[12:13], null, s18, v15, 0
	v_ashrrev_i32_e32 v11, 31, v10
	s_waitcnt lgkmcnt(0)
	s_add_u32 s9, s4, s10
	s_addc_u32 s10, s5, s11
	s_add_u32 s0, s16, s0
	s_addc_u32 s1, s17, s1
	s_lshl_b64 s[4:5], s[20:21], 3
	s_load_dwordx2 s[0:1], s[0:1], 0x0
	v_lshl_or_b32 v20, v19, 8, v21
	v_add_nc_u32_e32 v21, 0x800, v23
	v_lshl_add_u32 v18, v1, 6, 0x800
	v_mov_b32_e32 v3, 0
	v_mov_b32_e32 v5, 0
	v_mov_b32_e32 v7, 0
	v_mov_b32_e32 v9, 0
	s_waitcnt lgkmcnt(0)
	s_add_u32 s4, s0, s4
	s_addc_u32 s5, s1, s5
	s_ashr_i32 s0, s6, 31
	s_mul_i32 s1, s18, s0
	v_cmp_gt_i32_e64 s0, s8, v15
	v_add3_u32 v13, v13, s1, v22
	v_lshlrev_b64 v[14:15], 3, v[10:11]
	v_cmp_gt_i32_e64 s1, s8, v10
	v_lshlrev_b64 v[10:11], 3, v[12:13]
	v_add_co_u32 v22, vcc_lo, s9, v14
	v_add_co_ci_u32_e64 v23, null, s10, v15, vcc_lo
	v_add_co_u32 v24, vcc_lo, s4, v10
	v_add_co_ci_u32_e64 v25, null, s5, v11, vcc_lo
	v_mov_b32_e32 v11, 0
	s_mov_b64 s[4:5], 0
	s_branch .LBB494_6
.LBB494_5:                              ;   in Loop: Header=BB494_6 Depth=1
	s_or_b32 exec_lo, exec_lo, s9
	s_waitcnt vmcnt(0) lgkmcnt(0)
	ds_write_b64 v21, v[14:15]
	s_waitcnt lgkmcnt(0)
	s_barrier
	buffer_gl0_inv
	ds_read_b128 v[12:15], v18
	ds_read2_b64 v[26:29], v17 offset1:16
	ds_read_b128 v[30:33], v18 offset:1024
	ds_read_b128 v[34:37], v18 offset:16
	ds_read2_b64 v[38:41], v17 offset0:32 offset1:48
	ds_read_b128 v[42:45], v18 offset:1040
	s_add_u32 s4, s4, 8
	s_addc_u32 s5, s5, 0
	v_cmp_gt_i64_e64 s9, s[12:13], s[4:5]
	s_and_b32 vcc_lo, exec_lo, s9
	s_waitcnt lgkmcnt(4)
	v_fma_f64 v[8:9], v[26:27], v[12:13], v[8:9]
	v_fma_f64 v[6:7], v[28:29], v[12:13], v[6:7]
	s_waitcnt lgkmcnt(3)
	v_fma_f64 v[12:13], v[26:27], v[30:31], v[4:5]
	v_fma_f64 v[26:27], v[28:29], v[30:31], v[2:3]
	ds_read2_b64 v[2:5], v17 offset0:64 offset1:80
	s_waitcnt lgkmcnt(2)
	v_fma_f64 v[28:29], v[38:39], v[14:15], v[8:9]
	v_fma_f64 v[14:15], v[40:41], v[14:15], v[6:7]
	;; [unrolled: 1-line block ×4, first 2 shown]
	ds_read2_b64 v[6:9], v17 offset0:96 offset1:112
	s_waitcnt lgkmcnt(1)
	v_fma_f64 v[28:29], v[2:3], v[34:35], v[28:29]
	v_fma_f64 v[30:31], v[4:5], v[34:35], v[14:15]
	v_fma_f64 v[32:33], v[2:3], v[42:43], v[12:13]
	v_fma_f64 v[26:27], v[4:5], v[42:43], v[26:27]
	ds_read_b128 v[2:5], v18 offset:32
	ds_read2_b64 v[12:15], v17 offset0:128 offset1:144
	s_waitcnt lgkmcnt(2)
	v_fma_f64 v[38:39], v[6:7], v[36:37], v[28:29]
	v_fma_f64 v[40:41], v[8:9], v[36:37], v[30:31]
	;; [unrolled: 1-line block ×4, first 2 shown]
	ds_read_b128 v[6:9], v18 offset:1056
	ds_read_b128 v[26:29], v18 offset:48
	ds_read2_b64 v[30:33], v17 offset0:160 offset1:176
	ds_read_b128 v[34:37], v18 offset:1072
	s_waitcnt lgkmcnt(4)
	v_fma_f64 v[38:39], v[12:13], v[2:3], v[38:39]
	v_fma_f64 v[2:3], v[14:15], v[2:3], v[40:41]
	s_waitcnt lgkmcnt(3)
	v_fma_f64 v[40:41], v[12:13], v[6:7], v[42:43]
	v_fma_f64 v[6:7], v[14:15], v[6:7], v[44:45]
	ds_read2_b64 v[12:15], v17 offset0:192 offset1:208
	s_waitcnt lgkmcnt(2)
	v_fma_f64 v[38:39], v[30:31], v[4:5], v[38:39]
	v_fma_f64 v[2:3], v[32:33], v[4:5], v[2:3]
	;; [unrolled: 1-line block ×4, first 2 shown]
	ds_read2_b64 v[30:33], v17 offset0:224 offset1:240
	s_waitcnt lgkmcnt(0)
	s_barrier
	buffer_gl0_inv
	v_fma_f64 v[8:9], v[12:13], v[26:27], v[38:39]
	v_fma_f64 v[2:3], v[14:15], v[26:27], v[2:3]
	;; [unrolled: 1-line block ×8, first 2 shown]
	s_cbranch_vccz .LBB494_12
.LBB494_6:                              ; =>This Inner Loop Header: Depth=1
	v_mov_b32_e32 v12, 0
	v_mov_b32_e32 v13, 0
	s_and_saveexec_b32 s9, s0
	s_cbranch_execz .LBB494_10
; %bb.7:                                ;   in Loop: Header=BB494_6 Depth=1
	v_mov_b32_e32 v12, 0
	v_add_nc_u32_e32 v10, s4, v19
	v_mov_b32_e32 v13, 0
	s_mov_b32 s10, exec_lo
	v_cmpx_gt_u64_e64 s[12:13], v[10:11]
	s_cbranch_execz .LBB494_9
; %bb.8:                                ;   in Loop: Header=BB494_6 Depth=1
	v_lshlrev_b64 v[12:13], 3, v[10:11]
	v_add_co_u32 v12, vcc_lo, v24, v12
	v_add_co_ci_u32_e64 v13, null, v25, v13, vcc_lo
	flat_load_dwordx2 v[12:13], v[12:13]
.LBB494_9:                              ;   in Loop: Header=BB494_6 Depth=1
	s_or_b32 exec_lo, exec_lo, s10
.LBB494_10:                             ;   in Loop: Header=BB494_6 Depth=1
	s_or_b32 exec_lo, exec_lo, s9
	v_add_nc_u32_e32 v10, s4, v16
	v_mov_b32_e32 v14, 0
	v_mov_b32_e32 v15, 0
	s_waitcnt vmcnt(0) lgkmcnt(0)
	ds_write_b64 v20, v[12:13]
	v_cmp_gt_u64_e32 vcc_lo, s[12:13], v[10:11]
	s_and_b32 s10, vcc_lo, s1
	s_and_saveexec_b32 s9, s10
	s_cbranch_execz .LBB494_5
; %bb.11:                               ;   in Loop: Header=BB494_6 Depth=1
	v_mad_u64_u32 v[12:13], null, s24, v10, 0
	v_mad_u64_u32 v[13:14], null, s25, v10, v[13:14]
	v_lshlrev_b64 v[12:13], 3, v[12:13]
	v_add_co_u32 v12, vcc_lo, v22, v12
	v_add_co_ci_u32_e64 v13, null, v23, v13, vcc_lo
	flat_load_dwordx2 v[14:15], v[12:13]
	s_branch .LBB494_5
.LBB494_12:
	v_add_nc_u32_e32 v13, s7, v1
	v_cmp_neq_f64_e64 s4, s[36:37], 0
	v_add_nc_u32_e32 v0, s6, v0
	s_lshl_b64 s[0:1], s[42:43], 3
	s_waitcnt lgkmcnt(0)
	s_add_u32 s2, s2, s0
	v_ashrrev_i32_e32 v1, 31, v13
	v_mul_lo_u32 v12, s41, v13
	v_mad_u64_u32 v[10:11], null, s40, v13, 0
	s_addc_u32 s3, s3, s1
	v_mul_lo_u32 v1, s40, v1
	v_cmp_gt_i32_e64 s0, s8, v13
	v_cmp_le_i32_e32 vcc_lo, v0, v13
	s_and_b32 s5, s0, vcc_lo
	v_add3_u32 v11, v11, v1, v12
	v_ashrrev_i32_e32 v1, 31, v0
	v_cndmask_b32_e64 v12, 0, 1, s4
	v_lshlrev_b64 v[10:11], 3, v[10:11]
	v_add_co_u32 v14, s1, s2, v10
	v_add_co_ci_u32_e64 v15, null, s3, v11, s1
	s_and_saveexec_b32 s1, s5
	s_cbranch_execz .LBB494_16
; %bb.13:
	v_mul_f64 v[8:9], s[14:15], v[8:9]
	v_lshlrev_b64 v[10:11], 3, v[0:1]
	v_add_co_u32 v10, vcc_lo, v14, v10
	v_add_co_ci_u32_e64 v11, null, v15, v11, vcc_lo
	s_andn2_b32 vcc_lo, exec_lo, s4
	s_cbranch_vccnz .LBB494_15
; %bb.14:
	flat_load_dwordx2 v[16:17], v[10:11]
	s_waitcnt vmcnt(0) lgkmcnt(0)
	v_fma_f64 v[8:9], s[36:37], v[16:17], v[8:9]
.LBB494_15:
	flat_store_dwordx2 v[10:11], v[8:9]
.LBB494_16:
	s_or_b32 exec_lo, exec_lo, s1
	v_add_nc_u32_e32 v8, 16, v0
	v_cmp_le_i32_e32 vcc_lo, v8, v13
	v_ashrrev_i32_e32 v9, 31, v8
	s_and_b32 s0, s0, vcc_lo
	s_and_saveexec_b32 s1, s0
	s_cbranch_execz .LBB494_20
; %bb.17:
	v_mul_f64 v[6:7], s[14:15], v[6:7]
	v_lshlrev_b64 v[10:11], 3, v[8:9]
	v_cmp_ne_u32_e32 vcc_lo, 1, v12
	v_add_co_u32 v10, s0, v14, v10
	v_add_co_ci_u32_e64 v11, null, v15, v11, s0
	s_cbranch_vccnz .LBB494_19
; %bb.18:
	flat_load_dwordx2 v[14:15], v[10:11]
	s_waitcnt vmcnt(0) lgkmcnt(0)
	v_fma_f64 v[6:7], s[36:37], v[14:15], v[6:7]
.LBB494_19:
	flat_store_dwordx2 v[10:11], v[6:7]
.LBB494_20:
	s_or_b32 exec_lo, exec_lo, s1
	v_add_nc_u32_e32 v10, 16, v13
	v_ashrrev_i32_e32 v11, 31, v10
	v_mul_lo_u32 v13, s41, v10
	v_mad_u64_u32 v[6:7], null, s40, v10, 0
	v_cmp_gt_i32_e64 s0, s8, v10
	v_mul_lo_u32 v11, s40, v11
	v_cmp_le_i32_e32 vcc_lo, v0, v10
	v_add3_u32 v7, v7, v11, v13
	v_lshlrev_b64 v[6:7], 3, v[6:7]
	v_add_co_u32 v6, s1, s2, v6
	v_add_co_ci_u32_e64 v7, null, s3, v7, s1
	s_and_b32 s1, s0, vcc_lo
	s_and_saveexec_b32 s2, s1
	s_cbranch_execz .LBB494_24
; %bb.21:
	v_mul_f64 v[4:5], s[14:15], v[4:5]
	v_lshlrev_b64 v[0:1], 3, v[0:1]
	v_cmp_ne_u32_e32 vcc_lo, 1, v12
	v_add_co_u32 v0, s1, v6, v0
	v_add_co_ci_u32_e64 v1, null, v7, v1, s1
	s_cbranch_vccnz .LBB494_23
; %bb.22:
	flat_load_dwordx2 v[13:14], v[0:1]
	s_waitcnt vmcnt(0) lgkmcnt(0)
	v_fma_f64 v[4:5], s[36:37], v[13:14], v[4:5]
.LBB494_23:
	flat_store_dwordx2 v[0:1], v[4:5]
.LBB494_24:
	s_or_b32 exec_lo, exec_lo, s2
	v_cmp_le_i32_e32 vcc_lo, v8, v10
	s_and_b32 s0, s0, vcc_lo
	s_and_saveexec_b32 s1, s0
	s_cbranch_execz .LBB494_28
; %bb.25:
	v_mul_f64 v[0:1], s[14:15], v[2:3]
	v_lshlrev_b64 v[2:3], 3, v[8:9]
	v_cmp_ne_u32_e32 vcc_lo, 1, v12
	v_add_co_u32 v2, s0, v6, v2
	v_add_co_ci_u32_e64 v3, null, v7, v3, s0
	s_cbranch_vccnz .LBB494_27
; %bb.26:
	flat_load_dwordx2 v[4:5], v[2:3]
	s_waitcnt vmcnt(0) lgkmcnt(0)
	v_fma_f64 v[0:1], s[36:37], v[4:5], v[0:1]
.LBB494_27:
	flat_store_dwordx2 v[2:3], v[0:1]
.LBB494_28:
	s_endpgm
	.section	.rodata,"a",@progbits
	.p2align	6, 0x0
	.amdhsa_kernel _ZL29rocblas_internal_gemmt_kernelIlLi16ELi32ELi8ELc67ELc67ELc85ELb0ELb0EddPKPKdPKPdEviT_T9_T10_S7_lS9_S7_lS8_T11_S7_li
		.amdhsa_group_segment_fixed_size 4096
		.amdhsa_private_segment_fixed_size 0
		.amdhsa_kernarg_size 108
		.amdhsa_user_sgpr_count 6
		.amdhsa_user_sgpr_private_segment_buffer 1
		.amdhsa_user_sgpr_dispatch_ptr 0
		.amdhsa_user_sgpr_queue_ptr 0
		.amdhsa_user_sgpr_kernarg_segment_ptr 1
		.amdhsa_user_sgpr_dispatch_id 0
		.amdhsa_user_sgpr_flat_scratch_init 0
		.amdhsa_user_sgpr_private_segment_size 0
		.amdhsa_wavefront_size32 1
		.amdhsa_uses_dynamic_stack 0
		.amdhsa_system_sgpr_private_segment_wavefront_offset 0
		.amdhsa_system_sgpr_workgroup_id_x 1
		.amdhsa_system_sgpr_workgroup_id_y 1
		.amdhsa_system_sgpr_workgroup_id_z 1
		.amdhsa_system_sgpr_workgroup_info 0
		.amdhsa_system_vgpr_workitem_id 1
		.amdhsa_next_free_vgpr 46
		.amdhsa_next_free_sgpr 44
		.amdhsa_reserve_vcc 1
		.amdhsa_reserve_flat_scratch 0
		.amdhsa_float_round_mode_32 0
		.amdhsa_float_round_mode_16_64 0
		.amdhsa_float_denorm_mode_32 3
		.amdhsa_float_denorm_mode_16_64 3
		.amdhsa_dx10_clamp 1
		.amdhsa_ieee_mode 1
		.amdhsa_fp16_overflow 0
		.amdhsa_workgroup_processor_mode 1
		.amdhsa_memory_ordered 1
		.amdhsa_forward_progress 1
		.amdhsa_shared_vgpr_count 0
		.amdhsa_exception_fp_ieee_invalid_op 0
		.amdhsa_exception_fp_denorm_src 0
		.amdhsa_exception_fp_ieee_div_zero 0
		.amdhsa_exception_fp_ieee_overflow 0
		.amdhsa_exception_fp_ieee_underflow 0
		.amdhsa_exception_fp_ieee_inexact 0
		.amdhsa_exception_int_div_zero 0
	.end_amdhsa_kernel
	.section	.text._ZL29rocblas_internal_gemmt_kernelIlLi16ELi32ELi8ELc67ELc67ELc85ELb0ELb0EddPKPKdPKPdEviT_T9_T10_S7_lS9_S7_lS8_T11_S7_li,"axG",@progbits,_ZL29rocblas_internal_gemmt_kernelIlLi16ELi32ELi8ELc67ELc67ELc85ELb0ELb0EddPKPKdPKPdEviT_T9_T10_S7_lS9_S7_lS8_T11_S7_li,comdat
.Lfunc_end494:
	.size	_ZL29rocblas_internal_gemmt_kernelIlLi16ELi32ELi8ELc67ELc67ELc85ELb0ELb0EddPKPKdPKPdEviT_T9_T10_S7_lS9_S7_lS8_T11_S7_li, .Lfunc_end494-_ZL29rocblas_internal_gemmt_kernelIlLi16ELi32ELi8ELc67ELc67ELc85ELb0ELb0EddPKPKdPKPdEviT_T9_T10_S7_lS9_S7_lS8_T11_S7_li
                                        ; -- End function
	.set _ZL29rocblas_internal_gemmt_kernelIlLi16ELi32ELi8ELc67ELc67ELc85ELb0ELb0EddPKPKdPKPdEviT_T9_T10_S7_lS9_S7_lS8_T11_S7_li.num_vgpr, 46
	.set _ZL29rocblas_internal_gemmt_kernelIlLi16ELi32ELi8ELc67ELc67ELc85ELb0ELb0EddPKPKdPKPdEviT_T9_T10_S7_lS9_S7_lS8_T11_S7_li.num_agpr, 0
	.set _ZL29rocblas_internal_gemmt_kernelIlLi16ELi32ELi8ELc67ELc67ELc85ELb0ELb0EddPKPKdPKPdEviT_T9_T10_S7_lS9_S7_lS8_T11_S7_li.numbered_sgpr, 44
	.set _ZL29rocblas_internal_gemmt_kernelIlLi16ELi32ELi8ELc67ELc67ELc85ELb0ELb0EddPKPKdPKPdEviT_T9_T10_S7_lS9_S7_lS8_T11_S7_li.num_named_barrier, 0
	.set _ZL29rocblas_internal_gemmt_kernelIlLi16ELi32ELi8ELc67ELc67ELc85ELb0ELb0EddPKPKdPKPdEviT_T9_T10_S7_lS9_S7_lS8_T11_S7_li.private_seg_size, 0
	.set _ZL29rocblas_internal_gemmt_kernelIlLi16ELi32ELi8ELc67ELc67ELc85ELb0ELb0EddPKPKdPKPdEviT_T9_T10_S7_lS9_S7_lS8_T11_S7_li.uses_vcc, 1
	.set _ZL29rocblas_internal_gemmt_kernelIlLi16ELi32ELi8ELc67ELc67ELc85ELb0ELb0EddPKPKdPKPdEviT_T9_T10_S7_lS9_S7_lS8_T11_S7_li.uses_flat_scratch, 0
	.set _ZL29rocblas_internal_gemmt_kernelIlLi16ELi32ELi8ELc67ELc67ELc85ELb0ELb0EddPKPKdPKPdEviT_T9_T10_S7_lS9_S7_lS8_T11_S7_li.has_dyn_sized_stack, 0
	.set _ZL29rocblas_internal_gemmt_kernelIlLi16ELi32ELi8ELc67ELc67ELc85ELb0ELb0EddPKPKdPKPdEviT_T9_T10_S7_lS9_S7_lS8_T11_S7_li.has_recursion, 0
	.set _ZL29rocblas_internal_gemmt_kernelIlLi16ELi32ELi8ELc67ELc67ELc85ELb0ELb0EddPKPKdPKPdEviT_T9_T10_S7_lS9_S7_lS8_T11_S7_li.has_indirect_call, 0
	.section	.AMDGPU.csdata,"",@progbits
; Kernel info:
; codeLenInByte = 1664
; TotalNumSgprs: 46
; NumVgprs: 46
; ScratchSize: 0
; MemoryBound: 0
; FloatMode: 240
; IeeeMode: 1
; LDSByteSize: 4096 bytes/workgroup (compile time only)
; SGPRBlocks: 0
; VGPRBlocks: 5
; NumSGPRsForWavesPerEU: 46
; NumVGPRsForWavesPerEU: 46
; Occupancy: 16
; WaveLimiterHint : 1
; COMPUTE_PGM_RSRC2:SCRATCH_EN: 0
; COMPUTE_PGM_RSRC2:USER_SGPR: 6
; COMPUTE_PGM_RSRC2:TRAP_HANDLER: 0
; COMPUTE_PGM_RSRC2:TGID_X_EN: 1
; COMPUTE_PGM_RSRC2:TGID_Y_EN: 1
; COMPUTE_PGM_RSRC2:TGID_Z_EN: 1
; COMPUTE_PGM_RSRC2:TIDIG_COMP_CNT: 1
	.section	.text._ZL29rocblas_internal_gemmt_kernelIlLi16ELi32ELi8ELc78ELc78ELc76ELb0ELb0EddPKPKdPKPdEviT_T9_T10_S7_lS9_S7_lS8_T11_S7_li,"axG",@progbits,_ZL29rocblas_internal_gemmt_kernelIlLi16ELi32ELi8ELc78ELc78ELc76ELb0ELb0EddPKPKdPKPdEviT_T9_T10_S7_lS9_S7_lS8_T11_S7_li,comdat
	.globl	_ZL29rocblas_internal_gemmt_kernelIlLi16ELi32ELi8ELc78ELc78ELc76ELb0ELb0EddPKPKdPKPdEviT_T9_T10_S7_lS9_S7_lS8_T11_S7_li ; -- Begin function _ZL29rocblas_internal_gemmt_kernelIlLi16ELi32ELi8ELc78ELc78ELc76ELb0ELb0EddPKPKdPKPdEviT_T9_T10_S7_lS9_S7_lS8_T11_S7_li
	.p2align	8
	.type	_ZL29rocblas_internal_gemmt_kernelIlLi16ELi32ELi8ELc78ELc78ELc76ELb0ELb0EddPKPKdPKPdEviT_T9_T10_S7_lS9_S7_lS8_T11_S7_li,@function
_ZL29rocblas_internal_gemmt_kernelIlLi16ELi32ELi8ELc78ELc78ELc76ELb0ELb0EddPKPKdPKPdEviT_T9_T10_S7_lS9_S7_lS8_T11_S7_li: ; @_ZL29rocblas_internal_gemmt_kernelIlLi16ELi32ELi8ELc78ELc78ELc76ELb0ELb0EddPKPKdPKPdEviT_T9_T10_S7_lS9_S7_lS8_T11_S7_li
; %bb.0:
	s_clause 0x1
	s_load_dwordx8 s[36:43], s[4:5], 0x48
	s_load_dwordx16 s[12:27], s[4:5], 0x8
	s_waitcnt lgkmcnt(0)
	v_cmp_neq_f64_e64 s0, s[36:37], 1.0
	s_and_b32 vcc_lo, exec_lo, s0
	s_cbranch_vccnz .LBB495_2
; %bb.1:
	v_cmp_neq_f64_e64 s0, s[14:15], 0
	s_cmp_lg_u64 s[12:13], 0
	s_cselect_b32 s1, -1, 0
	s_and_b32 s0, s1, s0
.LBB495_2:
	s_andn2_b32 vcc_lo, exec_lo, s0
	s_cbranch_vccnz .LBB495_28
; %bb.3:
	v_cmp_eq_f64_e64 s10, s[14:15], 0
	s_mov_b32 s9, 0
	v_mov_b32_e32 v8, 0
	s_lshl_b64 s[0:1], s[8:9], 3
	v_mov_b32_e32 v6, 0
	s_add_u32 s2, s38, s0
	s_addc_u32 s3, s39, s1
	s_load_dword s8, s[4:5], 0x0
	s_load_dwordx2 s[2:3], s[2:3], 0x0
	v_cmp_lt_i64_e64 s4, s[12:13], 1
	v_mov_b32_e32 v4, 0
	v_mov_b32_e32 v2, 0
	;; [unrolled: 1-line block ×6, first 2 shown]
	s_lshl_b32 s6, s6, 5
	s_lshl_b32 s7, s7, 5
	s_or_b32 s4, s10, s4
	s_and_b32 vcc_lo, exec_lo, s4
	s_cbranch_vccnz .LBB495_12
; %bb.4:
	s_add_u32 s4, s22, s0
	s_addc_u32 s5, s23, s1
	v_lshl_add_u32 v13, v1, 4, v0
	s_load_dwordx2 s[4:5], s[4:5], 0x0
	s_lshl_b64 s[10:11], s[26:27], 3
	v_and_b32_e32 v16, 7, v0
	v_mov_b32_e32 v2, 0
	v_lshrrev_b32_e32 v14, 3, v13
	v_and_b32_e32 v20, 31, v13
	v_lshrrev_b32_e32 v19, 5, v13
	v_lshlrev_b32_e32 v23, 3, v16
	v_mov_b32_e32 v4, 0
	v_add_nc_u32_e32 v15, s7, v14
	v_or_b32_e32 v12, s6, v20
	v_lshlrev_b32_e32 v20, 3, v20
	v_lshl_or_b32 v14, v14, 6, v23
	v_mov_b32_e32 v8, 0
	v_ashrrev_i32_e32 v6, 31, v15
	v_mul_lo_u32 v21, s25, v15
	v_mad_u64_u32 v[10:11], null, s24, v15, 0
	v_ashrrev_i32_e32 v13, 31, v12
	v_mul_lo_u32 v22, s24, v6
	s_waitcnt lgkmcnt(0)
	s_add_u32 s9, s4, s10
	s_addc_u32 s22, s5, s11
	s_add_u32 s0, s16, s0
	s_addc_u32 s1, s17, s1
	s_lshl_b64 s[10:11], s[20:21], 3
	s_load_dwordx2 s[4:5], s[0:1], 0x0
	v_cmp_gt_i32_e64 s0, s8, v12
	v_add3_u32 v11, v11, v22, v21
	v_lshlrev_b64 v[12:13], 3, v[12:13]
	v_mov_b32_e32 v6, 0
	v_lshlrev_b32_e32 v17, 3, v0
	v_lshl_add_u32 v18, v1, 6, 0x800
	v_lshlrev_b64 v[10:11], 3, v[10:11]
	v_mov_b32_e32 v3, 0
	v_mov_b32_e32 v5, 0
	;; [unrolled: 1-line block ×4, first 2 shown]
	v_lshl_or_b32 v20, v19, 8, v20
	v_add_co_u32 v22, vcc_lo, s9, v10
	v_add_co_ci_u32_e64 v23, null, s22, v11, vcc_lo
	v_cmp_gt_i32_e64 s1, s8, v15
	v_add_nc_u32_e32 v21, 0x800, v14
	v_mov_b32_e32 v11, 0
	s_waitcnt lgkmcnt(0)
	s_add_u32 s4, s4, s10
	s_addc_u32 s5, s5, s11
	v_add_co_u32 v24, vcc_lo, s4, v12
	v_add_co_ci_u32_e64 v25, null, s5, v13, vcc_lo
	s_mov_b64 s[4:5], 0
	s_branch .LBB495_6
.LBB495_5:                              ;   in Loop: Header=BB495_6 Depth=1
	s_or_b32 exec_lo, exec_lo, s9
	s_waitcnt vmcnt(0) lgkmcnt(0)
	ds_write_b64 v21, v[14:15]
	s_waitcnt lgkmcnt(0)
	s_barrier
	buffer_gl0_inv
	ds_read_b128 v[12:15], v18
	ds_read2_b64 v[26:29], v17 offset1:16
	ds_read_b128 v[30:33], v18 offset:1024
	ds_read_b128 v[34:37], v18 offset:16
	ds_read2_b64 v[38:41], v17 offset0:32 offset1:48
	ds_read_b128 v[42:45], v18 offset:1040
	s_add_u32 s4, s4, 8
	s_addc_u32 s5, s5, 0
	v_cmp_gt_i64_e64 s9, s[12:13], s[4:5]
	s_and_b32 vcc_lo, exec_lo, s9
	s_waitcnt lgkmcnt(4)
	v_fma_f64 v[8:9], v[26:27], v[12:13], v[8:9]
	v_fma_f64 v[6:7], v[28:29], v[12:13], v[6:7]
	s_waitcnt lgkmcnt(3)
	v_fma_f64 v[12:13], v[26:27], v[30:31], v[4:5]
	v_fma_f64 v[26:27], v[28:29], v[30:31], v[2:3]
	ds_read2_b64 v[2:5], v17 offset0:64 offset1:80
	s_waitcnt lgkmcnt(2)
	v_fma_f64 v[28:29], v[38:39], v[14:15], v[8:9]
	v_fma_f64 v[14:15], v[40:41], v[14:15], v[6:7]
	v_fma_f64 v[12:13], v[38:39], v[32:33], v[12:13]
	v_fma_f64 v[26:27], v[40:41], v[32:33], v[26:27]
	ds_read2_b64 v[6:9], v17 offset0:96 offset1:112
	s_waitcnt lgkmcnt(1)
	v_fma_f64 v[28:29], v[2:3], v[34:35], v[28:29]
	v_fma_f64 v[30:31], v[4:5], v[34:35], v[14:15]
	;; [unrolled: 1-line block ×4, first 2 shown]
	ds_read_b128 v[2:5], v18 offset:32
	ds_read2_b64 v[12:15], v17 offset0:128 offset1:144
	s_waitcnt lgkmcnt(2)
	v_fma_f64 v[38:39], v[6:7], v[36:37], v[28:29]
	v_fma_f64 v[40:41], v[8:9], v[36:37], v[30:31]
	;; [unrolled: 1-line block ×4, first 2 shown]
	ds_read_b128 v[6:9], v18 offset:1056
	ds_read_b128 v[26:29], v18 offset:48
	ds_read2_b64 v[30:33], v17 offset0:160 offset1:176
	ds_read_b128 v[34:37], v18 offset:1072
	s_waitcnt lgkmcnt(4)
	v_fma_f64 v[38:39], v[12:13], v[2:3], v[38:39]
	v_fma_f64 v[2:3], v[14:15], v[2:3], v[40:41]
	s_waitcnt lgkmcnt(3)
	v_fma_f64 v[40:41], v[12:13], v[6:7], v[42:43]
	v_fma_f64 v[6:7], v[14:15], v[6:7], v[44:45]
	ds_read2_b64 v[12:15], v17 offset0:192 offset1:208
	s_waitcnt lgkmcnt(2)
	v_fma_f64 v[38:39], v[30:31], v[4:5], v[38:39]
	v_fma_f64 v[2:3], v[32:33], v[4:5], v[2:3]
	;; [unrolled: 1-line block ×4, first 2 shown]
	ds_read2_b64 v[30:33], v17 offset0:224 offset1:240
	s_waitcnt lgkmcnt(0)
	s_barrier
	buffer_gl0_inv
	v_fma_f64 v[8:9], v[12:13], v[26:27], v[38:39]
	v_fma_f64 v[2:3], v[14:15], v[26:27], v[2:3]
	;; [unrolled: 1-line block ×8, first 2 shown]
	s_cbranch_vccz .LBB495_12
.LBB495_6:                              ; =>This Inner Loop Header: Depth=1
	v_mov_b32_e32 v12, 0
	v_mov_b32_e32 v13, 0
	s_and_saveexec_b32 s9, s0
	s_cbranch_execz .LBB495_10
; %bb.7:                                ;   in Loop: Header=BB495_6 Depth=1
	v_mov_b32_e32 v12, 0
	v_add_nc_u32_e32 v10, s4, v19
	v_mov_b32_e32 v13, 0
	s_mov_b32 s10, exec_lo
	v_cmpx_gt_u64_e64 s[12:13], v[10:11]
	s_cbranch_execz .LBB495_9
; %bb.8:                                ;   in Loop: Header=BB495_6 Depth=1
	v_mad_u64_u32 v[12:13], null, s18, v10, 0
	v_mad_u64_u32 v[13:14], null, s19, v10, v[13:14]
	v_lshlrev_b64 v[12:13], 3, v[12:13]
	v_add_co_u32 v12, vcc_lo, v24, v12
	v_add_co_ci_u32_e64 v13, null, v25, v13, vcc_lo
	flat_load_dwordx2 v[12:13], v[12:13]
.LBB495_9:                              ;   in Loop: Header=BB495_6 Depth=1
	s_or_b32 exec_lo, exec_lo, s10
.LBB495_10:                             ;   in Loop: Header=BB495_6 Depth=1
	s_or_b32 exec_lo, exec_lo, s9
	v_add_nc_u32_e32 v10, s4, v16
	v_mov_b32_e32 v14, 0
	v_mov_b32_e32 v15, 0
	s_waitcnt vmcnt(0) lgkmcnt(0)
	ds_write_b64 v20, v[12:13]
	v_cmp_gt_u64_e32 vcc_lo, s[12:13], v[10:11]
	s_and_b32 s10, vcc_lo, s1
	s_and_saveexec_b32 s9, s10
	s_cbranch_execz .LBB495_5
; %bb.11:                               ;   in Loop: Header=BB495_6 Depth=1
	v_lshlrev_b64 v[12:13], 3, v[10:11]
	v_add_co_u32 v12, vcc_lo, v22, v12
	v_add_co_ci_u32_e64 v13, null, v23, v13, vcc_lo
	flat_load_dwordx2 v[14:15], v[12:13]
	s_branch .LBB495_5
.LBB495_12:
	v_add_nc_u32_e32 v13, s7, v1
	s_lshl_b64 s[0:1], s[42:43], 3
	v_add_nc_u32_e32 v0, s6, v0
	s_waitcnt lgkmcnt(0)
	s_add_u32 s4, s2, s0
	v_cmp_neq_f64_e64 s2, s[36:37], 0
	v_ashrrev_i32_e32 v1, 31, v13
	v_mul_lo_u32 v12, s41, v13
	v_mad_u64_u32 v[10:11], null, s40, v13, 0
	s_addc_u32 s3, s3, s1
	v_mul_lo_u32 v1, s40, v1
	v_cmp_le_i32_e32 vcc_lo, v13, v0
	v_cmp_gt_i32_e64 s0, s8, v0
	s_and_b32 s5, vcc_lo, s0
	v_add3_u32 v11, v11, v1, v12
	v_ashrrev_i32_e32 v1, 31, v0
	v_lshlrev_b64 v[10:11], 3, v[10:11]
	v_cndmask_b32_e64 v12, 0, 1, s2
	v_add_co_u32 v14, s1, s4, v10
	v_add_co_ci_u32_e64 v15, null, s3, v11, s1
	s_and_saveexec_b32 s1, s5
	s_cbranch_execz .LBB495_16
; %bb.13:
	v_mul_f64 v[8:9], s[14:15], v[8:9]
	v_lshlrev_b64 v[10:11], 3, v[0:1]
	v_add_co_u32 v10, vcc_lo, v14, v10
	v_add_co_ci_u32_e64 v11, null, v15, v11, vcc_lo
	s_andn2_b32 vcc_lo, exec_lo, s2
	s_cbranch_vccnz .LBB495_15
; %bb.14:
	flat_load_dwordx2 v[16:17], v[10:11]
	s_waitcnt vmcnt(0) lgkmcnt(0)
	v_fma_f64 v[8:9], s[36:37], v[16:17], v[8:9]
.LBB495_15:
	flat_store_dwordx2 v[10:11], v[8:9]
.LBB495_16:
	s_or_b32 exec_lo, exec_lo, s1
	v_add_nc_u32_e32 v8, 16, v0
	v_cmp_le_i32_e32 vcc_lo, v13, v8
	v_cmp_gt_i32_e64 s1, s8, v8
	v_ashrrev_i32_e32 v9, 31, v8
	s_and_b32 s2, vcc_lo, s1
	s_and_saveexec_b32 s5, s2
	s_cbranch_execz .LBB495_20
; %bb.17:
	v_mul_f64 v[6:7], s[14:15], v[6:7]
	v_lshlrev_b64 v[10:11], 3, v[8:9]
	v_cmp_ne_u32_e32 vcc_lo, 1, v12
	v_add_co_u32 v10, s2, v14, v10
	v_add_co_ci_u32_e64 v11, null, v15, v11, s2
	s_cbranch_vccnz .LBB495_19
; %bb.18:
	flat_load_dwordx2 v[14:15], v[10:11]
	s_waitcnt vmcnt(0) lgkmcnt(0)
	v_fma_f64 v[6:7], s[36:37], v[14:15], v[6:7]
.LBB495_19:
	flat_store_dwordx2 v[10:11], v[6:7]
.LBB495_20:
	s_or_b32 exec_lo, exec_lo, s5
	v_add_nc_u32_e32 v10, 16, v13
	v_ashrrev_i32_e32 v11, 31, v10
	v_mul_lo_u32 v13, s41, v10
	v_mad_u64_u32 v[6:7], null, s40, v10, 0
	v_cmp_le_i32_e32 vcc_lo, v10, v0
	v_mul_lo_u32 v11, s40, v11
	s_and_b32 s0, vcc_lo, s0
	v_add3_u32 v7, v7, v11, v13
	v_lshlrev_b64 v[6:7], 3, v[6:7]
	v_add_co_u32 v6, s2, s4, v6
	v_add_co_ci_u32_e64 v7, null, s3, v7, s2
	s_and_saveexec_b32 s2, s0
	s_cbranch_execz .LBB495_24
; %bb.21:
	v_mul_f64 v[4:5], s[14:15], v[4:5]
	v_lshlrev_b64 v[0:1], 3, v[0:1]
	v_cmp_ne_u32_e32 vcc_lo, 1, v12
	v_add_co_u32 v0, s0, v6, v0
	v_add_co_ci_u32_e64 v1, null, v7, v1, s0
	s_cbranch_vccnz .LBB495_23
; %bb.22:
	flat_load_dwordx2 v[13:14], v[0:1]
	s_waitcnt vmcnt(0) lgkmcnt(0)
	v_fma_f64 v[4:5], s[36:37], v[13:14], v[4:5]
.LBB495_23:
	flat_store_dwordx2 v[0:1], v[4:5]
.LBB495_24:
	s_or_b32 exec_lo, exec_lo, s2
	v_cmp_le_i32_e32 vcc_lo, v10, v8
	s_and_b32 s0, vcc_lo, s1
	s_and_saveexec_b32 s1, s0
	s_cbranch_execz .LBB495_28
; %bb.25:
	v_mul_f64 v[0:1], s[14:15], v[2:3]
	v_lshlrev_b64 v[2:3], 3, v[8:9]
	v_cmp_ne_u32_e32 vcc_lo, 1, v12
	v_add_co_u32 v2, s0, v6, v2
	v_add_co_ci_u32_e64 v3, null, v7, v3, s0
	s_cbranch_vccnz .LBB495_27
; %bb.26:
	flat_load_dwordx2 v[4:5], v[2:3]
	s_waitcnt vmcnt(0) lgkmcnt(0)
	v_fma_f64 v[0:1], s[36:37], v[4:5], v[0:1]
.LBB495_27:
	flat_store_dwordx2 v[2:3], v[0:1]
.LBB495_28:
	s_endpgm
	.section	.rodata,"a",@progbits
	.p2align	6, 0x0
	.amdhsa_kernel _ZL29rocblas_internal_gemmt_kernelIlLi16ELi32ELi8ELc78ELc78ELc76ELb0ELb0EddPKPKdPKPdEviT_T9_T10_S7_lS9_S7_lS8_T11_S7_li
		.amdhsa_group_segment_fixed_size 4096
		.amdhsa_private_segment_fixed_size 0
		.amdhsa_kernarg_size 108
		.amdhsa_user_sgpr_count 6
		.amdhsa_user_sgpr_private_segment_buffer 1
		.amdhsa_user_sgpr_dispatch_ptr 0
		.amdhsa_user_sgpr_queue_ptr 0
		.amdhsa_user_sgpr_kernarg_segment_ptr 1
		.amdhsa_user_sgpr_dispatch_id 0
		.amdhsa_user_sgpr_flat_scratch_init 0
		.amdhsa_user_sgpr_private_segment_size 0
		.amdhsa_wavefront_size32 1
		.amdhsa_uses_dynamic_stack 0
		.amdhsa_system_sgpr_private_segment_wavefront_offset 0
		.amdhsa_system_sgpr_workgroup_id_x 1
		.amdhsa_system_sgpr_workgroup_id_y 1
		.amdhsa_system_sgpr_workgroup_id_z 1
		.amdhsa_system_sgpr_workgroup_info 0
		.amdhsa_system_vgpr_workitem_id 1
		.amdhsa_next_free_vgpr 46
		.amdhsa_next_free_sgpr 44
		.amdhsa_reserve_vcc 1
		.amdhsa_reserve_flat_scratch 0
		.amdhsa_float_round_mode_32 0
		.amdhsa_float_round_mode_16_64 0
		.amdhsa_float_denorm_mode_32 3
		.amdhsa_float_denorm_mode_16_64 3
		.amdhsa_dx10_clamp 1
		.amdhsa_ieee_mode 1
		.amdhsa_fp16_overflow 0
		.amdhsa_workgroup_processor_mode 1
		.amdhsa_memory_ordered 1
		.amdhsa_forward_progress 1
		.amdhsa_shared_vgpr_count 0
		.amdhsa_exception_fp_ieee_invalid_op 0
		.amdhsa_exception_fp_denorm_src 0
		.amdhsa_exception_fp_ieee_div_zero 0
		.amdhsa_exception_fp_ieee_overflow 0
		.amdhsa_exception_fp_ieee_underflow 0
		.amdhsa_exception_fp_ieee_inexact 0
		.amdhsa_exception_int_div_zero 0
	.end_amdhsa_kernel
	.section	.text._ZL29rocblas_internal_gemmt_kernelIlLi16ELi32ELi8ELc78ELc78ELc76ELb0ELb0EddPKPKdPKPdEviT_T9_T10_S7_lS9_S7_lS8_T11_S7_li,"axG",@progbits,_ZL29rocblas_internal_gemmt_kernelIlLi16ELi32ELi8ELc78ELc78ELc76ELb0ELb0EddPKPKdPKPdEviT_T9_T10_S7_lS9_S7_lS8_T11_S7_li,comdat
.Lfunc_end495:
	.size	_ZL29rocblas_internal_gemmt_kernelIlLi16ELi32ELi8ELc78ELc78ELc76ELb0ELb0EddPKPKdPKPdEviT_T9_T10_S7_lS9_S7_lS8_T11_S7_li, .Lfunc_end495-_ZL29rocblas_internal_gemmt_kernelIlLi16ELi32ELi8ELc78ELc78ELc76ELb0ELb0EddPKPKdPKPdEviT_T9_T10_S7_lS9_S7_lS8_T11_S7_li
                                        ; -- End function
	.set _ZL29rocblas_internal_gemmt_kernelIlLi16ELi32ELi8ELc78ELc78ELc76ELb0ELb0EddPKPKdPKPdEviT_T9_T10_S7_lS9_S7_lS8_T11_S7_li.num_vgpr, 46
	.set _ZL29rocblas_internal_gemmt_kernelIlLi16ELi32ELi8ELc78ELc78ELc76ELb0ELb0EddPKPKdPKPdEviT_T9_T10_S7_lS9_S7_lS8_T11_S7_li.num_agpr, 0
	.set _ZL29rocblas_internal_gemmt_kernelIlLi16ELi32ELi8ELc78ELc78ELc76ELb0ELb0EddPKPKdPKPdEviT_T9_T10_S7_lS9_S7_lS8_T11_S7_li.numbered_sgpr, 44
	.set _ZL29rocblas_internal_gemmt_kernelIlLi16ELi32ELi8ELc78ELc78ELc76ELb0ELb0EddPKPKdPKPdEviT_T9_T10_S7_lS9_S7_lS8_T11_S7_li.num_named_barrier, 0
	.set _ZL29rocblas_internal_gemmt_kernelIlLi16ELi32ELi8ELc78ELc78ELc76ELb0ELb0EddPKPKdPKPdEviT_T9_T10_S7_lS9_S7_lS8_T11_S7_li.private_seg_size, 0
	.set _ZL29rocblas_internal_gemmt_kernelIlLi16ELi32ELi8ELc78ELc78ELc76ELb0ELb0EddPKPKdPKPdEviT_T9_T10_S7_lS9_S7_lS8_T11_S7_li.uses_vcc, 1
	.set _ZL29rocblas_internal_gemmt_kernelIlLi16ELi32ELi8ELc78ELc78ELc76ELb0ELb0EddPKPKdPKPdEviT_T9_T10_S7_lS9_S7_lS8_T11_S7_li.uses_flat_scratch, 0
	.set _ZL29rocblas_internal_gemmt_kernelIlLi16ELi32ELi8ELc78ELc78ELc76ELb0ELb0EddPKPKdPKPdEviT_T9_T10_S7_lS9_S7_lS8_T11_S7_li.has_dyn_sized_stack, 0
	.set _ZL29rocblas_internal_gemmt_kernelIlLi16ELi32ELi8ELc78ELc78ELc76ELb0ELb0EddPKPKdPKPdEviT_T9_T10_S7_lS9_S7_lS8_T11_S7_li.has_recursion, 0
	.set _ZL29rocblas_internal_gemmt_kernelIlLi16ELi32ELi8ELc78ELc78ELc76ELb0ELb0EddPKPKdPKPdEviT_T9_T10_S7_lS9_S7_lS8_T11_S7_li.has_indirect_call, 0
	.section	.AMDGPU.csdata,"",@progbits
; Kernel info:
; codeLenInByte = 1668
; TotalNumSgprs: 46
; NumVgprs: 46
; ScratchSize: 0
; MemoryBound: 0
; FloatMode: 240
; IeeeMode: 1
; LDSByteSize: 4096 bytes/workgroup (compile time only)
; SGPRBlocks: 0
; VGPRBlocks: 5
; NumSGPRsForWavesPerEU: 46
; NumVGPRsForWavesPerEU: 46
; Occupancy: 16
; WaveLimiterHint : 1
; COMPUTE_PGM_RSRC2:SCRATCH_EN: 0
; COMPUTE_PGM_RSRC2:USER_SGPR: 6
; COMPUTE_PGM_RSRC2:TRAP_HANDLER: 0
; COMPUTE_PGM_RSRC2:TGID_X_EN: 1
; COMPUTE_PGM_RSRC2:TGID_Y_EN: 1
; COMPUTE_PGM_RSRC2:TGID_Z_EN: 1
; COMPUTE_PGM_RSRC2:TIDIG_COMP_CNT: 1
	.section	.text._ZL29rocblas_internal_gemmt_kernelIlLi16ELi32ELi8ELc78ELc84ELc76ELb0ELb0EddPKPKdPKPdEviT_T9_T10_S7_lS9_S7_lS8_T11_S7_li,"axG",@progbits,_ZL29rocblas_internal_gemmt_kernelIlLi16ELi32ELi8ELc78ELc84ELc76ELb0ELb0EddPKPKdPKPdEviT_T9_T10_S7_lS9_S7_lS8_T11_S7_li,comdat
	.globl	_ZL29rocblas_internal_gemmt_kernelIlLi16ELi32ELi8ELc78ELc84ELc76ELb0ELb0EddPKPKdPKPdEviT_T9_T10_S7_lS9_S7_lS8_T11_S7_li ; -- Begin function _ZL29rocblas_internal_gemmt_kernelIlLi16ELi32ELi8ELc78ELc84ELc76ELb0ELb0EddPKPKdPKPdEviT_T9_T10_S7_lS9_S7_lS8_T11_S7_li
	.p2align	8
	.type	_ZL29rocblas_internal_gemmt_kernelIlLi16ELi32ELi8ELc78ELc84ELc76ELb0ELb0EddPKPKdPKPdEviT_T9_T10_S7_lS9_S7_lS8_T11_S7_li,@function
_ZL29rocblas_internal_gemmt_kernelIlLi16ELi32ELi8ELc78ELc84ELc76ELb0ELb0EddPKPKdPKPdEviT_T9_T10_S7_lS9_S7_lS8_T11_S7_li: ; @_ZL29rocblas_internal_gemmt_kernelIlLi16ELi32ELi8ELc78ELc84ELc76ELb0ELb0EddPKPKdPKPdEviT_T9_T10_S7_lS9_S7_lS8_T11_S7_li
; %bb.0:
	s_clause 0x1
	s_load_dwordx8 s[36:43], s[4:5], 0x48
	s_load_dwordx16 s[12:27], s[4:5], 0x8
	s_waitcnt lgkmcnt(0)
	v_cmp_neq_f64_e64 s0, s[36:37], 1.0
	s_and_b32 vcc_lo, exec_lo, s0
	s_cbranch_vccnz .LBB496_2
; %bb.1:
	v_cmp_neq_f64_e64 s0, s[14:15], 0
	s_cmp_lg_u64 s[12:13], 0
	s_cselect_b32 s1, -1, 0
	s_and_b32 s0, s1, s0
.LBB496_2:
	s_andn2_b32 vcc_lo, exec_lo, s0
	s_cbranch_vccnz .LBB496_28
; %bb.3:
	v_cmp_eq_f64_e64 s10, s[14:15], 0
	s_mov_b32 s9, 0
	v_mov_b32_e32 v8, 0
	s_lshl_b64 s[0:1], s[8:9], 3
	v_mov_b32_e32 v6, 0
	s_add_u32 s2, s38, s0
	s_addc_u32 s3, s39, s1
	s_load_dword s8, s[4:5], 0x0
	s_load_dwordx2 s[2:3], s[2:3], 0x0
	v_cmp_lt_i64_e64 s4, s[12:13], 1
	v_mov_b32_e32 v4, 0
	v_mov_b32_e32 v2, 0
	;; [unrolled: 1-line block ×6, first 2 shown]
	s_lshl_b32 s6, s6, 5
	s_lshl_b32 s7, s7, 5
	s_or_b32 s4, s10, s4
	s_and_b32 vcc_lo, exec_lo, s4
	s_cbranch_vccnz .LBB496_12
; %bb.4:
	s_add_u32 s4, s22, s0
	s_addc_u32 s5, s23, s1
	s_lshl_b64 s[10:11], s[26:27], 3
	s_load_dwordx2 s[4:5], s[4:5], 0x0
	v_lshl_add_u32 v11, v1, 4, v0
	v_and_b32_e32 v16, 7, v0
	v_mov_b32_e32 v2, 0
	v_mov_b32_e32 v4, 0
	;; [unrolled: 1-line block ×3, first 2 shown]
	v_lshrrev_b32_e32 v13, 3, v11
	v_and_b32_e32 v14, 31, v11
	v_lshlrev_b32_e32 v15, 3, v16
	v_lshrrev_b32_e32 v19, 5, v11
	v_mov_b32_e32 v8, 0
	v_add_nc_u32_e32 v10, s7, v13
	v_or_b32_e32 v12, s6, v14
	v_lshlrev_b32_e32 v14, 3, v14
	v_lshl_or_b32 v21, v13, 6, v15
	v_lshlrev_b32_e32 v17, 3, v0
	v_ashrrev_i32_e32 v11, 31, v10
	v_ashrrev_i32_e32 v13, 31, v12
	v_lshl_or_b32 v20, v19, 8, v14
	v_lshl_add_u32 v18, v1, 6, 0x800
	s_waitcnt lgkmcnt(0)
	s_add_u32 s9, s4, s10
	s_addc_u32 s22, s5, s11
	s_add_u32 s0, s16, s0
	s_addc_u32 s1, s17, s1
	v_lshlrev_b64 v[14:15], 3, v[10:11]
	s_load_dwordx2 s[4:5], s[0:1], 0x0
	v_cmp_gt_i32_e64 s1, s8, v10
	v_lshlrev_b64 v[10:11], 3, v[12:13]
	s_lshl_b64 s[10:11], s[20:21], 3
	v_mov_b32_e32 v3, 0
	v_add_co_u32 v22, vcc_lo, s9, v14
	v_add_co_ci_u32_e64 v23, null, s22, v15, vcc_lo
	v_mov_b32_e32 v5, 0
	v_mov_b32_e32 v7, 0
	;; [unrolled: 1-line block ×3, first 2 shown]
	v_cmp_gt_i32_e64 s0, s8, v12
	v_add_nc_u32_e32 v21, 0x800, v21
	s_waitcnt lgkmcnt(0)
	s_add_u32 s4, s4, s10
	s_addc_u32 s5, s5, s11
	v_add_co_u32 v24, vcc_lo, s4, v10
	v_add_co_ci_u32_e64 v25, null, s5, v11, vcc_lo
	v_mov_b32_e32 v11, 0
	s_mov_b64 s[4:5], 0
	s_branch .LBB496_6
.LBB496_5:                              ;   in Loop: Header=BB496_6 Depth=1
	s_or_b32 exec_lo, exec_lo, s9
	s_waitcnt vmcnt(0) lgkmcnt(0)
	ds_write_b64 v21, v[14:15]
	s_waitcnt lgkmcnt(0)
	s_barrier
	buffer_gl0_inv
	ds_read_b128 v[12:15], v18
	ds_read2_b64 v[26:29], v17 offset1:16
	ds_read_b128 v[30:33], v18 offset:1024
	ds_read_b128 v[34:37], v18 offset:16
	ds_read2_b64 v[38:41], v17 offset0:32 offset1:48
	ds_read_b128 v[42:45], v18 offset:1040
	s_add_u32 s4, s4, 8
	s_addc_u32 s5, s5, 0
	v_cmp_gt_i64_e64 s9, s[12:13], s[4:5]
	s_and_b32 vcc_lo, exec_lo, s9
	s_waitcnt lgkmcnt(4)
	v_fma_f64 v[8:9], v[26:27], v[12:13], v[8:9]
	v_fma_f64 v[6:7], v[28:29], v[12:13], v[6:7]
	s_waitcnt lgkmcnt(3)
	v_fma_f64 v[12:13], v[26:27], v[30:31], v[4:5]
	v_fma_f64 v[26:27], v[28:29], v[30:31], v[2:3]
	ds_read2_b64 v[2:5], v17 offset0:64 offset1:80
	s_waitcnt lgkmcnt(2)
	v_fma_f64 v[28:29], v[38:39], v[14:15], v[8:9]
	v_fma_f64 v[14:15], v[40:41], v[14:15], v[6:7]
	;; [unrolled: 1-line block ×4, first 2 shown]
	ds_read2_b64 v[6:9], v17 offset0:96 offset1:112
	s_waitcnt lgkmcnt(1)
	v_fma_f64 v[28:29], v[2:3], v[34:35], v[28:29]
	v_fma_f64 v[30:31], v[4:5], v[34:35], v[14:15]
	;; [unrolled: 1-line block ×4, first 2 shown]
	ds_read_b128 v[2:5], v18 offset:32
	ds_read2_b64 v[12:15], v17 offset0:128 offset1:144
	s_waitcnt lgkmcnt(2)
	v_fma_f64 v[38:39], v[6:7], v[36:37], v[28:29]
	v_fma_f64 v[40:41], v[8:9], v[36:37], v[30:31]
	;; [unrolled: 1-line block ×4, first 2 shown]
	ds_read_b128 v[6:9], v18 offset:1056
	ds_read_b128 v[26:29], v18 offset:48
	ds_read2_b64 v[30:33], v17 offset0:160 offset1:176
	ds_read_b128 v[34:37], v18 offset:1072
	s_waitcnt lgkmcnt(4)
	v_fma_f64 v[38:39], v[12:13], v[2:3], v[38:39]
	v_fma_f64 v[2:3], v[14:15], v[2:3], v[40:41]
	s_waitcnt lgkmcnt(3)
	v_fma_f64 v[40:41], v[12:13], v[6:7], v[42:43]
	v_fma_f64 v[6:7], v[14:15], v[6:7], v[44:45]
	ds_read2_b64 v[12:15], v17 offset0:192 offset1:208
	s_waitcnt lgkmcnt(2)
	v_fma_f64 v[38:39], v[30:31], v[4:5], v[38:39]
	v_fma_f64 v[2:3], v[32:33], v[4:5], v[2:3]
	;; [unrolled: 1-line block ×4, first 2 shown]
	ds_read2_b64 v[30:33], v17 offset0:224 offset1:240
	s_waitcnt lgkmcnt(0)
	s_barrier
	buffer_gl0_inv
	v_fma_f64 v[8:9], v[12:13], v[26:27], v[38:39]
	v_fma_f64 v[2:3], v[14:15], v[26:27], v[2:3]
	;; [unrolled: 1-line block ×8, first 2 shown]
	s_cbranch_vccz .LBB496_12
.LBB496_6:                              ; =>This Inner Loop Header: Depth=1
	v_mov_b32_e32 v12, 0
	v_mov_b32_e32 v13, 0
	s_and_saveexec_b32 s9, s0
	s_cbranch_execz .LBB496_10
; %bb.7:                                ;   in Loop: Header=BB496_6 Depth=1
	v_mov_b32_e32 v12, 0
	v_add_nc_u32_e32 v10, s4, v19
	v_mov_b32_e32 v13, 0
	s_mov_b32 s10, exec_lo
	v_cmpx_gt_u64_e64 s[12:13], v[10:11]
	s_cbranch_execz .LBB496_9
; %bb.8:                                ;   in Loop: Header=BB496_6 Depth=1
	v_mad_u64_u32 v[12:13], null, s18, v10, 0
	v_mad_u64_u32 v[13:14], null, s19, v10, v[13:14]
	v_lshlrev_b64 v[12:13], 3, v[12:13]
	v_add_co_u32 v12, vcc_lo, v24, v12
	v_add_co_ci_u32_e64 v13, null, v25, v13, vcc_lo
	flat_load_dwordx2 v[12:13], v[12:13]
.LBB496_9:                              ;   in Loop: Header=BB496_6 Depth=1
	s_or_b32 exec_lo, exec_lo, s10
.LBB496_10:                             ;   in Loop: Header=BB496_6 Depth=1
	s_or_b32 exec_lo, exec_lo, s9
	v_add_nc_u32_e32 v10, s4, v16
	v_mov_b32_e32 v14, 0
	v_mov_b32_e32 v15, 0
	s_waitcnt vmcnt(0) lgkmcnt(0)
	ds_write_b64 v20, v[12:13]
	v_cmp_gt_u64_e32 vcc_lo, s[12:13], v[10:11]
	s_and_b32 s10, vcc_lo, s1
	s_and_saveexec_b32 s9, s10
	s_cbranch_execz .LBB496_5
; %bb.11:                               ;   in Loop: Header=BB496_6 Depth=1
	v_mad_u64_u32 v[12:13], null, s24, v10, 0
	v_mad_u64_u32 v[13:14], null, s25, v10, v[13:14]
	v_lshlrev_b64 v[12:13], 3, v[12:13]
	v_add_co_u32 v12, vcc_lo, v22, v12
	v_add_co_ci_u32_e64 v13, null, v23, v13, vcc_lo
	flat_load_dwordx2 v[14:15], v[12:13]
	s_branch .LBB496_5
.LBB496_12:
	v_add_nc_u32_e32 v13, s7, v1
	s_lshl_b64 s[0:1], s[42:43], 3
	v_add_nc_u32_e32 v0, s6, v0
	s_waitcnt lgkmcnt(0)
	s_add_u32 s4, s2, s0
	v_cmp_neq_f64_e64 s2, s[36:37], 0
	v_ashrrev_i32_e32 v1, 31, v13
	v_mul_lo_u32 v12, s41, v13
	v_mad_u64_u32 v[10:11], null, s40, v13, 0
	s_addc_u32 s3, s3, s1
	v_mul_lo_u32 v1, s40, v1
	v_cmp_le_i32_e32 vcc_lo, v13, v0
	v_cmp_gt_i32_e64 s0, s8, v0
	s_and_b32 s5, vcc_lo, s0
	v_add3_u32 v11, v11, v1, v12
	v_ashrrev_i32_e32 v1, 31, v0
	v_lshlrev_b64 v[10:11], 3, v[10:11]
	v_cndmask_b32_e64 v12, 0, 1, s2
	v_add_co_u32 v14, s1, s4, v10
	v_add_co_ci_u32_e64 v15, null, s3, v11, s1
	s_and_saveexec_b32 s1, s5
	s_cbranch_execz .LBB496_16
; %bb.13:
	v_mul_f64 v[8:9], s[14:15], v[8:9]
	v_lshlrev_b64 v[10:11], 3, v[0:1]
	v_add_co_u32 v10, vcc_lo, v14, v10
	v_add_co_ci_u32_e64 v11, null, v15, v11, vcc_lo
	s_andn2_b32 vcc_lo, exec_lo, s2
	s_cbranch_vccnz .LBB496_15
; %bb.14:
	flat_load_dwordx2 v[16:17], v[10:11]
	s_waitcnt vmcnt(0) lgkmcnt(0)
	v_fma_f64 v[8:9], s[36:37], v[16:17], v[8:9]
.LBB496_15:
	flat_store_dwordx2 v[10:11], v[8:9]
.LBB496_16:
	s_or_b32 exec_lo, exec_lo, s1
	v_add_nc_u32_e32 v8, 16, v0
	v_cmp_le_i32_e32 vcc_lo, v13, v8
	v_cmp_gt_i32_e64 s1, s8, v8
	v_ashrrev_i32_e32 v9, 31, v8
	s_and_b32 s2, vcc_lo, s1
	s_and_saveexec_b32 s5, s2
	s_cbranch_execz .LBB496_20
; %bb.17:
	v_mul_f64 v[6:7], s[14:15], v[6:7]
	v_lshlrev_b64 v[10:11], 3, v[8:9]
	v_cmp_ne_u32_e32 vcc_lo, 1, v12
	v_add_co_u32 v10, s2, v14, v10
	v_add_co_ci_u32_e64 v11, null, v15, v11, s2
	s_cbranch_vccnz .LBB496_19
; %bb.18:
	flat_load_dwordx2 v[14:15], v[10:11]
	s_waitcnt vmcnt(0) lgkmcnt(0)
	v_fma_f64 v[6:7], s[36:37], v[14:15], v[6:7]
.LBB496_19:
	flat_store_dwordx2 v[10:11], v[6:7]
.LBB496_20:
	s_or_b32 exec_lo, exec_lo, s5
	v_add_nc_u32_e32 v10, 16, v13
	v_ashrrev_i32_e32 v11, 31, v10
	v_mul_lo_u32 v13, s41, v10
	v_mad_u64_u32 v[6:7], null, s40, v10, 0
	v_cmp_le_i32_e32 vcc_lo, v10, v0
	v_mul_lo_u32 v11, s40, v11
	s_and_b32 s0, vcc_lo, s0
	v_add3_u32 v7, v7, v11, v13
	v_lshlrev_b64 v[6:7], 3, v[6:7]
	v_add_co_u32 v6, s2, s4, v6
	v_add_co_ci_u32_e64 v7, null, s3, v7, s2
	s_and_saveexec_b32 s2, s0
	s_cbranch_execz .LBB496_24
; %bb.21:
	v_mul_f64 v[4:5], s[14:15], v[4:5]
	v_lshlrev_b64 v[0:1], 3, v[0:1]
	v_cmp_ne_u32_e32 vcc_lo, 1, v12
	v_add_co_u32 v0, s0, v6, v0
	v_add_co_ci_u32_e64 v1, null, v7, v1, s0
	s_cbranch_vccnz .LBB496_23
; %bb.22:
	flat_load_dwordx2 v[13:14], v[0:1]
	s_waitcnt vmcnt(0) lgkmcnt(0)
	v_fma_f64 v[4:5], s[36:37], v[13:14], v[4:5]
.LBB496_23:
	flat_store_dwordx2 v[0:1], v[4:5]
.LBB496_24:
	s_or_b32 exec_lo, exec_lo, s2
	v_cmp_le_i32_e32 vcc_lo, v10, v8
	s_and_b32 s0, vcc_lo, s1
	s_and_saveexec_b32 s1, s0
	s_cbranch_execz .LBB496_28
; %bb.25:
	v_mul_f64 v[0:1], s[14:15], v[2:3]
	v_lshlrev_b64 v[2:3], 3, v[8:9]
	v_cmp_ne_u32_e32 vcc_lo, 1, v12
	v_add_co_u32 v2, s0, v6, v2
	v_add_co_ci_u32_e64 v3, null, v7, v3, s0
	s_cbranch_vccnz .LBB496_27
; %bb.26:
	flat_load_dwordx2 v[4:5], v[2:3]
	s_waitcnt vmcnt(0) lgkmcnt(0)
	v_fma_f64 v[0:1], s[36:37], v[4:5], v[0:1]
.LBB496_27:
	flat_store_dwordx2 v[2:3], v[0:1]
.LBB496_28:
	s_endpgm
	.section	.rodata,"a",@progbits
	.p2align	6, 0x0
	.amdhsa_kernel _ZL29rocblas_internal_gemmt_kernelIlLi16ELi32ELi8ELc78ELc84ELc76ELb0ELb0EddPKPKdPKPdEviT_T9_T10_S7_lS9_S7_lS8_T11_S7_li
		.amdhsa_group_segment_fixed_size 4096
		.amdhsa_private_segment_fixed_size 0
		.amdhsa_kernarg_size 108
		.amdhsa_user_sgpr_count 6
		.amdhsa_user_sgpr_private_segment_buffer 1
		.amdhsa_user_sgpr_dispatch_ptr 0
		.amdhsa_user_sgpr_queue_ptr 0
		.amdhsa_user_sgpr_kernarg_segment_ptr 1
		.amdhsa_user_sgpr_dispatch_id 0
		.amdhsa_user_sgpr_flat_scratch_init 0
		.amdhsa_user_sgpr_private_segment_size 0
		.amdhsa_wavefront_size32 1
		.amdhsa_uses_dynamic_stack 0
		.amdhsa_system_sgpr_private_segment_wavefront_offset 0
		.amdhsa_system_sgpr_workgroup_id_x 1
		.amdhsa_system_sgpr_workgroup_id_y 1
		.amdhsa_system_sgpr_workgroup_id_z 1
		.amdhsa_system_sgpr_workgroup_info 0
		.amdhsa_system_vgpr_workitem_id 1
		.amdhsa_next_free_vgpr 46
		.amdhsa_next_free_sgpr 44
		.amdhsa_reserve_vcc 1
		.amdhsa_reserve_flat_scratch 0
		.amdhsa_float_round_mode_32 0
		.amdhsa_float_round_mode_16_64 0
		.amdhsa_float_denorm_mode_32 3
		.amdhsa_float_denorm_mode_16_64 3
		.amdhsa_dx10_clamp 1
		.amdhsa_ieee_mode 1
		.amdhsa_fp16_overflow 0
		.amdhsa_workgroup_processor_mode 1
		.amdhsa_memory_ordered 1
		.amdhsa_forward_progress 1
		.amdhsa_shared_vgpr_count 0
		.amdhsa_exception_fp_ieee_invalid_op 0
		.amdhsa_exception_fp_denorm_src 0
		.amdhsa_exception_fp_ieee_div_zero 0
		.amdhsa_exception_fp_ieee_overflow 0
		.amdhsa_exception_fp_ieee_underflow 0
		.amdhsa_exception_fp_ieee_inexact 0
		.amdhsa_exception_int_div_zero 0
	.end_amdhsa_kernel
	.section	.text._ZL29rocblas_internal_gemmt_kernelIlLi16ELi32ELi8ELc78ELc84ELc76ELb0ELb0EddPKPKdPKPdEviT_T9_T10_S7_lS9_S7_lS8_T11_S7_li,"axG",@progbits,_ZL29rocblas_internal_gemmt_kernelIlLi16ELi32ELi8ELc78ELc84ELc76ELb0ELb0EddPKPKdPKPdEviT_T9_T10_S7_lS9_S7_lS8_T11_S7_li,comdat
.Lfunc_end496:
	.size	_ZL29rocblas_internal_gemmt_kernelIlLi16ELi32ELi8ELc78ELc84ELc76ELb0ELb0EddPKPKdPKPdEviT_T9_T10_S7_lS9_S7_lS8_T11_S7_li, .Lfunc_end496-_ZL29rocblas_internal_gemmt_kernelIlLi16ELi32ELi8ELc78ELc84ELc76ELb0ELb0EddPKPKdPKPdEviT_T9_T10_S7_lS9_S7_lS8_T11_S7_li
                                        ; -- End function
	.set _ZL29rocblas_internal_gemmt_kernelIlLi16ELi32ELi8ELc78ELc84ELc76ELb0ELb0EddPKPKdPKPdEviT_T9_T10_S7_lS9_S7_lS8_T11_S7_li.num_vgpr, 46
	.set _ZL29rocblas_internal_gemmt_kernelIlLi16ELi32ELi8ELc78ELc84ELc76ELb0ELb0EddPKPKdPKPdEviT_T9_T10_S7_lS9_S7_lS8_T11_S7_li.num_agpr, 0
	.set _ZL29rocblas_internal_gemmt_kernelIlLi16ELi32ELi8ELc78ELc84ELc76ELb0ELb0EddPKPKdPKPdEviT_T9_T10_S7_lS9_S7_lS8_T11_S7_li.numbered_sgpr, 44
	.set _ZL29rocblas_internal_gemmt_kernelIlLi16ELi32ELi8ELc78ELc84ELc76ELb0ELb0EddPKPKdPKPdEviT_T9_T10_S7_lS9_S7_lS8_T11_S7_li.num_named_barrier, 0
	.set _ZL29rocblas_internal_gemmt_kernelIlLi16ELi32ELi8ELc78ELc84ELc76ELb0ELb0EddPKPKdPKPdEviT_T9_T10_S7_lS9_S7_lS8_T11_S7_li.private_seg_size, 0
	.set _ZL29rocblas_internal_gemmt_kernelIlLi16ELi32ELi8ELc78ELc84ELc76ELb0ELb0EddPKPKdPKPdEviT_T9_T10_S7_lS9_S7_lS8_T11_S7_li.uses_vcc, 1
	.set _ZL29rocblas_internal_gemmt_kernelIlLi16ELi32ELi8ELc78ELc84ELc76ELb0ELb0EddPKPKdPKPdEviT_T9_T10_S7_lS9_S7_lS8_T11_S7_li.uses_flat_scratch, 0
	.set _ZL29rocblas_internal_gemmt_kernelIlLi16ELi32ELi8ELc78ELc84ELc76ELb0ELb0EddPKPKdPKPdEviT_T9_T10_S7_lS9_S7_lS8_T11_S7_li.has_dyn_sized_stack, 0
	.set _ZL29rocblas_internal_gemmt_kernelIlLi16ELi32ELi8ELc78ELc84ELc76ELb0ELb0EddPKPKdPKPdEviT_T9_T10_S7_lS9_S7_lS8_T11_S7_li.has_recursion, 0
	.set _ZL29rocblas_internal_gemmt_kernelIlLi16ELi32ELi8ELc78ELc84ELc76ELb0ELb0EddPKPKdPKPdEviT_T9_T10_S7_lS9_S7_lS8_T11_S7_li.has_indirect_call, 0
	.section	.AMDGPU.csdata,"",@progbits
; Kernel info:
; codeLenInByte = 1652
; TotalNumSgprs: 46
; NumVgprs: 46
; ScratchSize: 0
; MemoryBound: 0
; FloatMode: 240
; IeeeMode: 1
; LDSByteSize: 4096 bytes/workgroup (compile time only)
; SGPRBlocks: 0
; VGPRBlocks: 5
; NumSGPRsForWavesPerEU: 46
; NumVGPRsForWavesPerEU: 46
; Occupancy: 16
; WaveLimiterHint : 1
; COMPUTE_PGM_RSRC2:SCRATCH_EN: 0
; COMPUTE_PGM_RSRC2:USER_SGPR: 6
; COMPUTE_PGM_RSRC2:TRAP_HANDLER: 0
; COMPUTE_PGM_RSRC2:TGID_X_EN: 1
; COMPUTE_PGM_RSRC2:TGID_Y_EN: 1
; COMPUTE_PGM_RSRC2:TGID_Z_EN: 1
; COMPUTE_PGM_RSRC2:TIDIG_COMP_CNT: 1
	.section	.text._ZL29rocblas_internal_gemmt_kernelIlLi16ELi32ELi8ELc78ELc67ELc76ELb0ELb0EddPKPKdPKPdEviT_T9_T10_S7_lS9_S7_lS8_T11_S7_li,"axG",@progbits,_ZL29rocblas_internal_gemmt_kernelIlLi16ELi32ELi8ELc78ELc67ELc76ELb0ELb0EddPKPKdPKPdEviT_T9_T10_S7_lS9_S7_lS8_T11_S7_li,comdat
	.globl	_ZL29rocblas_internal_gemmt_kernelIlLi16ELi32ELi8ELc78ELc67ELc76ELb0ELb0EddPKPKdPKPdEviT_T9_T10_S7_lS9_S7_lS8_T11_S7_li ; -- Begin function _ZL29rocblas_internal_gemmt_kernelIlLi16ELi32ELi8ELc78ELc67ELc76ELb0ELb0EddPKPKdPKPdEviT_T9_T10_S7_lS9_S7_lS8_T11_S7_li
	.p2align	8
	.type	_ZL29rocblas_internal_gemmt_kernelIlLi16ELi32ELi8ELc78ELc67ELc76ELb0ELb0EddPKPKdPKPdEviT_T9_T10_S7_lS9_S7_lS8_T11_S7_li,@function
_ZL29rocblas_internal_gemmt_kernelIlLi16ELi32ELi8ELc78ELc67ELc76ELb0ELb0EddPKPKdPKPdEviT_T9_T10_S7_lS9_S7_lS8_T11_S7_li: ; @_ZL29rocblas_internal_gemmt_kernelIlLi16ELi32ELi8ELc78ELc67ELc76ELb0ELb0EddPKPKdPKPdEviT_T9_T10_S7_lS9_S7_lS8_T11_S7_li
; %bb.0:
	s_clause 0x1
	s_load_dwordx8 s[36:43], s[4:5], 0x48
	s_load_dwordx16 s[12:27], s[4:5], 0x8
	s_waitcnt lgkmcnt(0)
	v_cmp_neq_f64_e64 s0, s[36:37], 1.0
	s_and_b32 vcc_lo, exec_lo, s0
	s_cbranch_vccnz .LBB497_2
; %bb.1:
	v_cmp_neq_f64_e64 s0, s[14:15], 0
	s_cmp_lg_u64 s[12:13], 0
	s_cselect_b32 s1, -1, 0
	s_and_b32 s0, s1, s0
.LBB497_2:
	s_andn2_b32 vcc_lo, exec_lo, s0
	s_cbranch_vccnz .LBB497_28
; %bb.3:
	v_cmp_eq_f64_e64 s10, s[14:15], 0
	s_mov_b32 s9, 0
	v_mov_b32_e32 v8, 0
	s_lshl_b64 s[0:1], s[8:9], 3
	v_mov_b32_e32 v6, 0
	s_add_u32 s2, s38, s0
	s_addc_u32 s3, s39, s1
	s_load_dword s8, s[4:5], 0x0
	s_load_dwordx2 s[2:3], s[2:3], 0x0
	v_cmp_lt_i64_e64 s4, s[12:13], 1
	v_mov_b32_e32 v4, 0
	v_mov_b32_e32 v2, 0
	;; [unrolled: 1-line block ×6, first 2 shown]
	s_lshl_b32 s6, s6, 5
	s_lshl_b32 s7, s7, 5
	s_or_b32 s4, s10, s4
	s_and_b32 vcc_lo, exec_lo, s4
	s_cbranch_vccnz .LBB497_12
; %bb.4:
	s_add_u32 s4, s22, s0
	s_addc_u32 s5, s23, s1
	s_lshl_b64 s[10:11], s[26:27], 3
	s_load_dwordx2 s[4:5], s[4:5], 0x0
	v_lshl_add_u32 v11, v1, 4, v0
	v_and_b32_e32 v16, 7, v0
	v_mov_b32_e32 v2, 0
	v_mov_b32_e32 v4, 0
	;; [unrolled: 1-line block ×3, first 2 shown]
	v_lshrrev_b32_e32 v13, 3, v11
	v_and_b32_e32 v14, 31, v11
	v_lshlrev_b32_e32 v15, 3, v16
	v_lshrrev_b32_e32 v19, 5, v11
	v_mov_b32_e32 v8, 0
	v_add_nc_u32_e32 v10, s7, v13
	v_or_b32_e32 v12, s6, v14
	v_lshlrev_b32_e32 v14, 3, v14
	v_lshl_or_b32 v21, v13, 6, v15
	v_lshlrev_b32_e32 v17, 3, v0
	v_ashrrev_i32_e32 v11, 31, v10
	v_ashrrev_i32_e32 v13, 31, v12
	v_lshl_or_b32 v20, v19, 8, v14
	v_lshl_add_u32 v18, v1, 6, 0x800
	s_waitcnt lgkmcnt(0)
	s_add_u32 s9, s4, s10
	s_addc_u32 s22, s5, s11
	s_add_u32 s0, s16, s0
	s_addc_u32 s1, s17, s1
	v_lshlrev_b64 v[14:15], 3, v[10:11]
	s_load_dwordx2 s[4:5], s[0:1], 0x0
	v_cmp_gt_i32_e64 s1, s8, v10
	v_lshlrev_b64 v[10:11], 3, v[12:13]
	s_lshl_b64 s[10:11], s[20:21], 3
	v_mov_b32_e32 v3, 0
	v_add_co_u32 v22, vcc_lo, s9, v14
	v_add_co_ci_u32_e64 v23, null, s22, v15, vcc_lo
	v_mov_b32_e32 v5, 0
	v_mov_b32_e32 v7, 0
	;; [unrolled: 1-line block ×3, first 2 shown]
	v_cmp_gt_i32_e64 s0, s8, v12
	v_add_nc_u32_e32 v21, 0x800, v21
	s_waitcnt lgkmcnt(0)
	s_add_u32 s4, s4, s10
	s_addc_u32 s5, s5, s11
	v_add_co_u32 v24, vcc_lo, s4, v10
	v_add_co_ci_u32_e64 v25, null, s5, v11, vcc_lo
	v_mov_b32_e32 v11, 0
	s_mov_b64 s[4:5], 0
	s_branch .LBB497_6
.LBB497_5:                              ;   in Loop: Header=BB497_6 Depth=1
	s_or_b32 exec_lo, exec_lo, s9
	s_waitcnt vmcnt(0) lgkmcnt(0)
	ds_write_b64 v21, v[14:15]
	s_waitcnt lgkmcnt(0)
	s_barrier
	buffer_gl0_inv
	ds_read_b128 v[12:15], v18
	ds_read2_b64 v[26:29], v17 offset1:16
	ds_read_b128 v[30:33], v18 offset:1024
	ds_read_b128 v[34:37], v18 offset:16
	ds_read2_b64 v[38:41], v17 offset0:32 offset1:48
	ds_read_b128 v[42:45], v18 offset:1040
	s_add_u32 s4, s4, 8
	s_addc_u32 s5, s5, 0
	v_cmp_gt_i64_e64 s9, s[12:13], s[4:5]
	s_and_b32 vcc_lo, exec_lo, s9
	s_waitcnt lgkmcnt(4)
	v_fma_f64 v[8:9], v[26:27], v[12:13], v[8:9]
	v_fma_f64 v[6:7], v[28:29], v[12:13], v[6:7]
	s_waitcnt lgkmcnt(3)
	v_fma_f64 v[12:13], v[26:27], v[30:31], v[4:5]
	v_fma_f64 v[26:27], v[28:29], v[30:31], v[2:3]
	ds_read2_b64 v[2:5], v17 offset0:64 offset1:80
	s_waitcnt lgkmcnt(2)
	v_fma_f64 v[28:29], v[38:39], v[14:15], v[8:9]
	v_fma_f64 v[14:15], v[40:41], v[14:15], v[6:7]
	;; [unrolled: 1-line block ×4, first 2 shown]
	ds_read2_b64 v[6:9], v17 offset0:96 offset1:112
	s_waitcnt lgkmcnt(1)
	v_fma_f64 v[28:29], v[2:3], v[34:35], v[28:29]
	v_fma_f64 v[30:31], v[4:5], v[34:35], v[14:15]
	;; [unrolled: 1-line block ×4, first 2 shown]
	ds_read_b128 v[2:5], v18 offset:32
	ds_read2_b64 v[12:15], v17 offset0:128 offset1:144
	s_waitcnt lgkmcnt(2)
	v_fma_f64 v[38:39], v[6:7], v[36:37], v[28:29]
	v_fma_f64 v[40:41], v[8:9], v[36:37], v[30:31]
	;; [unrolled: 1-line block ×4, first 2 shown]
	ds_read_b128 v[6:9], v18 offset:1056
	ds_read_b128 v[26:29], v18 offset:48
	ds_read2_b64 v[30:33], v17 offset0:160 offset1:176
	ds_read_b128 v[34:37], v18 offset:1072
	s_waitcnt lgkmcnt(4)
	v_fma_f64 v[38:39], v[12:13], v[2:3], v[38:39]
	v_fma_f64 v[2:3], v[14:15], v[2:3], v[40:41]
	s_waitcnt lgkmcnt(3)
	v_fma_f64 v[40:41], v[12:13], v[6:7], v[42:43]
	v_fma_f64 v[6:7], v[14:15], v[6:7], v[44:45]
	ds_read2_b64 v[12:15], v17 offset0:192 offset1:208
	s_waitcnt lgkmcnt(2)
	v_fma_f64 v[38:39], v[30:31], v[4:5], v[38:39]
	v_fma_f64 v[2:3], v[32:33], v[4:5], v[2:3]
	;; [unrolled: 1-line block ×4, first 2 shown]
	ds_read2_b64 v[30:33], v17 offset0:224 offset1:240
	s_waitcnt lgkmcnt(0)
	s_barrier
	buffer_gl0_inv
	v_fma_f64 v[8:9], v[12:13], v[26:27], v[38:39]
	v_fma_f64 v[2:3], v[14:15], v[26:27], v[2:3]
	;; [unrolled: 1-line block ×8, first 2 shown]
	s_cbranch_vccz .LBB497_12
.LBB497_6:                              ; =>This Inner Loop Header: Depth=1
	v_mov_b32_e32 v12, 0
	v_mov_b32_e32 v13, 0
	s_and_saveexec_b32 s9, s0
	s_cbranch_execz .LBB497_10
; %bb.7:                                ;   in Loop: Header=BB497_6 Depth=1
	v_mov_b32_e32 v12, 0
	v_add_nc_u32_e32 v10, s4, v19
	v_mov_b32_e32 v13, 0
	s_mov_b32 s10, exec_lo
	v_cmpx_gt_u64_e64 s[12:13], v[10:11]
	s_cbranch_execz .LBB497_9
; %bb.8:                                ;   in Loop: Header=BB497_6 Depth=1
	v_mad_u64_u32 v[12:13], null, s18, v10, 0
	v_mad_u64_u32 v[13:14], null, s19, v10, v[13:14]
	v_lshlrev_b64 v[12:13], 3, v[12:13]
	v_add_co_u32 v12, vcc_lo, v24, v12
	v_add_co_ci_u32_e64 v13, null, v25, v13, vcc_lo
	flat_load_dwordx2 v[12:13], v[12:13]
.LBB497_9:                              ;   in Loop: Header=BB497_6 Depth=1
	s_or_b32 exec_lo, exec_lo, s10
.LBB497_10:                             ;   in Loop: Header=BB497_6 Depth=1
	s_or_b32 exec_lo, exec_lo, s9
	v_add_nc_u32_e32 v10, s4, v16
	v_mov_b32_e32 v14, 0
	v_mov_b32_e32 v15, 0
	s_waitcnt vmcnt(0) lgkmcnt(0)
	ds_write_b64 v20, v[12:13]
	v_cmp_gt_u64_e32 vcc_lo, s[12:13], v[10:11]
	s_and_b32 s10, vcc_lo, s1
	s_and_saveexec_b32 s9, s10
	s_cbranch_execz .LBB497_5
; %bb.11:                               ;   in Loop: Header=BB497_6 Depth=1
	v_mad_u64_u32 v[12:13], null, s24, v10, 0
	v_mad_u64_u32 v[13:14], null, s25, v10, v[13:14]
	v_lshlrev_b64 v[12:13], 3, v[12:13]
	v_add_co_u32 v12, vcc_lo, v22, v12
	v_add_co_ci_u32_e64 v13, null, v23, v13, vcc_lo
	flat_load_dwordx2 v[14:15], v[12:13]
	s_branch .LBB497_5
.LBB497_12:
	v_add_nc_u32_e32 v13, s7, v1
	s_lshl_b64 s[0:1], s[42:43], 3
	v_add_nc_u32_e32 v0, s6, v0
	s_waitcnt lgkmcnt(0)
	s_add_u32 s4, s2, s0
	v_cmp_neq_f64_e64 s2, s[36:37], 0
	v_ashrrev_i32_e32 v1, 31, v13
	v_mul_lo_u32 v12, s41, v13
	v_mad_u64_u32 v[10:11], null, s40, v13, 0
	s_addc_u32 s3, s3, s1
	v_mul_lo_u32 v1, s40, v1
	v_cmp_le_i32_e32 vcc_lo, v13, v0
	v_cmp_gt_i32_e64 s0, s8, v0
	s_and_b32 s5, vcc_lo, s0
	v_add3_u32 v11, v11, v1, v12
	v_ashrrev_i32_e32 v1, 31, v0
	v_lshlrev_b64 v[10:11], 3, v[10:11]
	v_cndmask_b32_e64 v12, 0, 1, s2
	v_add_co_u32 v14, s1, s4, v10
	v_add_co_ci_u32_e64 v15, null, s3, v11, s1
	s_and_saveexec_b32 s1, s5
	s_cbranch_execz .LBB497_16
; %bb.13:
	v_mul_f64 v[8:9], s[14:15], v[8:9]
	v_lshlrev_b64 v[10:11], 3, v[0:1]
	v_add_co_u32 v10, vcc_lo, v14, v10
	v_add_co_ci_u32_e64 v11, null, v15, v11, vcc_lo
	s_andn2_b32 vcc_lo, exec_lo, s2
	s_cbranch_vccnz .LBB497_15
; %bb.14:
	flat_load_dwordx2 v[16:17], v[10:11]
	s_waitcnt vmcnt(0) lgkmcnt(0)
	v_fma_f64 v[8:9], s[36:37], v[16:17], v[8:9]
.LBB497_15:
	flat_store_dwordx2 v[10:11], v[8:9]
.LBB497_16:
	s_or_b32 exec_lo, exec_lo, s1
	v_add_nc_u32_e32 v8, 16, v0
	v_cmp_le_i32_e32 vcc_lo, v13, v8
	v_cmp_gt_i32_e64 s1, s8, v8
	v_ashrrev_i32_e32 v9, 31, v8
	s_and_b32 s2, vcc_lo, s1
	s_and_saveexec_b32 s5, s2
	s_cbranch_execz .LBB497_20
; %bb.17:
	v_mul_f64 v[6:7], s[14:15], v[6:7]
	v_lshlrev_b64 v[10:11], 3, v[8:9]
	v_cmp_ne_u32_e32 vcc_lo, 1, v12
	v_add_co_u32 v10, s2, v14, v10
	v_add_co_ci_u32_e64 v11, null, v15, v11, s2
	s_cbranch_vccnz .LBB497_19
; %bb.18:
	flat_load_dwordx2 v[14:15], v[10:11]
	s_waitcnt vmcnt(0) lgkmcnt(0)
	v_fma_f64 v[6:7], s[36:37], v[14:15], v[6:7]
.LBB497_19:
	flat_store_dwordx2 v[10:11], v[6:7]
.LBB497_20:
	s_or_b32 exec_lo, exec_lo, s5
	v_add_nc_u32_e32 v10, 16, v13
	v_ashrrev_i32_e32 v11, 31, v10
	v_mul_lo_u32 v13, s41, v10
	v_mad_u64_u32 v[6:7], null, s40, v10, 0
	v_cmp_le_i32_e32 vcc_lo, v10, v0
	v_mul_lo_u32 v11, s40, v11
	s_and_b32 s0, vcc_lo, s0
	v_add3_u32 v7, v7, v11, v13
	v_lshlrev_b64 v[6:7], 3, v[6:7]
	v_add_co_u32 v6, s2, s4, v6
	v_add_co_ci_u32_e64 v7, null, s3, v7, s2
	s_and_saveexec_b32 s2, s0
	s_cbranch_execz .LBB497_24
; %bb.21:
	v_mul_f64 v[4:5], s[14:15], v[4:5]
	v_lshlrev_b64 v[0:1], 3, v[0:1]
	v_cmp_ne_u32_e32 vcc_lo, 1, v12
	v_add_co_u32 v0, s0, v6, v0
	v_add_co_ci_u32_e64 v1, null, v7, v1, s0
	s_cbranch_vccnz .LBB497_23
; %bb.22:
	flat_load_dwordx2 v[13:14], v[0:1]
	s_waitcnt vmcnt(0) lgkmcnt(0)
	v_fma_f64 v[4:5], s[36:37], v[13:14], v[4:5]
.LBB497_23:
	flat_store_dwordx2 v[0:1], v[4:5]
.LBB497_24:
	s_or_b32 exec_lo, exec_lo, s2
	v_cmp_le_i32_e32 vcc_lo, v10, v8
	s_and_b32 s0, vcc_lo, s1
	s_and_saveexec_b32 s1, s0
	s_cbranch_execz .LBB497_28
; %bb.25:
	v_mul_f64 v[0:1], s[14:15], v[2:3]
	v_lshlrev_b64 v[2:3], 3, v[8:9]
	v_cmp_ne_u32_e32 vcc_lo, 1, v12
	v_add_co_u32 v2, s0, v6, v2
	v_add_co_ci_u32_e64 v3, null, v7, v3, s0
	s_cbranch_vccnz .LBB497_27
; %bb.26:
	flat_load_dwordx2 v[4:5], v[2:3]
	s_waitcnt vmcnt(0) lgkmcnt(0)
	v_fma_f64 v[0:1], s[36:37], v[4:5], v[0:1]
.LBB497_27:
	flat_store_dwordx2 v[2:3], v[0:1]
.LBB497_28:
	s_endpgm
	.section	.rodata,"a",@progbits
	.p2align	6, 0x0
	.amdhsa_kernel _ZL29rocblas_internal_gemmt_kernelIlLi16ELi32ELi8ELc78ELc67ELc76ELb0ELb0EddPKPKdPKPdEviT_T9_T10_S7_lS9_S7_lS8_T11_S7_li
		.amdhsa_group_segment_fixed_size 4096
		.amdhsa_private_segment_fixed_size 0
		.amdhsa_kernarg_size 108
		.amdhsa_user_sgpr_count 6
		.amdhsa_user_sgpr_private_segment_buffer 1
		.amdhsa_user_sgpr_dispatch_ptr 0
		.amdhsa_user_sgpr_queue_ptr 0
		.amdhsa_user_sgpr_kernarg_segment_ptr 1
		.amdhsa_user_sgpr_dispatch_id 0
		.amdhsa_user_sgpr_flat_scratch_init 0
		.amdhsa_user_sgpr_private_segment_size 0
		.amdhsa_wavefront_size32 1
		.amdhsa_uses_dynamic_stack 0
		.amdhsa_system_sgpr_private_segment_wavefront_offset 0
		.amdhsa_system_sgpr_workgroup_id_x 1
		.amdhsa_system_sgpr_workgroup_id_y 1
		.amdhsa_system_sgpr_workgroup_id_z 1
		.amdhsa_system_sgpr_workgroup_info 0
		.amdhsa_system_vgpr_workitem_id 1
		.amdhsa_next_free_vgpr 46
		.amdhsa_next_free_sgpr 44
		.amdhsa_reserve_vcc 1
		.amdhsa_reserve_flat_scratch 0
		.amdhsa_float_round_mode_32 0
		.amdhsa_float_round_mode_16_64 0
		.amdhsa_float_denorm_mode_32 3
		.amdhsa_float_denorm_mode_16_64 3
		.amdhsa_dx10_clamp 1
		.amdhsa_ieee_mode 1
		.amdhsa_fp16_overflow 0
		.amdhsa_workgroup_processor_mode 1
		.amdhsa_memory_ordered 1
		.amdhsa_forward_progress 1
		.amdhsa_shared_vgpr_count 0
		.amdhsa_exception_fp_ieee_invalid_op 0
		.amdhsa_exception_fp_denorm_src 0
		.amdhsa_exception_fp_ieee_div_zero 0
		.amdhsa_exception_fp_ieee_overflow 0
		.amdhsa_exception_fp_ieee_underflow 0
		.amdhsa_exception_fp_ieee_inexact 0
		.amdhsa_exception_int_div_zero 0
	.end_amdhsa_kernel
	.section	.text._ZL29rocblas_internal_gemmt_kernelIlLi16ELi32ELi8ELc78ELc67ELc76ELb0ELb0EddPKPKdPKPdEviT_T9_T10_S7_lS9_S7_lS8_T11_S7_li,"axG",@progbits,_ZL29rocblas_internal_gemmt_kernelIlLi16ELi32ELi8ELc78ELc67ELc76ELb0ELb0EddPKPKdPKPdEviT_T9_T10_S7_lS9_S7_lS8_T11_S7_li,comdat
.Lfunc_end497:
	.size	_ZL29rocblas_internal_gemmt_kernelIlLi16ELi32ELi8ELc78ELc67ELc76ELb0ELb0EddPKPKdPKPdEviT_T9_T10_S7_lS9_S7_lS8_T11_S7_li, .Lfunc_end497-_ZL29rocblas_internal_gemmt_kernelIlLi16ELi32ELi8ELc78ELc67ELc76ELb0ELb0EddPKPKdPKPdEviT_T9_T10_S7_lS9_S7_lS8_T11_S7_li
                                        ; -- End function
	.set _ZL29rocblas_internal_gemmt_kernelIlLi16ELi32ELi8ELc78ELc67ELc76ELb0ELb0EddPKPKdPKPdEviT_T9_T10_S7_lS9_S7_lS8_T11_S7_li.num_vgpr, 46
	.set _ZL29rocblas_internal_gemmt_kernelIlLi16ELi32ELi8ELc78ELc67ELc76ELb0ELb0EddPKPKdPKPdEviT_T9_T10_S7_lS9_S7_lS8_T11_S7_li.num_agpr, 0
	.set _ZL29rocblas_internal_gemmt_kernelIlLi16ELi32ELi8ELc78ELc67ELc76ELb0ELb0EddPKPKdPKPdEviT_T9_T10_S7_lS9_S7_lS8_T11_S7_li.numbered_sgpr, 44
	.set _ZL29rocblas_internal_gemmt_kernelIlLi16ELi32ELi8ELc78ELc67ELc76ELb0ELb0EddPKPKdPKPdEviT_T9_T10_S7_lS9_S7_lS8_T11_S7_li.num_named_barrier, 0
	.set _ZL29rocblas_internal_gemmt_kernelIlLi16ELi32ELi8ELc78ELc67ELc76ELb0ELb0EddPKPKdPKPdEviT_T9_T10_S7_lS9_S7_lS8_T11_S7_li.private_seg_size, 0
	.set _ZL29rocblas_internal_gemmt_kernelIlLi16ELi32ELi8ELc78ELc67ELc76ELb0ELb0EddPKPKdPKPdEviT_T9_T10_S7_lS9_S7_lS8_T11_S7_li.uses_vcc, 1
	.set _ZL29rocblas_internal_gemmt_kernelIlLi16ELi32ELi8ELc78ELc67ELc76ELb0ELb0EddPKPKdPKPdEviT_T9_T10_S7_lS9_S7_lS8_T11_S7_li.uses_flat_scratch, 0
	.set _ZL29rocblas_internal_gemmt_kernelIlLi16ELi32ELi8ELc78ELc67ELc76ELb0ELb0EddPKPKdPKPdEviT_T9_T10_S7_lS9_S7_lS8_T11_S7_li.has_dyn_sized_stack, 0
	.set _ZL29rocblas_internal_gemmt_kernelIlLi16ELi32ELi8ELc78ELc67ELc76ELb0ELb0EddPKPKdPKPdEviT_T9_T10_S7_lS9_S7_lS8_T11_S7_li.has_recursion, 0
	.set _ZL29rocblas_internal_gemmt_kernelIlLi16ELi32ELi8ELc78ELc67ELc76ELb0ELb0EddPKPKdPKPdEviT_T9_T10_S7_lS9_S7_lS8_T11_S7_li.has_indirect_call, 0
	.section	.AMDGPU.csdata,"",@progbits
; Kernel info:
; codeLenInByte = 1652
; TotalNumSgprs: 46
; NumVgprs: 46
; ScratchSize: 0
; MemoryBound: 0
; FloatMode: 240
; IeeeMode: 1
; LDSByteSize: 4096 bytes/workgroup (compile time only)
; SGPRBlocks: 0
; VGPRBlocks: 5
; NumSGPRsForWavesPerEU: 46
; NumVGPRsForWavesPerEU: 46
; Occupancy: 16
; WaveLimiterHint : 1
; COMPUTE_PGM_RSRC2:SCRATCH_EN: 0
; COMPUTE_PGM_RSRC2:USER_SGPR: 6
; COMPUTE_PGM_RSRC2:TRAP_HANDLER: 0
; COMPUTE_PGM_RSRC2:TGID_X_EN: 1
; COMPUTE_PGM_RSRC2:TGID_Y_EN: 1
; COMPUTE_PGM_RSRC2:TGID_Z_EN: 1
; COMPUTE_PGM_RSRC2:TIDIG_COMP_CNT: 1
	.section	.text._ZL29rocblas_internal_gemmt_kernelIlLi16ELi32ELi8ELc84ELc78ELc76ELb0ELb0EddPKPKdPKPdEviT_T9_T10_S7_lS9_S7_lS8_T11_S7_li,"axG",@progbits,_ZL29rocblas_internal_gemmt_kernelIlLi16ELi32ELi8ELc84ELc78ELc76ELb0ELb0EddPKPKdPKPdEviT_T9_T10_S7_lS9_S7_lS8_T11_S7_li,comdat
	.globl	_ZL29rocblas_internal_gemmt_kernelIlLi16ELi32ELi8ELc84ELc78ELc76ELb0ELb0EddPKPKdPKPdEviT_T9_T10_S7_lS9_S7_lS8_T11_S7_li ; -- Begin function _ZL29rocblas_internal_gemmt_kernelIlLi16ELi32ELi8ELc84ELc78ELc76ELb0ELb0EddPKPKdPKPdEviT_T9_T10_S7_lS9_S7_lS8_T11_S7_li
	.p2align	8
	.type	_ZL29rocblas_internal_gemmt_kernelIlLi16ELi32ELi8ELc84ELc78ELc76ELb0ELb0EddPKPKdPKPdEviT_T9_T10_S7_lS9_S7_lS8_T11_S7_li,@function
_ZL29rocblas_internal_gemmt_kernelIlLi16ELi32ELi8ELc84ELc78ELc76ELb0ELb0EddPKPKdPKPdEviT_T9_T10_S7_lS9_S7_lS8_T11_S7_li: ; @_ZL29rocblas_internal_gemmt_kernelIlLi16ELi32ELi8ELc84ELc78ELc76ELb0ELb0EddPKPKdPKPdEviT_T9_T10_S7_lS9_S7_lS8_T11_S7_li
; %bb.0:
	s_clause 0x1
	s_load_dwordx8 s[36:43], s[4:5], 0x48
	s_load_dwordx16 s[12:27], s[4:5], 0x8
	s_waitcnt lgkmcnt(0)
	v_cmp_neq_f64_e64 s0, s[36:37], 1.0
	s_and_b32 vcc_lo, exec_lo, s0
	s_cbranch_vccnz .LBB498_2
; %bb.1:
	v_cmp_neq_f64_e64 s0, s[14:15], 0
	s_cmp_lg_u64 s[12:13], 0
	s_cselect_b32 s1, -1, 0
	s_and_b32 s0, s1, s0
.LBB498_2:
	s_andn2_b32 vcc_lo, exec_lo, s0
	s_cbranch_vccnz .LBB498_28
; %bb.3:
	v_cmp_eq_f64_e64 s10, s[14:15], 0
	s_mov_b32 s9, 0
	v_mov_b32_e32 v8, 0
	s_lshl_b64 s[0:1], s[8:9], 3
	v_mov_b32_e32 v6, 0
	s_add_u32 s2, s38, s0
	s_addc_u32 s3, s39, s1
	s_load_dword s8, s[4:5], 0x0
	s_load_dwordx2 s[2:3], s[2:3], 0x0
	v_cmp_lt_i64_e64 s4, s[12:13], 1
	v_mov_b32_e32 v4, 0
	v_mov_b32_e32 v2, 0
	;; [unrolled: 1-line block ×6, first 2 shown]
	s_lshl_b32 s6, s6, 5
	s_lshl_b32 s7, s7, 5
	s_or_b32 s4, s10, s4
	s_and_b32 vcc_lo, exec_lo, s4
	s_cbranch_vccnz .LBB498_12
; %bb.4:
	s_add_u32 s4, s22, s0
	s_addc_u32 s5, s23, s1
	s_lshl_b64 s[10:11], s[26:27], 3
	s_load_dwordx2 s[4:5], s[4:5], 0x0
	v_lshl_add_u32 v12, v1, 4, v0
	v_and_b32_e32 v16, 7, v0
	v_mov_b32_e32 v2, 0
	v_mov_b32_e32 v4, 0
	;; [unrolled: 1-line block ×3, first 2 shown]
	v_lshrrev_b32_e32 v14, 3, v12
	v_and_b32_e32 v13, 31, v12
	v_lshlrev_b32_e32 v23, 3, v16
	v_mov_b32_e32 v8, 0
	v_lshlrev_b32_e32 v17, 3, v0
	v_add_nc_u32_e32 v15, s7, v14
	v_or_b32_e32 v20, s6, v13
	v_lshlrev_b32_e32 v24, 3, v13
	v_lshl_or_b32 v14, v14, 6, v23
	v_lshl_add_u32 v18, v1, 6, 0x800
	v_ashrrev_i32_e32 v19, 31, v15
	v_mul_lo_u32 v21, s25, v15
	v_mad_u64_u32 v[10:11], null, s24, v15, 0
	s_waitcnt lgkmcnt(0)
	s_add_u32 s9, s4, s10
	s_addc_u32 s10, s5, s11
	s_add_u32 s0, s16, s0
	s_addc_u32 s1, s17, s1
	v_mul_lo_u32 v22, s24, v19
	s_load_dwordx2 s[0:1], s[0:1], 0x0
	v_lshrrev_b32_e32 v19, 5, v12
	v_mul_lo_u32 v25, s19, v20
	v_mad_u64_u32 v[12:13], null, s18, v20, 0
	s_lshl_b64 s[4:5], s[20:21], 3
	v_mov_b32_e32 v3, 0
	v_add3_u32 v11, v11, v22, v21
	v_mov_b32_e32 v5, 0
	v_mov_b32_e32 v7, 0
	v_mov_b32_e32 v9, 0
	v_add_nc_u32_e32 v21, 0x800, v14
	v_lshlrev_b64 v[10:11], 3, v[10:11]
	v_add_co_u32 v22, vcc_lo, s9, v10
	s_waitcnt lgkmcnt(0)
	s_add_u32 s4, s0, s4
	s_addc_u32 s5, s1, s5
	s_ashr_i32 s0, s6, 31
	v_add_co_ci_u32_e64 v23, null, s10, v11, vcc_lo
	s_mul_i32 s1, s18, s0
	v_cmp_gt_i32_e64 s0, s8, v20
	v_add3_u32 v13, v13, s1, v25
	v_lshl_or_b32 v20, v19, 8, v24
	v_cmp_gt_i32_e64 s1, s8, v15
	v_mov_b32_e32 v11, 0
	v_lshlrev_b64 v[12:13], 3, v[12:13]
	v_add_co_u32 v24, vcc_lo, s4, v12
	v_add_co_ci_u32_e64 v25, null, s5, v13, vcc_lo
	s_mov_b64 s[4:5], 0
	s_branch .LBB498_6
.LBB498_5:                              ;   in Loop: Header=BB498_6 Depth=1
	s_or_b32 exec_lo, exec_lo, s9
	s_waitcnt vmcnt(0) lgkmcnt(0)
	ds_write_b64 v21, v[14:15]
	s_waitcnt lgkmcnt(0)
	s_barrier
	buffer_gl0_inv
	ds_read_b128 v[12:15], v18
	ds_read2_b64 v[26:29], v17 offset1:16
	ds_read_b128 v[30:33], v18 offset:1024
	ds_read_b128 v[34:37], v18 offset:16
	ds_read2_b64 v[38:41], v17 offset0:32 offset1:48
	ds_read_b128 v[42:45], v18 offset:1040
	s_add_u32 s4, s4, 8
	s_addc_u32 s5, s5, 0
	v_cmp_gt_i64_e64 s9, s[12:13], s[4:5]
	s_and_b32 vcc_lo, exec_lo, s9
	s_waitcnt lgkmcnt(4)
	v_fma_f64 v[8:9], v[26:27], v[12:13], v[8:9]
	v_fma_f64 v[6:7], v[28:29], v[12:13], v[6:7]
	s_waitcnt lgkmcnt(3)
	v_fma_f64 v[12:13], v[26:27], v[30:31], v[4:5]
	v_fma_f64 v[26:27], v[28:29], v[30:31], v[2:3]
	ds_read2_b64 v[2:5], v17 offset0:64 offset1:80
	s_waitcnt lgkmcnt(2)
	v_fma_f64 v[28:29], v[38:39], v[14:15], v[8:9]
	v_fma_f64 v[14:15], v[40:41], v[14:15], v[6:7]
	;; [unrolled: 1-line block ×4, first 2 shown]
	ds_read2_b64 v[6:9], v17 offset0:96 offset1:112
	s_waitcnt lgkmcnt(1)
	v_fma_f64 v[28:29], v[2:3], v[34:35], v[28:29]
	v_fma_f64 v[30:31], v[4:5], v[34:35], v[14:15]
	;; [unrolled: 1-line block ×4, first 2 shown]
	ds_read_b128 v[2:5], v18 offset:32
	ds_read2_b64 v[12:15], v17 offset0:128 offset1:144
	s_waitcnt lgkmcnt(2)
	v_fma_f64 v[38:39], v[6:7], v[36:37], v[28:29]
	v_fma_f64 v[40:41], v[8:9], v[36:37], v[30:31]
	;; [unrolled: 1-line block ×4, first 2 shown]
	ds_read_b128 v[6:9], v18 offset:1056
	ds_read_b128 v[26:29], v18 offset:48
	ds_read2_b64 v[30:33], v17 offset0:160 offset1:176
	ds_read_b128 v[34:37], v18 offset:1072
	s_waitcnt lgkmcnt(4)
	v_fma_f64 v[38:39], v[12:13], v[2:3], v[38:39]
	v_fma_f64 v[2:3], v[14:15], v[2:3], v[40:41]
	s_waitcnt lgkmcnt(3)
	v_fma_f64 v[40:41], v[12:13], v[6:7], v[42:43]
	v_fma_f64 v[6:7], v[14:15], v[6:7], v[44:45]
	ds_read2_b64 v[12:15], v17 offset0:192 offset1:208
	s_waitcnt lgkmcnt(2)
	v_fma_f64 v[38:39], v[30:31], v[4:5], v[38:39]
	v_fma_f64 v[2:3], v[32:33], v[4:5], v[2:3]
	;; [unrolled: 1-line block ×4, first 2 shown]
	ds_read2_b64 v[30:33], v17 offset0:224 offset1:240
	s_waitcnt lgkmcnt(0)
	s_barrier
	buffer_gl0_inv
	v_fma_f64 v[8:9], v[12:13], v[26:27], v[38:39]
	v_fma_f64 v[2:3], v[14:15], v[26:27], v[2:3]
	;; [unrolled: 1-line block ×8, first 2 shown]
	s_cbranch_vccz .LBB498_12
.LBB498_6:                              ; =>This Inner Loop Header: Depth=1
	v_mov_b32_e32 v12, 0
	v_mov_b32_e32 v13, 0
	s_and_saveexec_b32 s9, s0
	s_cbranch_execz .LBB498_10
; %bb.7:                                ;   in Loop: Header=BB498_6 Depth=1
	v_mov_b32_e32 v12, 0
	v_add_nc_u32_e32 v10, s4, v19
	v_mov_b32_e32 v13, 0
	s_mov_b32 s10, exec_lo
	v_cmpx_gt_u64_e64 s[12:13], v[10:11]
	s_cbranch_execz .LBB498_9
; %bb.8:                                ;   in Loop: Header=BB498_6 Depth=1
	v_lshlrev_b64 v[12:13], 3, v[10:11]
	v_add_co_u32 v12, vcc_lo, v24, v12
	v_add_co_ci_u32_e64 v13, null, v25, v13, vcc_lo
	flat_load_dwordx2 v[12:13], v[12:13]
.LBB498_9:                              ;   in Loop: Header=BB498_6 Depth=1
	s_or_b32 exec_lo, exec_lo, s10
.LBB498_10:                             ;   in Loop: Header=BB498_6 Depth=1
	s_or_b32 exec_lo, exec_lo, s9
	v_add_nc_u32_e32 v10, s4, v16
	v_mov_b32_e32 v14, 0
	v_mov_b32_e32 v15, 0
	s_waitcnt vmcnt(0) lgkmcnt(0)
	ds_write_b64 v20, v[12:13]
	v_cmp_gt_u64_e32 vcc_lo, s[12:13], v[10:11]
	s_and_b32 s10, vcc_lo, s1
	s_and_saveexec_b32 s9, s10
	s_cbranch_execz .LBB498_5
; %bb.11:                               ;   in Loop: Header=BB498_6 Depth=1
	v_lshlrev_b64 v[12:13], 3, v[10:11]
	v_add_co_u32 v12, vcc_lo, v22, v12
	v_add_co_ci_u32_e64 v13, null, v23, v13, vcc_lo
	flat_load_dwordx2 v[14:15], v[12:13]
	s_branch .LBB498_5
.LBB498_12:
	v_add_nc_u32_e32 v13, s7, v1
	s_lshl_b64 s[0:1], s[42:43], 3
	v_add_nc_u32_e32 v0, s6, v0
	s_waitcnt lgkmcnt(0)
	s_add_u32 s4, s2, s0
	v_cmp_neq_f64_e64 s2, s[36:37], 0
	v_ashrrev_i32_e32 v1, 31, v13
	v_mul_lo_u32 v12, s41, v13
	v_mad_u64_u32 v[10:11], null, s40, v13, 0
	s_addc_u32 s3, s3, s1
	v_mul_lo_u32 v1, s40, v1
	v_cmp_le_i32_e32 vcc_lo, v13, v0
	v_cmp_gt_i32_e64 s0, s8, v0
	s_and_b32 s5, vcc_lo, s0
	v_add3_u32 v11, v11, v1, v12
	v_ashrrev_i32_e32 v1, 31, v0
	v_lshlrev_b64 v[10:11], 3, v[10:11]
	v_cndmask_b32_e64 v12, 0, 1, s2
	v_add_co_u32 v14, s1, s4, v10
	v_add_co_ci_u32_e64 v15, null, s3, v11, s1
	s_and_saveexec_b32 s1, s5
	s_cbranch_execz .LBB498_16
; %bb.13:
	v_mul_f64 v[8:9], s[14:15], v[8:9]
	v_lshlrev_b64 v[10:11], 3, v[0:1]
	v_add_co_u32 v10, vcc_lo, v14, v10
	v_add_co_ci_u32_e64 v11, null, v15, v11, vcc_lo
	s_andn2_b32 vcc_lo, exec_lo, s2
	s_cbranch_vccnz .LBB498_15
; %bb.14:
	flat_load_dwordx2 v[16:17], v[10:11]
	s_waitcnt vmcnt(0) lgkmcnt(0)
	v_fma_f64 v[8:9], s[36:37], v[16:17], v[8:9]
.LBB498_15:
	flat_store_dwordx2 v[10:11], v[8:9]
.LBB498_16:
	s_or_b32 exec_lo, exec_lo, s1
	v_add_nc_u32_e32 v8, 16, v0
	v_cmp_le_i32_e32 vcc_lo, v13, v8
	v_cmp_gt_i32_e64 s1, s8, v8
	v_ashrrev_i32_e32 v9, 31, v8
	s_and_b32 s2, vcc_lo, s1
	s_and_saveexec_b32 s5, s2
	s_cbranch_execz .LBB498_20
; %bb.17:
	v_mul_f64 v[6:7], s[14:15], v[6:7]
	v_lshlrev_b64 v[10:11], 3, v[8:9]
	v_cmp_ne_u32_e32 vcc_lo, 1, v12
	v_add_co_u32 v10, s2, v14, v10
	v_add_co_ci_u32_e64 v11, null, v15, v11, s2
	s_cbranch_vccnz .LBB498_19
; %bb.18:
	flat_load_dwordx2 v[14:15], v[10:11]
	s_waitcnt vmcnt(0) lgkmcnt(0)
	v_fma_f64 v[6:7], s[36:37], v[14:15], v[6:7]
.LBB498_19:
	flat_store_dwordx2 v[10:11], v[6:7]
.LBB498_20:
	s_or_b32 exec_lo, exec_lo, s5
	v_add_nc_u32_e32 v10, 16, v13
	v_ashrrev_i32_e32 v11, 31, v10
	v_mul_lo_u32 v13, s41, v10
	v_mad_u64_u32 v[6:7], null, s40, v10, 0
	v_cmp_le_i32_e32 vcc_lo, v10, v0
	v_mul_lo_u32 v11, s40, v11
	s_and_b32 s0, vcc_lo, s0
	v_add3_u32 v7, v7, v11, v13
	v_lshlrev_b64 v[6:7], 3, v[6:7]
	v_add_co_u32 v6, s2, s4, v6
	v_add_co_ci_u32_e64 v7, null, s3, v7, s2
	s_and_saveexec_b32 s2, s0
	s_cbranch_execz .LBB498_24
; %bb.21:
	v_mul_f64 v[4:5], s[14:15], v[4:5]
	v_lshlrev_b64 v[0:1], 3, v[0:1]
	v_cmp_ne_u32_e32 vcc_lo, 1, v12
	v_add_co_u32 v0, s0, v6, v0
	v_add_co_ci_u32_e64 v1, null, v7, v1, s0
	s_cbranch_vccnz .LBB498_23
; %bb.22:
	flat_load_dwordx2 v[13:14], v[0:1]
	s_waitcnt vmcnt(0) lgkmcnt(0)
	v_fma_f64 v[4:5], s[36:37], v[13:14], v[4:5]
.LBB498_23:
	flat_store_dwordx2 v[0:1], v[4:5]
.LBB498_24:
	s_or_b32 exec_lo, exec_lo, s2
	v_cmp_le_i32_e32 vcc_lo, v10, v8
	s_and_b32 s0, vcc_lo, s1
	s_and_saveexec_b32 s1, s0
	s_cbranch_execz .LBB498_28
; %bb.25:
	v_mul_f64 v[0:1], s[14:15], v[2:3]
	v_lshlrev_b64 v[2:3], 3, v[8:9]
	v_cmp_ne_u32_e32 vcc_lo, 1, v12
	v_add_co_u32 v2, s0, v6, v2
	v_add_co_ci_u32_e64 v3, null, v7, v3, s0
	s_cbranch_vccnz .LBB498_27
; %bb.26:
	flat_load_dwordx2 v[4:5], v[2:3]
	s_waitcnt vmcnt(0) lgkmcnt(0)
	v_fma_f64 v[0:1], s[36:37], v[4:5], v[0:1]
.LBB498_27:
	flat_store_dwordx2 v[2:3], v[0:1]
.LBB498_28:
	s_endpgm
	.section	.rodata,"a",@progbits
	.p2align	6, 0x0
	.amdhsa_kernel _ZL29rocblas_internal_gemmt_kernelIlLi16ELi32ELi8ELc84ELc78ELc76ELb0ELb0EddPKPKdPKPdEviT_T9_T10_S7_lS9_S7_lS8_T11_S7_li
		.amdhsa_group_segment_fixed_size 4096
		.amdhsa_private_segment_fixed_size 0
		.amdhsa_kernarg_size 108
		.amdhsa_user_sgpr_count 6
		.amdhsa_user_sgpr_private_segment_buffer 1
		.amdhsa_user_sgpr_dispatch_ptr 0
		.amdhsa_user_sgpr_queue_ptr 0
		.amdhsa_user_sgpr_kernarg_segment_ptr 1
		.amdhsa_user_sgpr_dispatch_id 0
		.amdhsa_user_sgpr_flat_scratch_init 0
		.amdhsa_user_sgpr_private_segment_size 0
		.amdhsa_wavefront_size32 1
		.amdhsa_uses_dynamic_stack 0
		.amdhsa_system_sgpr_private_segment_wavefront_offset 0
		.amdhsa_system_sgpr_workgroup_id_x 1
		.amdhsa_system_sgpr_workgroup_id_y 1
		.amdhsa_system_sgpr_workgroup_id_z 1
		.amdhsa_system_sgpr_workgroup_info 0
		.amdhsa_system_vgpr_workitem_id 1
		.amdhsa_next_free_vgpr 46
		.amdhsa_next_free_sgpr 44
		.amdhsa_reserve_vcc 1
		.amdhsa_reserve_flat_scratch 0
		.amdhsa_float_round_mode_32 0
		.amdhsa_float_round_mode_16_64 0
		.amdhsa_float_denorm_mode_32 3
		.amdhsa_float_denorm_mode_16_64 3
		.amdhsa_dx10_clamp 1
		.amdhsa_ieee_mode 1
		.amdhsa_fp16_overflow 0
		.amdhsa_workgroup_processor_mode 1
		.amdhsa_memory_ordered 1
		.amdhsa_forward_progress 1
		.amdhsa_shared_vgpr_count 0
		.amdhsa_exception_fp_ieee_invalid_op 0
		.amdhsa_exception_fp_denorm_src 0
		.amdhsa_exception_fp_ieee_div_zero 0
		.amdhsa_exception_fp_ieee_overflow 0
		.amdhsa_exception_fp_ieee_underflow 0
		.amdhsa_exception_fp_ieee_inexact 0
		.amdhsa_exception_int_div_zero 0
	.end_amdhsa_kernel
	.section	.text._ZL29rocblas_internal_gemmt_kernelIlLi16ELi32ELi8ELc84ELc78ELc76ELb0ELb0EddPKPKdPKPdEviT_T9_T10_S7_lS9_S7_lS8_T11_S7_li,"axG",@progbits,_ZL29rocblas_internal_gemmt_kernelIlLi16ELi32ELi8ELc84ELc78ELc76ELb0ELb0EddPKPKdPKPdEviT_T9_T10_S7_lS9_S7_lS8_T11_S7_li,comdat
.Lfunc_end498:
	.size	_ZL29rocblas_internal_gemmt_kernelIlLi16ELi32ELi8ELc84ELc78ELc76ELb0ELb0EddPKPKdPKPdEviT_T9_T10_S7_lS9_S7_lS8_T11_S7_li, .Lfunc_end498-_ZL29rocblas_internal_gemmt_kernelIlLi16ELi32ELi8ELc84ELc78ELc76ELb0ELb0EddPKPKdPKPdEviT_T9_T10_S7_lS9_S7_lS8_T11_S7_li
                                        ; -- End function
	.set _ZL29rocblas_internal_gemmt_kernelIlLi16ELi32ELi8ELc84ELc78ELc76ELb0ELb0EddPKPKdPKPdEviT_T9_T10_S7_lS9_S7_lS8_T11_S7_li.num_vgpr, 46
	.set _ZL29rocblas_internal_gemmt_kernelIlLi16ELi32ELi8ELc84ELc78ELc76ELb0ELb0EddPKPKdPKPdEviT_T9_T10_S7_lS9_S7_lS8_T11_S7_li.num_agpr, 0
	.set _ZL29rocblas_internal_gemmt_kernelIlLi16ELi32ELi8ELc84ELc78ELc76ELb0ELb0EddPKPKdPKPdEviT_T9_T10_S7_lS9_S7_lS8_T11_S7_li.numbered_sgpr, 44
	.set _ZL29rocblas_internal_gemmt_kernelIlLi16ELi32ELi8ELc84ELc78ELc76ELb0ELb0EddPKPKdPKPdEviT_T9_T10_S7_lS9_S7_lS8_T11_S7_li.num_named_barrier, 0
	.set _ZL29rocblas_internal_gemmt_kernelIlLi16ELi32ELi8ELc84ELc78ELc76ELb0ELb0EddPKPKdPKPdEviT_T9_T10_S7_lS9_S7_lS8_T11_S7_li.private_seg_size, 0
	.set _ZL29rocblas_internal_gemmt_kernelIlLi16ELi32ELi8ELc84ELc78ELc76ELb0ELb0EddPKPKdPKPdEviT_T9_T10_S7_lS9_S7_lS8_T11_S7_li.uses_vcc, 1
	.set _ZL29rocblas_internal_gemmt_kernelIlLi16ELi32ELi8ELc84ELc78ELc76ELb0ELb0EddPKPKdPKPdEviT_T9_T10_S7_lS9_S7_lS8_T11_S7_li.uses_flat_scratch, 0
	.set _ZL29rocblas_internal_gemmt_kernelIlLi16ELi32ELi8ELc84ELc78ELc76ELb0ELb0EddPKPKdPKPdEviT_T9_T10_S7_lS9_S7_lS8_T11_S7_li.has_dyn_sized_stack, 0
	.set _ZL29rocblas_internal_gemmt_kernelIlLi16ELi32ELi8ELc84ELc78ELc76ELb0ELb0EddPKPKdPKPdEviT_T9_T10_S7_lS9_S7_lS8_T11_S7_li.has_recursion, 0
	.set _ZL29rocblas_internal_gemmt_kernelIlLi16ELi32ELi8ELc84ELc78ELc76ELb0ELb0EddPKPKdPKPdEviT_T9_T10_S7_lS9_S7_lS8_T11_S7_li.has_indirect_call, 0
	.section	.AMDGPU.csdata,"",@progbits
; Kernel info:
; codeLenInByte = 1680
; TotalNumSgprs: 46
; NumVgprs: 46
; ScratchSize: 0
; MemoryBound: 0
; FloatMode: 240
; IeeeMode: 1
; LDSByteSize: 4096 bytes/workgroup (compile time only)
; SGPRBlocks: 0
; VGPRBlocks: 5
; NumSGPRsForWavesPerEU: 46
; NumVGPRsForWavesPerEU: 46
; Occupancy: 16
; WaveLimiterHint : 1
; COMPUTE_PGM_RSRC2:SCRATCH_EN: 0
; COMPUTE_PGM_RSRC2:USER_SGPR: 6
; COMPUTE_PGM_RSRC2:TRAP_HANDLER: 0
; COMPUTE_PGM_RSRC2:TGID_X_EN: 1
; COMPUTE_PGM_RSRC2:TGID_Y_EN: 1
; COMPUTE_PGM_RSRC2:TGID_Z_EN: 1
; COMPUTE_PGM_RSRC2:TIDIG_COMP_CNT: 1
	.section	.text._ZL29rocblas_internal_gemmt_kernelIlLi16ELi32ELi8ELc84ELc84ELc76ELb0ELb0EddPKPKdPKPdEviT_T9_T10_S7_lS9_S7_lS8_T11_S7_li,"axG",@progbits,_ZL29rocblas_internal_gemmt_kernelIlLi16ELi32ELi8ELc84ELc84ELc76ELb0ELb0EddPKPKdPKPdEviT_T9_T10_S7_lS9_S7_lS8_T11_S7_li,comdat
	.globl	_ZL29rocblas_internal_gemmt_kernelIlLi16ELi32ELi8ELc84ELc84ELc76ELb0ELb0EddPKPKdPKPdEviT_T9_T10_S7_lS9_S7_lS8_T11_S7_li ; -- Begin function _ZL29rocblas_internal_gemmt_kernelIlLi16ELi32ELi8ELc84ELc84ELc76ELb0ELb0EddPKPKdPKPdEviT_T9_T10_S7_lS9_S7_lS8_T11_S7_li
	.p2align	8
	.type	_ZL29rocblas_internal_gemmt_kernelIlLi16ELi32ELi8ELc84ELc84ELc76ELb0ELb0EddPKPKdPKPdEviT_T9_T10_S7_lS9_S7_lS8_T11_S7_li,@function
_ZL29rocblas_internal_gemmt_kernelIlLi16ELi32ELi8ELc84ELc84ELc76ELb0ELb0EddPKPKdPKPdEviT_T9_T10_S7_lS9_S7_lS8_T11_S7_li: ; @_ZL29rocblas_internal_gemmt_kernelIlLi16ELi32ELi8ELc84ELc84ELc76ELb0ELb0EddPKPKdPKPdEviT_T9_T10_S7_lS9_S7_lS8_T11_S7_li
; %bb.0:
	s_clause 0x1
	s_load_dwordx8 s[36:43], s[4:5], 0x48
	s_load_dwordx16 s[12:27], s[4:5], 0x8
	s_waitcnt lgkmcnt(0)
	v_cmp_neq_f64_e64 s0, s[36:37], 1.0
	s_and_b32 vcc_lo, exec_lo, s0
	s_cbranch_vccnz .LBB499_2
; %bb.1:
	v_cmp_neq_f64_e64 s0, s[14:15], 0
	s_cmp_lg_u64 s[12:13], 0
	s_cselect_b32 s1, -1, 0
	s_and_b32 s0, s1, s0
.LBB499_2:
	s_andn2_b32 vcc_lo, exec_lo, s0
	s_cbranch_vccnz .LBB499_28
; %bb.3:
	v_cmp_eq_f64_e64 s10, s[14:15], 0
	s_mov_b32 s9, 0
	v_mov_b32_e32 v8, 0
	s_lshl_b64 s[0:1], s[8:9], 3
	v_mov_b32_e32 v6, 0
	s_add_u32 s2, s38, s0
	s_addc_u32 s3, s39, s1
	s_load_dword s8, s[4:5], 0x0
	s_load_dwordx2 s[2:3], s[2:3], 0x0
	v_cmp_lt_i64_e64 s4, s[12:13], 1
	v_mov_b32_e32 v4, 0
	v_mov_b32_e32 v2, 0
	;; [unrolled: 1-line block ×6, first 2 shown]
	s_lshl_b32 s6, s6, 5
	s_lshl_b32 s7, s7, 5
	s_or_b32 s4, s10, s4
	s_and_b32 vcc_lo, exec_lo, s4
	s_cbranch_vccnz .LBB499_12
; %bb.4:
	s_add_u32 s4, s22, s0
	s_addc_u32 s5, s23, s1
	s_lshl_b64 s[10:11], s[26:27], 3
	s_load_dwordx2 s[4:5], s[4:5], 0x0
	v_lshl_add_u32 v10, v1, 4, v0
	v_and_b32_e32 v16, 7, v0
	v_mov_b32_e32 v2, 0
	v_mov_b32_e32 v4, 0
	;; [unrolled: 1-line block ×3, first 2 shown]
	v_and_b32_e32 v11, 31, v10
	v_lshrrev_b32_e32 v14, 3, v10
	v_lshrrev_b32_e32 v19, 5, v10
	v_lshlrev_b32_e32 v20, 3, v16
	v_mov_b32_e32 v8, 0
	v_or_b32_e32 v15, s6, v11
	v_add_nc_u32_e32 v10, s7, v14
	v_lshlrev_b32_e32 v21, 3, v11
	v_lshl_or_b32 v23, v14, 6, v20
	v_lshlrev_b32_e32 v17, 3, v0
	v_mul_lo_u32 v22, s19, v15
	v_mad_u64_u32 v[12:13], null, s18, v15, 0
	v_ashrrev_i32_e32 v11, 31, v10
	s_waitcnt lgkmcnt(0)
	s_add_u32 s9, s4, s10
	s_addc_u32 s10, s5, s11
	s_add_u32 s0, s16, s0
	s_addc_u32 s1, s17, s1
	s_lshl_b64 s[4:5], s[20:21], 3
	s_load_dwordx2 s[0:1], s[0:1], 0x0
	v_lshl_or_b32 v20, v19, 8, v21
	v_add_nc_u32_e32 v21, 0x800, v23
	v_lshl_add_u32 v18, v1, 6, 0x800
	v_mov_b32_e32 v3, 0
	v_mov_b32_e32 v5, 0
	;; [unrolled: 1-line block ×4, first 2 shown]
	s_waitcnt lgkmcnt(0)
	s_add_u32 s4, s0, s4
	s_addc_u32 s5, s1, s5
	s_ashr_i32 s0, s6, 31
	s_mul_i32 s1, s18, s0
	v_cmp_gt_i32_e64 s0, s8, v15
	v_add3_u32 v13, v13, s1, v22
	v_lshlrev_b64 v[14:15], 3, v[10:11]
	v_cmp_gt_i32_e64 s1, s8, v10
	v_lshlrev_b64 v[10:11], 3, v[12:13]
	v_add_co_u32 v22, vcc_lo, s9, v14
	v_add_co_ci_u32_e64 v23, null, s10, v15, vcc_lo
	v_add_co_u32 v24, vcc_lo, s4, v10
	v_add_co_ci_u32_e64 v25, null, s5, v11, vcc_lo
	v_mov_b32_e32 v11, 0
	s_mov_b64 s[4:5], 0
	s_branch .LBB499_6
.LBB499_5:                              ;   in Loop: Header=BB499_6 Depth=1
	s_or_b32 exec_lo, exec_lo, s9
	s_waitcnt vmcnt(0) lgkmcnt(0)
	ds_write_b64 v21, v[14:15]
	s_waitcnt lgkmcnt(0)
	s_barrier
	buffer_gl0_inv
	ds_read_b128 v[12:15], v18
	ds_read2_b64 v[26:29], v17 offset1:16
	ds_read_b128 v[30:33], v18 offset:1024
	ds_read_b128 v[34:37], v18 offset:16
	ds_read2_b64 v[38:41], v17 offset0:32 offset1:48
	ds_read_b128 v[42:45], v18 offset:1040
	s_add_u32 s4, s4, 8
	s_addc_u32 s5, s5, 0
	v_cmp_gt_i64_e64 s9, s[12:13], s[4:5]
	s_and_b32 vcc_lo, exec_lo, s9
	s_waitcnt lgkmcnt(4)
	v_fma_f64 v[8:9], v[26:27], v[12:13], v[8:9]
	v_fma_f64 v[6:7], v[28:29], v[12:13], v[6:7]
	s_waitcnt lgkmcnt(3)
	v_fma_f64 v[12:13], v[26:27], v[30:31], v[4:5]
	v_fma_f64 v[26:27], v[28:29], v[30:31], v[2:3]
	ds_read2_b64 v[2:5], v17 offset0:64 offset1:80
	s_waitcnt lgkmcnt(2)
	v_fma_f64 v[28:29], v[38:39], v[14:15], v[8:9]
	v_fma_f64 v[14:15], v[40:41], v[14:15], v[6:7]
	;; [unrolled: 1-line block ×4, first 2 shown]
	ds_read2_b64 v[6:9], v17 offset0:96 offset1:112
	s_waitcnt lgkmcnt(1)
	v_fma_f64 v[28:29], v[2:3], v[34:35], v[28:29]
	v_fma_f64 v[30:31], v[4:5], v[34:35], v[14:15]
	;; [unrolled: 1-line block ×4, first 2 shown]
	ds_read_b128 v[2:5], v18 offset:32
	ds_read2_b64 v[12:15], v17 offset0:128 offset1:144
	s_waitcnt lgkmcnt(2)
	v_fma_f64 v[38:39], v[6:7], v[36:37], v[28:29]
	v_fma_f64 v[40:41], v[8:9], v[36:37], v[30:31]
	;; [unrolled: 1-line block ×4, first 2 shown]
	ds_read_b128 v[6:9], v18 offset:1056
	ds_read_b128 v[26:29], v18 offset:48
	ds_read2_b64 v[30:33], v17 offset0:160 offset1:176
	ds_read_b128 v[34:37], v18 offset:1072
	s_waitcnt lgkmcnt(4)
	v_fma_f64 v[38:39], v[12:13], v[2:3], v[38:39]
	v_fma_f64 v[2:3], v[14:15], v[2:3], v[40:41]
	s_waitcnt lgkmcnt(3)
	v_fma_f64 v[40:41], v[12:13], v[6:7], v[42:43]
	v_fma_f64 v[6:7], v[14:15], v[6:7], v[44:45]
	ds_read2_b64 v[12:15], v17 offset0:192 offset1:208
	s_waitcnt lgkmcnt(2)
	v_fma_f64 v[38:39], v[30:31], v[4:5], v[38:39]
	v_fma_f64 v[2:3], v[32:33], v[4:5], v[2:3]
	;; [unrolled: 1-line block ×4, first 2 shown]
	ds_read2_b64 v[30:33], v17 offset0:224 offset1:240
	s_waitcnt lgkmcnt(0)
	s_barrier
	buffer_gl0_inv
	v_fma_f64 v[8:9], v[12:13], v[26:27], v[38:39]
	v_fma_f64 v[2:3], v[14:15], v[26:27], v[2:3]
	;; [unrolled: 1-line block ×8, first 2 shown]
	s_cbranch_vccz .LBB499_12
.LBB499_6:                              ; =>This Inner Loop Header: Depth=1
	v_mov_b32_e32 v12, 0
	v_mov_b32_e32 v13, 0
	s_and_saveexec_b32 s9, s0
	s_cbranch_execz .LBB499_10
; %bb.7:                                ;   in Loop: Header=BB499_6 Depth=1
	v_mov_b32_e32 v12, 0
	v_add_nc_u32_e32 v10, s4, v19
	v_mov_b32_e32 v13, 0
	s_mov_b32 s10, exec_lo
	v_cmpx_gt_u64_e64 s[12:13], v[10:11]
	s_cbranch_execz .LBB499_9
; %bb.8:                                ;   in Loop: Header=BB499_6 Depth=1
	v_lshlrev_b64 v[12:13], 3, v[10:11]
	v_add_co_u32 v12, vcc_lo, v24, v12
	v_add_co_ci_u32_e64 v13, null, v25, v13, vcc_lo
	flat_load_dwordx2 v[12:13], v[12:13]
.LBB499_9:                              ;   in Loop: Header=BB499_6 Depth=1
	s_or_b32 exec_lo, exec_lo, s10
.LBB499_10:                             ;   in Loop: Header=BB499_6 Depth=1
	s_or_b32 exec_lo, exec_lo, s9
	v_add_nc_u32_e32 v10, s4, v16
	v_mov_b32_e32 v14, 0
	v_mov_b32_e32 v15, 0
	s_waitcnt vmcnt(0) lgkmcnt(0)
	ds_write_b64 v20, v[12:13]
	v_cmp_gt_u64_e32 vcc_lo, s[12:13], v[10:11]
	s_and_b32 s10, vcc_lo, s1
	s_and_saveexec_b32 s9, s10
	s_cbranch_execz .LBB499_5
; %bb.11:                               ;   in Loop: Header=BB499_6 Depth=1
	v_mad_u64_u32 v[12:13], null, s24, v10, 0
	v_mad_u64_u32 v[13:14], null, s25, v10, v[13:14]
	v_lshlrev_b64 v[12:13], 3, v[12:13]
	v_add_co_u32 v12, vcc_lo, v22, v12
	v_add_co_ci_u32_e64 v13, null, v23, v13, vcc_lo
	flat_load_dwordx2 v[14:15], v[12:13]
	s_branch .LBB499_5
.LBB499_12:
	v_add_nc_u32_e32 v13, s7, v1
	s_lshl_b64 s[0:1], s[42:43], 3
	v_add_nc_u32_e32 v0, s6, v0
	s_waitcnt lgkmcnt(0)
	s_add_u32 s4, s2, s0
	v_cmp_neq_f64_e64 s2, s[36:37], 0
	v_ashrrev_i32_e32 v1, 31, v13
	v_mul_lo_u32 v12, s41, v13
	v_mad_u64_u32 v[10:11], null, s40, v13, 0
	s_addc_u32 s3, s3, s1
	v_mul_lo_u32 v1, s40, v1
	v_cmp_le_i32_e32 vcc_lo, v13, v0
	v_cmp_gt_i32_e64 s0, s8, v0
	s_and_b32 s5, vcc_lo, s0
	v_add3_u32 v11, v11, v1, v12
	v_ashrrev_i32_e32 v1, 31, v0
	v_lshlrev_b64 v[10:11], 3, v[10:11]
	v_cndmask_b32_e64 v12, 0, 1, s2
	v_add_co_u32 v14, s1, s4, v10
	v_add_co_ci_u32_e64 v15, null, s3, v11, s1
	s_and_saveexec_b32 s1, s5
	s_cbranch_execz .LBB499_16
; %bb.13:
	v_mul_f64 v[8:9], s[14:15], v[8:9]
	v_lshlrev_b64 v[10:11], 3, v[0:1]
	v_add_co_u32 v10, vcc_lo, v14, v10
	v_add_co_ci_u32_e64 v11, null, v15, v11, vcc_lo
	s_andn2_b32 vcc_lo, exec_lo, s2
	s_cbranch_vccnz .LBB499_15
; %bb.14:
	flat_load_dwordx2 v[16:17], v[10:11]
	s_waitcnt vmcnt(0) lgkmcnt(0)
	v_fma_f64 v[8:9], s[36:37], v[16:17], v[8:9]
.LBB499_15:
	flat_store_dwordx2 v[10:11], v[8:9]
.LBB499_16:
	s_or_b32 exec_lo, exec_lo, s1
	v_add_nc_u32_e32 v8, 16, v0
	v_cmp_le_i32_e32 vcc_lo, v13, v8
	v_cmp_gt_i32_e64 s1, s8, v8
	v_ashrrev_i32_e32 v9, 31, v8
	s_and_b32 s2, vcc_lo, s1
	s_and_saveexec_b32 s5, s2
	s_cbranch_execz .LBB499_20
; %bb.17:
	v_mul_f64 v[6:7], s[14:15], v[6:7]
	v_lshlrev_b64 v[10:11], 3, v[8:9]
	v_cmp_ne_u32_e32 vcc_lo, 1, v12
	v_add_co_u32 v10, s2, v14, v10
	v_add_co_ci_u32_e64 v11, null, v15, v11, s2
	s_cbranch_vccnz .LBB499_19
; %bb.18:
	flat_load_dwordx2 v[14:15], v[10:11]
	s_waitcnt vmcnt(0) lgkmcnt(0)
	v_fma_f64 v[6:7], s[36:37], v[14:15], v[6:7]
.LBB499_19:
	flat_store_dwordx2 v[10:11], v[6:7]
.LBB499_20:
	s_or_b32 exec_lo, exec_lo, s5
	v_add_nc_u32_e32 v10, 16, v13
	v_ashrrev_i32_e32 v11, 31, v10
	v_mul_lo_u32 v13, s41, v10
	v_mad_u64_u32 v[6:7], null, s40, v10, 0
	v_cmp_le_i32_e32 vcc_lo, v10, v0
	v_mul_lo_u32 v11, s40, v11
	s_and_b32 s0, vcc_lo, s0
	v_add3_u32 v7, v7, v11, v13
	v_lshlrev_b64 v[6:7], 3, v[6:7]
	v_add_co_u32 v6, s2, s4, v6
	v_add_co_ci_u32_e64 v7, null, s3, v7, s2
	s_and_saveexec_b32 s2, s0
	s_cbranch_execz .LBB499_24
; %bb.21:
	v_mul_f64 v[4:5], s[14:15], v[4:5]
	v_lshlrev_b64 v[0:1], 3, v[0:1]
	v_cmp_ne_u32_e32 vcc_lo, 1, v12
	v_add_co_u32 v0, s0, v6, v0
	v_add_co_ci_u32_e64 v1, null, v7, v1, s0
	s_cbranch_vccnz .LBB499_23
; %bb.22:
	flat_load_dwordx2 v[13:14], v[0:1]
	s_waitcnt vmcnt(0) lgkmcnt(0)
	v_fma_f64 v[4:5], s[36:37], v[13:14], v[4:5]
.LBB499_23:
	flat_store_dwordx2 v[0:1], v[4:5]
.LBB499_24:
	s_or_b32 exec_lo, exec_lo, s2
	v_cmp_le_i32_e32 vcc_lo, v10, v8
	s_and_b32 s0, vcc_lo, s1
	s_and_saveexec_b32 s1, s0
	s_cbranch_execz .LBB499_28
; %bb.25:
	v_mul_f64 v[0:1], s[14:15], v[2:3]
	v_lshlrev_b64 v[2:3], 3, v[8:9]
	v_cmp_ne_u32_e32 vcc_lo, 1, v12
	v_add_co_u32 v2, s0, v6, v2
	v_add_co_ci_u32_e64 v3, null, v7, v3, s0
	s_cbranch_vccnz .LBB499_27
; %bb.26:
	flat_load_dwordx2 v[4:5], v[2:3]
	s_waitcnt vmcnt(0) lgkmcnt(0)
	v_fma_f64 v[0:1], s[36:37], v[4:5], v[0:1]
.LBB499_27:
	flat_store_dwordx2 v[2:3], v[0:1]
.LBB499_28:
	s_endpgm
	.section	.rodata,"a",@progbits
	.p2align	6, 0x0
	.amdhsa_kernel _ZL29rocblas_internal_gemmt_kernelIlLi16ELi32ELi8ELc84ELc84ELc76ELb0ELb0EddPKPKdPKPdEviT_T9_T10_S7_lS9_S7_lS8_T11_S7_li
		.amdhsa_group_segment_fixed_size 4096
		.amdhsa_private_segment_fixed_size 0
		.amdhsa_kernarg_size 108
		.amdhsa_user_sgpr_count 6
		.amdhsa_user_sgpr_private_segment_buffer 1
		.amdhsa_user_sgpr_dispatch_ptr 0
		.amdhsa_user_sgpr_queue_ptr 0
		.amdhsa_user_sgpr_kernarg_segment_ptr 1
		.amdhsa_user_sgpr_dispatch_id 0
		.amdhsa_user_sgpr_flat_scratch_init 0
		.amdhsa_user_sgpr_private_segment_size 0
		.amdhsa_wavefront_size32 1
		.amdhsa_uses_dynamic_stack 0
		.amdhsa_system_sgpr_private_segment_wavefront_offset 0
		.amdhsa_system_sgpr_workgroup_id_x 1
		.amdhsa_system_sgpr_workgroup_id_y 1
		.amdhsa_system_sgpr_workgroup_id_z 1
		.amdhsa_system_sgpr_workgroup_info 0
		.amdhsa_system_vgpr_workitem_id 1
		.amdhsa_next_free_vgpr 46
		.amdhsa_next_free_sgpr 44
		.amdhsa_reserve_vcc 1
		.amdhsa_reserve_flat_scratch 0
		.amdhsa_float_round_mode_32 0
		.amdhsa_float_round_mode_16_64 0
		.amdhsa_float_denorm_mode_32 3
		.amdhsa_float_denorm_mode_16_64 3
		.amdhsa_dx10_clamp 1
		.amdhsa_ieee_mode 1
		.amdhsa_fp16_overflow 0
		.amdhsa_workgroup_processor_mode 1
		.amdhsa_memory_ordered 1
		.amdhsa_forward_progress 1
		.amdhsa_shared_vgpr_count 0
		.amdhsa_exception_fp_ieee_invalid_op 0
		.amdhsa_exception_fp_denorm_src 0
		.amdhsa_exception_fp_ieee_div_zero 0
		.amdhsa_exception_fp_ieee_overflow 0
		.amdhsa_exception_fp_ieee_underflow 0
		.amdhsa_exception_fp_ieee_inexact 0
		.amdhsa_exception_int_div_zero 0
	.end_amdhsa_kernel
	.section	.text._ZL29rocblas_internal_gemmt_kernelIlLi16ELi32ELi8ELc84ELc84ELc76ELb0ELb0EddPKPKdPKPdEviT_T9_T10_S7_lS9_S7_lS8_T11_S7_li,"axG",@progbits,_ZL29rocblas_internal_gemmt_kernelIlLi16ELi32ELi8ELc84ELc84ELc76ELb0ELb0EddPKPKdPKPdEviT_T9_T10_S7_lS9_S7_lS8_T11_S7_li,comdat
.Lfunc_end499:
	.size	_ZL29rocblas_internal_gemmt_kernelIlLi16ELi32ELi8ELc84ELc84ELc76ELb0ELb0EddPKPKdPKPdEviT_T9_T10_S7_lS9_S7_lS8_T11_S7_li, .Lfunc_end499-_ZL29rocblas_internal_gemmt_kernelIlLi16ELi32ELi8ELc84ELc84ELc76ELb0ELb0EddPKPKdPKPdEviT_T9_T10_S7_lS9_S7_lS8_T11_S7_li
                                        ; -- End function
	.set _ZL29rocblas_internal_gemmt_kernelIlLi16ELi32ELi8ELc84ELc84ELc76ELb0ELb0EddPKPKdPKPdEviT_T9_T10_S7_lS9_S7_lS8_T11_S7_li.num_vgpr, 46
	.set _ZL29rocblas_internal_gemmt_kernelIlLi16ELi32ELi8ELc84ELc84ELc76ELb0ELb0EddPKPKdPKPdEviT_T9_T10_S7_lS9_S7_lS8_T11_S7_li.num_agpr, 0
	.set _ZL29rocblas_internal_gemmt_kernelIlLi16ELi32ELi8ELc84ELc84ELc76ELb0ELb0EddPKPKdPKPdEviT_T9_T10_S7_lS9_S7_lS8_T11_S7_li.numbered_sgpr, 44
	.set _ZL29rocblas_internal_gemmt_kernelIlLi16ELi32ELi8ELc84ELc84ELc76ELb0ELb0EddPKPKdPKPdEviT_T9_T10_S7_lS9_S7_lS8_T11_S7_li.num_named_barrier, 0
	.set _ZL29rocblas_internal_gemmt_kernelIlLi16ELi32ELi8ELc84ELc84ELc76ELb0ELb0EddPKPKdPKPdEviT_T9_T10_S7_lS9_S7_lS8_T11_S7_li.private_seg_size, 0
	.set _ZL29rocblas_internal_gemmt_kernelIlLi16ELi32ELi8ELc84ELc84ELc76ELb0ELb0EddPKPKdPKPdEviT_T9_T10_S7_lS9_S7_lS8_T11_S7_li.uses_vcc, 1
	.set _ZL29rocblas_internal_gemmt_kernelIlLi16ELi32ELi8ELc84ELc84ELc76ELb0ELb0EddPKPKdPKPdEviT_T9_T10_S7_lS9_S7_lS8_T11_S7_li.uses_flat_scratch, 0
	.set _ZL29rocblas_internal_gemmt_kernelIlLi16ELi32ELi8ELc84ELc84ELc76ELb0ELb0EddPKPKdPKPdEviT_T9_T10_S7_lS9_S7_lS8_T11_S7_li.has_dyn_sized_stack, 0
	.set _ZL29rocblas_internal_gemmt_kernelIlLi16ELi32ELi8ELc84ELc84ELc76ELb0ELb0EddPKPKdPKPdEviT_T9_T10_S7_lS9_S7_lS8_T11_S7_li.has_recursion, 0
	.set _ZL29rocblas_internal_gemmt_kernelIlLi16ELi32ELi8ELc84ELc84ELc76ELb0ELb0EddPKPKdPKPdEviT_T9_T10_S7_lS9_S7_lS8_T11_S7_li.has_indirect_call, 0
	.section	.AMDGPU.csdata,"",@progbits
; Kernel info:
; codeLenInByte = 1664
; TotalNumSgprs: 46
; NumVgprs: 46
; ScratchSize: 0
; MemoryBound: 0
; FloatMode: 240
; IeeeMode: 1
; LDSByteSize: 4096 bytes/workgroup (compile time only)
; SGPRBlocks: 0
; VGPRBlocks: 5
; NumSGPRsForWavesPerEU: 46
; NumVGPRsForWavesPerEU: 46
; Occupancy: 16
; WaveLimiterHint : 1
; COMPUTE_PGM_RSRC2:SCRATCH_EN: 0
; COMPUTE_PGM_RSRC2:USER_SGPR: 6
; COMPUTE_PGM_RSRC2:TRAP_HANDLER: 0
; COMPUTE_PGM_RSRC2:TGID_X_EN: 1
; COMPUTE_PGM_RSRC2:TGID_Y_EN: 1
; COMPUTE_PGM_RSRC2:TGID_Z_EN: 1
; COMPUTE_PGM_RSRC2:TIDIG_COMP_CNT: 1
	.section	.text._ZL29rocblas_internal_gemmt_kernelIlLi16ELi32ELi8ELc84ELc67ELc76ELb0ELb0EddPKPKdPKPdEviT_T9_T10_S7_lS9_S7_lS8_T11_S7_li,"axG",@progbits,_ZL29rocblas_internal_gemmt_kernelIlLi16ELi32ELi8ELc84ELc67ELc76ELb0ELb0EddPKPKdPKPdEviT_T9_T10_S7_lS9_S7_lS8_T11_S7_li,comdat
	.globl	_ZL29rocblas_internal_gemmt_kernelIlLi16ELi32ELi8ELc84ELc67ELc76ELb0ELb0EddPKPKdPKPdEviT_T9_T10_S7_lS9_S7_lS8_T11_S7_li ; -- Begin function _ZL29rocblas_internal_gemmt_kernelIlLi16ELi32ELi8ELc84ELc67ELc76ELb0ELb0EddPKPKdPKPdEviT_T9_T10_S7_lS9_S7_lS8_T11_S7_li
	.p2align	8
	.type	_ZL29rocblas_internal_gemmt_kernelIlLi16ELi32ELi8ELc84ELc67ELc76ELb0ELb0EddPKPKdPKPdEviT_T9_T10_S7_lS9_S7_lS8_T11_S7_li,@function
_ZL29rocblas_internal_gemmt_kernelIlLi16ELi32ELi8ELc84ELc67ELc76ELb0ELb0EddPKPKdPKPdEviT_T9_T10_S7_lS9_S7_lS8_T11_S7_li: ; @_ZL29rocblas_internal_gemmt_kernelIlLi16ELi32ELi8ELc84ELc67ELc76ELb0ELb0EddPKPKdPKPdEviT_T9_T10_S7_lS9_S7_lS8_T11_S7_li
; %bb.0:
	s_clause 0x1
	s_load_dwordx8 s[36:43], s[4:5], 0x48
	s_load_dwordx16 s[12:27], s[4:5], 0x8
	s_waitcnt lgkmcnt(0)
	v_cmp_neq_f64_e64 s0, s[36:37], 1.0
	s_and_b32 vcc_lo, exec_lo, s0
	s_cbranch_vccnz .LBB500_2
; %bb.1:
	v_cmp_neq_f64_e64 s0, s[14:15], 0
	s_cmp_lg_u64 s[12:13], 0
	s_cselect_b32 s1, -1, 0
	s_and_b32 s0, s1, s0
.LBB500_2:
	s_andn2_b32 vcc_lo, exec_lo, s0
	s_cbranch_vccnz .LBB500_28
; %bb.3:
	v_cmp_eq_f64_e64 s10, s[14:15], 0
	s_mov_b32 s9, 0
	v_mov_b32_e32 v8, 0
	s_lshl_b64 s[0:1], s[8:9], 3
	v_mov_b32_e32 v6, 0
	s_add_u32 s2, s38, s0
	s_addc_u32 s3, s39, s1
	s_load_dword s8, s[4:5], 0x0
	s_load_dwordx2 s[2:3], s[2:3], 0x0
	v_cmp_lt_i64_e64 s4, s[12:13], 1
	v_mov_b32_e32 v4, 0
	v_mov_b32_e32 v2, 0
	v_mov_b32_e32 v9, 0
	v_mov_b32_e32 v7, 0
	v_mov_b32_e32 v5, 0
	v_mov_b32_e32 v3, 0
	s_lshl_b32 s6, s6, 5
	s_lshl_b32 s7, s7, 5
	s_or_b32 s4, s10, s4
	s_and_b32 vcc_lo, exec_lo, s4
	s_cbranch_vccnz .LBB500_12
; %bb.4:
	s_add_u32 s4, s22, s0
	s_addc_u32 s5, s23, s1
	s_lshl_b64 s[10:11], s[26:27], 3
	s_load_dwordx2 s[4:5], s[4:5], 0x0
	v_lshl_add_u32 v10, v1, 4, v0
	v_and_b32_e32 v16, 7, v0
	v_mov_b32_e32 v2, 0
	v_mov_b32_e32 v4, 0
	;; [unrolled: 1-line block ×3, first 2 shown]
	v_and_b32_e32 v11, 31, v10
	v_lshrrev_b32_e32 v14, 3, v10
	v_lshrrev_b32_e32 v19, 5, v10
	v_lshlrev_b32_e32 v20, 3, v16
	v_mov_b32_e32 v8, 0
	v_or_b32_e32 v15, s6, v11
	v_add_nc_u32_e32 v10, s7, v14
	v_lshlrev_b32_e32 v21, 3, v11
	v_lshl_or_b32 v23, v14, 6, v20
	v_lshlrev_b32_e32 v17, 3, v0
	v_mul_lo_u32 v22, s19, v15
	v_mad_u64_u32 v[12:13], null, s18, v15, 0
	v_ashrrev_i32_e32 v11, 31, v10
	s_waitcnt lgkmcnt(0)
	s_add_u32 s9, s4, s10
	s_addc_u32 s10, s5, s11
	s_add_u32 s0, s16, s0
	s_addc_u32 s1, s17, s1
	s_lshl_b64 s[4:5], s[20:21], 3
	s_load_dwordx2 s[0:1], s[0:1], 0x0
	v_lshl_or_b32 v20, v19, 8, v21
	v_add_nc_u32_e32 v21, 0x800, v23
	v_lshl_add_u32 v18, v1, 6, 0x800
	v_mov_b32_e32 v3, 0
	v_mov_b32_e32 v5, 0
	;; [unrolled: 1-line block ×4, first 2 shown]
	s_waitcnt lgkmcnt(0)
	s_add_u32 s4, s0, s4
	s_addc_u32 s5, s1, s5
	s_ashr_i32 s0, s6, 31
	s_mul_i32 s1, s18, s0
	v_cmp_gt_i32_e64 s0, s8, v15
	v_add3_u32 v13, v13, s1, v22
	v_lshlrev_b64 v[14:15], 3, v[10:11]
	v_cmp_gt_i32_e64 s1, s8, v10
	v_lshlrev_b64 v[10:11], 3, v[12:13]
	v_add_co_u32 v22, vcc_lo, s9, v14
	v_add_co_ci_u32_e64 v23, null, s10, v15, vcc_lo
	v_add_co_u32 v24, vcc_lo, s4, v10
	v_add_co_ci_u32_e64 v25, null, s5, v11, vcc_lo
	v_mov_b32_e32 v11, 0
	s_mov_b64 s[4:5], 0
	s_branch .LBB500_6
.LBB500_5:                              ;   in Loop: Header=BB500_6 Depth=1
	s_or_b32 exec_lo, exec_lo, s9
	s_waitcnt vmcnt(0) lgkmcnt(0)
	ds_write_b64 v21, v[14:15]
	s_waitcnt lgkmcnt(0)
	s_barrier
	buffer_gl0_inv
	ds_read_b128 v[12:15], v18
	ds_read2_b64 v[26:29], v17 offset1:16
	ds_read_b128 v[30:33], v18 offset:1024
	ds_read_b128 v[34:37], v18 offset:16
	ds_read2_b64 v[38:41], v17 offset0:32 offset1:48
	ds_read_b128 v[42:45], v18 offset:1040
	s_add_u32 s4, s4, 8
	s_addc_u32 s5, s5, 0
	v_cmp_gt_i64_e64 s9, s[12:13], s[4:5]
	s_and_b32 vcc_lo, exec_lo, s9
	s_waitcnt lgkmcnt(4)
	v_fma_f64 v[8:9], v[26:27], v[12:13], v[8:9]
	v_fma_f64 v[6:7], v[28:29], v[12:13], v[6:7]
	s_waitcnt lgkmcnt(3)
	v_fma_f64 v[12:13], v[26:27], v[30:31], v[4:5]
	v_fma_f64 v[26:27], v[28:29], v[30:31], v[2:3]
	ds_read2_b64 v[2:5], v17 offset0:64 offset1:80
	s_waitcnt lgkmcnt(2)
	v_fma_f64 v[28:29], v[38:39], v[14:15], v[8:9]
	v_fma_f64 v[14:15], v[40:41], v[14:15], v[6:7]
	;; [unrolled: 1-line block ×4, first 2 shown]
	ds_read2_b64 v[6:9], v17 offset0:96 offset1:112
	s_waitcnt lgkmcnt(1)
	v_fma_f64 v[28:29], v[2:3], v[34:35], v[28:29]
	v_fma_f64 v[30:31], v[4:5], v[34:35], v[14:15]
	;; [unrolled: 1-line block ×4, first 2 shown]
	ds_read_b128 v[2:5], v18 offset:32
	ds_read2_b64 v[12:15], v17 offset0:128 offset1:144
	s_waitcnt lgkmcnt(2)
	v_fma_f64 v[38:39], v[6:7], v[36:37], v[28:29]
	v_fma_f64 v[40:41], v[8:9], v[36:37], v[30:31]
	;; [unrolled: 1-line block ×4, first 2 shown]
	ds_read_b128 v[6:9], v18 offset:1056
	ds_read_b128 v[26:29], v18 offset:48
	ds_read2_b64 v[30:33], v17 offset0:160 offset1:176
	ds_read_b128 v[34:37], v18 offset:1072
	s_waitcnt lgkmcnt(4)
	v_fma_f64 v[38:39], v[12:13], v[2:3], v[38:39]
	v_fma_f64 v[2:3], v[14:15], v[2:3], v[40:41]
	s_waitcnt lgkmcnt(3)
	v_fma_f64 v[40:41], v[12:13], v[6:7], v[42:43]
	v_fma_f64 v[6:7], v[14:15], v[6:7], v[44:45]
	ds_read2_b64 v[12:15], v17 offset0:192 offset1:208
	s_waitcnt lgkmcnt(2)
	v_fma_f64 v[38:39], v[30:31], v[4:5], v[38:39]
	v_fma_f64 v[2:3], v[32:33], v[4:5], v[2:3]
	;; [unrolled: 1-line block ×4, first 2 shown]
	ds_read2_b64 v[30:33], v17 offset0:224 offset1:240
	s_waitcnt lgkmcnt(0)
	s_barrier
	buffer_gl0_inv
	v_fma_f64 v[8:9], v[12:13], v[26:27], v[38:39]
	v_fma_f64 v[2:3], v[14:15], v[26:27], v[2:3]
	;; [unrolled: 1-line block ×8, first 2 shown]
	s_cbranch_vccz .LBB500_12
.LBB500_6:                              ; =>This Inner Loop Header: Depth=1
	v_mov_b32_e32 v12, 0
	v_mov_b32_e32 v13, 0
	s_and_saveexec_b32 s9, s0
	s_cbranch_execz .LBB500_10
; %bb.7:                                ;   in Loop: Header=BB500_6 Depth=1
	v_mov_b32_e32 v12, 0
	v_add_nc_u32_e32 v10, s4, v19
	v_mov_b32_e32 v13, 0
	s_mov_b32 s10, exec_lo
	v_cmpx_gt_u64_e64 s[12:13], v[10:11]
	s_cbranch_execz .LBB500_9
; %bb.8:                                ;   in Loop: Header=BB500_6 Depth=1
	v_lshlrev_b64 v[12:13], 3, v[10:11]
	v_add_co_u32 v12, vcc_lo, v24, v12
	v_add_co_ci_u32_e64 v13, null, v25, v13, vcc_lo
	flat_load_dwordx2 v[12:13], v[12:13]
.LBB500_9:                              ;   in Loop: Header=BB500_6 Depth=1
	s_or_b32 exec_lo, exec_lo, s10
.LBB500_10:                             ;   in Loop: Header=BB500_6 Depth=1
	s_or_b32 exec_lo, exec_lo, s9
	v_add_nc_u32_e32 v10, s4, v16
	v_mov_b32_e32 v14, 0
	v_mov_b32_e32 v15, 0
	s_waitcnt vmcnt(0) lgkmcnt(0)
	ds_write_b64 v20, v[12:13]
	v_cmp_gt_u64_e32 vcc_lo, s[12:13], v[10:11]
	s_and_b32 s10, vcc_lo, s1
	s_and_saveexec_b32 s9, s10
	s_cbranch_execz .LBB500_5
; %bb.11:                               ;   in Loop: Header=BB500_6 Depth=1
	v_mad_u64_u32 v[12:13], null, s24, v10, 0
	v_mad_u64_u32 v[13:14], null, s25, v10, v[13:14]
	v_lshlrev_b64 v[12:13], 3, v[12:13]
	v_add_co_u32 v12, vcc_lo, v22, v12
	v_add_co_ci_u32_e64 v13, null, v23, v13, vcc_lo
	flat_load_dwordx2 v[14:15], v[12:13]
	s_branch .LBB500_5
.LBB500_12:
	v_add_nc_u32_e32 v13, s7, v1
	s_lshl_b64 s[0:1], s[42:43], 3
	v_add_nc_u32_e32 v0, s6, v0
	s_waitcnt lgkmcnt(0)
	s_add_u32 s4, s2, s0
	v_cmp_neq_f64_e64 s2, s[36:37], 0
	v_ashrrev_i32_e32 v1, 31, v13
	v_mul_lo_u32 v12, s41, v13
	v_mad_u64_u32 v[10:11], null, s40, v13, 0
	s_addc_u32 s3, s3, s1
	v_mul_lo_u32 v1, s40, v1
	v_cmp_le_i32_e32 vcc_lo, v13, v0
	v_cmp_gt_i32_e64 s0, s8, v0
	s_and_b32 s5, vcc_lo, s0
	v_add3_u32 v11, v11, v1, v12
	v_ashrrev_i32_e32 v1, 31, v0
	v_lshlrev_b64 v[10:11], 3, v[10:11]
	v_cndmask_b32_e64 v12, 0, 1, s2
	v_add_co_u32 v14, s1, s4, v10
	v_add_co_ci_u32_e64 v15, null, s3, v11, s1
	s_and_saveexec_b32 s1, s5
	s_cbranch_execz .LBB500_16
; %bb.13:
	v_mul_f64 v[8:9], s[14:15], v[8:9]
	v_lshlrev_b64 v[10:11], 3, v[0:1]
	v_add_co_u32 v10, vcc_lo, v14, v10
	v_add_co_ci_u32_e64 v11, null, v15, v11, vcc_lo
	s_andn2_b32 vcc_lo, exec_lo, s2
	s_cbranch_vccnz .LBB500_15
; %bb.14:
	flat_load_dwordx2 v[16:17], v[10:11]
	s_waitcnt vmcnt(0) lgkmcnt(0)
	v_fma_f64 v[8:9], s[36:37], v[16:17], v[8:9]
.LBB500_15:
	flat_store_dwordx2 v[10:11], v[8:9]
.LBB500_16:
	s_or_b32 exec_lo, exec_lo, s1
	v_add_nc_u32_e32 v8, 16, v0
	v_cmp_le_i32_e32 vcc_lo, v13, v8
	v_cmp_gt_i32_e64 s1, s8, v8
	v_ashrrev_i32_e32 v9, 31, v8
	s_and_b32 s2, vcc_lo, s1
	s_and_saveexec_b32 s5, s2
	s_cbranch_execz .LBB500_20
; %bb.17:
	v_mul_f64 v[6:7], s[14:15], v[6:7]
	v_lshlrev_b64 v[10:11], 3, v[8:9]
	v_cmp_ne_u32_e32 vcc_lo, 1, v12
	v_add_co_u32 v10, s2, v14, v10
	v_add_co_ci_u32_e64 v11, null, v15, v11, s2
	s_cbranch_vccnz .LBB500_19
; %bb.18:
	flat_load_dwordx2 v[14:15], v[10:11]
	s_waitcnt vmcnt(0) lgkmcnt(0)
	v_fma_f64 v[6:7], s[36:37], v[14:15], v[6:7]
.LBB500_19:
	flat_store_dwordx2 v[10:11], v[6:7]
.LBB500_20:
	s_or_b32 exec_lo, exec_lo, s5
	v_add_nc_u32_e32 v10, 16, v13
	v_ashrrev_i32_e32 v11, 31, v10
	v_mul_lo_u32 v13, s41, v10
	v_mad_u64_u32 v[6:7], null, s40, v10, 0
	v_cmp_le_i32_e32 vcc_lo, v10, v0
	v_mul_lo_u32 v11, s40, v11
	s_and_b32 s0, vcc_lo, s0
	v_add3_u32 v7, v7, v11, v13
	v_lshlrev_b64 v[6:7], 3, v[6:7]
	v_add_co_u32 v6, s2, s4, v6
	v_add_co_ci_u32_e64 v7, null, s3, v7, s2
	s_and_saveexec_b32 s2, s0
	s_cbranch_execz .LBB500_24
; %bb.21:
	v_mul_f64 v[4:5], s[14:15], v[4:5]
	v_lshlrev_b64 v[0:1], 3, v[0:1]
	v_cmp_ne_u32_e32 vcc_lo, 1, v12
	v_add_co_u32 v0, s0, v6, v0
	v_add_co_ci_u32_e64 v1, null, v7, v1, s0
	s_cbranch_vccnz .LBB500_23
; %bb.22:
	flat_load_dwordx2 v[13:14], v[0:1]
	s_waitcnt vmcnt(0) lgkmcnt(0)
	v_fma_f64 v[4:5], s[36:37], v[13:14], v[4:5]
.LBB500_23:
	flat_store_dwordx2 v[0:1], v[4:5]
.LBB500_24:
	s_or_b32 exec_lo, exec_lo, s2
	v_cmp_le_i32_e32 vcc_lo, v10, v8
	s_and_b32 s0, vcc_lo, s1
	s_and_saveexec_b32 s1, s0
	s_cbranch_execz .LBB500_28
; %bb.25:
	v_mul_f64 v[0:1], s[14:15], v[2:3]
	v_lshlrev_b64 v[2:3], 3, v[8:9]
	v_cmp_ne_u32_e32 vcc_lo, 1, v12
	v_add_co_u32 v2, s0, v6, v2
	v_add_co_ci_u32_e64 v3, null, v7, v3, s0
	s_cbranch_vccnz .LBB500_27
; %bb.26:
	flat_load_dwordx2 v[4:5], v[2:3]
	s_waitcnt vmcnt(0) lgkmcnt(0)
	v_fma_f64 v[0:1], s[36:37], v[4:5], v[0:1]
.LBB500_27:
	flat_store_dwordx2 v[2:3], v[0:1]
.LBB500_28:
	s_endpgm
	.section	.rodata,"a",@progbits
	.p2align	6, 0x0
	.amdhsa_kernel _ZL29rocblas_internal_gemmt_kernelIlLi16ELi32ELi8ELc84ELc67ELc76ELb0ELb0EddPKPKdPKPdEviT_T9_T10_S7_lS9_S7_lS8_T11_S7_li
		.amdhsa_group_segment_fixed_size 4096
		.amdhsa_private_segment_fixed_size 0
		.amdhsa_kernarg_size 108
		.amdhsa_user_sgpr_count 6
		.amdhsa_user_sgpr_private_segment_buffer 1
		.amdhsa_user_sgpr_dispatch_ptr 0
		.amdhsa_user_sgpr_queue_ptr 0
		.amdhsa_user_sgpr_kernarg_segment_ptr 1
		.amdhsa_user_sgpr_dispatch_id 0
		.amdhsa_user_sgpr_flat_scratch_init 0
		.amdhsa_user_sgpr_private_segment_size 0
		.amdhsa_wavefront_size32 1
		.amdhsa_uses_dynamic_stack 0
		.amdhsa_system_sgpr_private_segment_wavefront_offset 0
		.amdhsa_system_sgpr_workgroup_id_x 1
		.amdhsa_system_sgpr_workgroup_id_y 1
		.amdhsa_system_sgpr_workgroup_id_z 1
		.amdhsa_system_sgpr_workgroup_info 0
		.amdhsa_system_vgpr_workitem_id 1
		.amdhsa_next_free_vgpr 46
		.amdhsa_next_free_sgpr 44
		.amdhsa_reserve_vcc 1
		.amdhsa_reserve_flat_scratch 0
		.amdhsa_float_round_mode_32 0
		.amdhsa_float_round_mode_16_64 0
		.amdhsa_float_denorm_mode_32 3
		.amdhsa_float_denorm_mode_16_64 3
		.amdhsa_dx10_clamp 1
		.amdhsa_ieee_mode 1
		.amdhsa_fp16_overflow 0
		.amdhsa_workgroup_processor_mode 1
		.amdhsa_memory_ordered 1
		.amdhsa_forward_progress 1
		.amdhsa_shared_vgpr_count 0
		.amdhsa_exception_fp_ieee_invalid_op 0
		.amdhsa_exception_fp_denorm_src 0
		.amdhsa_exception_fp_ieee_div_zero 0
		.amdhsa_exception_fp_ieee_overflow 0
		.amdhsa_exception_fp_ieee_underflow 0
		.amdhsa_exception_fp_ieee_inexact 0
		.amdhsa_exception_int_div_zero 0
	.end_amdhsa_kernel
	.section	.text._ZL29rocblas_internal_gemmt_kernelIlLi16ELi32ELi8ELc84ELc67ELc76ELb0ELb0EddPKPKdPKPdEviT_T9_T10_S7_lS9_S7_lS8_T11_S7_li,"axG",@progbits,_ZL29rocblas_internal_gemmt_kernelIlLi16ELi32ELi8ELc84ELc67ELc76ELb0ELb0EddPKPKdPKPdEviT_T9_T10_S7_lS9_S7_lS8_T11_S7_li,comdat
.Lfunc_end500:
	.size	_ZL29rocblas_internal_gemmt_kernelIlLi16ELi32ELi8ELc84ELc67ELc76ELb0ELb0EddPKPKdPKPdEviT_T9_T10_S7_lS9_S7_lS8_T11_S7_li, .Lfunc_end500-_ZL29rocblas_internal_gemmt_kernelIlLi16ELi32ELi8ELc84ELc67ELc76ELb0ELb0EddPKPKdPKPdEviT_T9_T10_S7_lS9_S7_lS8_T11_S7_li
                                        ; -- End function
	.set _ZL29rocblas_internal_gemmt_kernelIlLi16ELi32ELi8ELc84ELc67ELc76ELb0ELb0EddPKPKdPKPdEviT_T9_T10_S7_lS9_S7_lS8_T11_S7_li.num_vgpr, 46
	.set _ZL29rocblas_internal_gemmt_kernelIlLi16ELi32ELi8ELc84ELc67ELc76ELb0ELb0EddPKPKdPKPdEviT_T9_T10_S7_lS9_S7_lS8_T11_S7_li.num_agpr, 0
	.set _ZL29rocblas_internal_gemmt_kernelIlLi16ELi32ELi8ELc84ELc67ELc76ELb0ELb0EddPKPKdPKPdEviT_T9_T10_S7_lS9_S7_lS8_T11_S7_li.numbered_sgpr, 44
	.set _ZL29rocblas_internal_gemmt_kernelIlLi16ELi32ELi8ELc84ELc67ELc76ELb0ELb0EddPKPKdPKPdEviT_T9_T10_S7_lS9_S7_lS8_T11_S7_li.num_named_barrier, 0
	.set _ZL29rocblas_internal_gemmt_kernelIlLi16ELi32ELi8ELc84ELc67ELc76ELb0ELb0EddPKPKdPKPdEviT_T9_T10_S7_lS9_S7_lS8_T11_S7_li.private_seg_size, 0
	.set _ZL29rocblas_internal_gemmt_kernelIlLi16ELi32ELi8ELc84ELc67ELc76ELb0ELb0EddPKPKdPKPdEviT_T9_T10_S7_lS9_S7_lS8_T11_S7_li.uses_vcc, 1
	.set _ZL29rocblas_internal_gemmt_kernelIlLi16ELi32ELi8ELc84ELc67ELc76ELb0ELb0EddPKPKdPKPdEviT_T9_T10_S7_lS9_S7_lS8_T11_S7_li.uses_flat_scratch, 0
	.set _ZL29rocblas_internal_gemmt_kernelIlLi16ELi32ELi8ELc84ELc67ELc76ELb0ELb0EddPKPKdPKPdEviT_T9_T10_S7_lS9_S7_lS8_T11_S7_li.has_dyn_sized_stack, 0
	.set _ZL29rocblas_internal_gemmt_kernelIlLi16ELi32ELi8ELc84ELc67ELc76ELb0ELb0EddPKPKdPKPdEviT_T9_T10_S7_lS9_S7_lS8_T11_S7_li.has_recursion, 0
	.set _ZL29rocblas_internal_gemmt_kernelIlLi16ELi32ELi8ELc84ELc67ELc76ELb0ELb0EddPKPKdPKPdEviT_T9_T10_S7_lS9_S7_lS8_T11_S7_li.has_indirect_call, 0
	.section	.AMDGPU.csdata,"",@progbits
; Kernel info:
; codeLenInByte = 1664
; TotalNumSgprs: 46
; NumVgprs: 46
; ScratchSize: 0
; MemoryBound: 0
; FloatMode: 240
; IeeeMode: 1
; LDSByteSize: 4096 bytes/workgroup (compile time only)
; SGPRBlocks: 0
; VGPRBlocks: 5
; NumSGPRsForWavesPerEU: 46
; NumVGPRsForWavesPerEU: 46
; Occupancy: 16
; WaveLimiterHint : 1
; COMPUTE_PGM_RSRC2:SCRATCH_EN: 0
; COMPUTE_PGM_RSRC2:USER_SGPR: 6
; COMPUTE_PGM_RSRC2:TRAP_HANDLER: 0
; COMPUTE_PGM_RSRC2:TGID_X_EN: 1
; COMPUTE_PGM_RSRC2:TGID_Y_EN: 1
; COMPUTE_PGM_RSRC2:TGID_Z_EN: 1
; COMPUTE_PGM_RSRC2:TIDIG_COMP_CNT: 1
	.section	.text._ZL29rocblas_internal_gemmt_kernelIlLi16ELi32ELi8ELc67ELc78ELc76ELb0ELb0EddPKPKdPKPdEviT_T9_T10_S7_lS9_S7_lS8_T11_S7_li,"axG",@progbits,_ZL29rocblas_internal_gemmt_kernelIlLi16ELi32ELi8ELc67ELc78ELc76ELb0ELb0EddPKPKdPKPdEviT_T9_T10_S7_lS9_S7_lS8_T11_S7_li,comdat
	.globl	_ZL29rocblas_internal_gemmt_kernelIlLi16ELi32ELi8ELc67ELc78ELc76ELb0ELb0EddPKPKdPKPdEviT_T9_T10_S7_lS9_S7_lS8_T11_S7_li ; -- Begin function _ZL29rocblas_internal_gemmt_kernelIlLi16ELi32ELi8ELc67ELc78ELc76ELb0ELb0EddPKPKdPKPdEviT_T9_T10_S7_lS9_S7_lS8_T11_S7_li
	.p2align	8
	.type	_ZL29rocblas_internal_gemmt_kernelIlLi16ELi32ELi8ELc67ELc78ELc76ELb0ELb0EddPKPKdPKPdEviT_T9_T10_S7_lS9_S7_lS8_T11_S7_li,@function
_ZL29rocblas_internal_gemmt_kernelIlLi16ELi32ELi8ELc67ELc78ELc76ELb0ELb0EddPKPKdPKPdEviT_T9_T10_S7_lS9_S7_lS8_T11_S7_li: ; @_ZL29rocblas_internal_gemmt_kernelIlLi16ELi32ELi8ELc67ELc78ELc76ELb0ELb0EddPKPKdPKPdEviT_T9_T10_S7_lS9_S7_lS8_T11_S7_li
; %bb.0:
	s_clause 0x1
	s_load_dwordx8 s[36:43], s[4:5], 0x48
	s_load_dwordx16 s[12:27], s[4:5], 0x8
	s_waitcnt lgkmcnt(0)
	v_cmp_neq_f64_e64 s0, s[36:37], 1.0
	s_and_b32 vcc_lo, exec_lo, s0
	s_cbranch_vccnz .LBB501_2
; %bb.1:
	v_cmp_neq_f64_e64 s0, s[14:15], 0
	s_cmp_lg_u64 s[12:13], 0
	s_cselect_b32 s1, -1, 0
	s_and_b32 s0, s1, s0
.LBB501_2:
	s_andn2_b32 vcc_lo, exec_lo, s0
	s_cbranch_vccnz .LBB501_28
; %bb.3:
	v_cmp_eq_f64_e64 s10, s[14:15], 0
	s_mov_b32 s9, 0
	v_mov_b32_e32 v8, 0
	s_lshl_b64 s[0:1], s[8:9], 3
	v_mov_b32_e32 v6, 0
	s_add_u32 s2, s38, s0
	s_addc_u32 s3, s39, s1
	s_load_dword s8, s[4:5], 0x0
	s_load_dwordx2 s[2:3], s[2:3], 0x0
	v_cmp_lt_i64_e64 s4, s[12:13], 1
	v_mov_b32_e32 v4, 0
	v_mov_b32_e32 v2, 0
	;; [unrolled: 1-line block ×6, first 2 shown]
	s_lshl_b32 s6, s6, 5
	s_lshl_b32 s7, s7, 5
	s_or_b32 s4, s10, s4
	s_and_b32 vcc_lo, exec_lo, s4
	s_cbranch_vccnz .LBB501_12
; %bb.4:
	s_add_u32 s4, s22, s0
	s_addc_u32 s5, s23, s1
	s_lshl_b64 s[10:11], s[26:27], 3
	s_load_dwordx2 s[4:5], s[4:5], 0x0
	v_lshl_add_u32 v12, v1, 4, v0
	v_and_b32_e32 v16, 7, v0
	v_mov_b32_e32 v2, 0
	v_mov_b32_e32 v4, 0
	;; [unrolled: 1-line block ×3, first 2 shown]
	v_lshrrev_b32_e32 v14, 3, v12
	v_and_b32_e32 v13, 31, v12
	v_lshlrev_b32_e32 v23, 3, v16
	v_mov_b32_e32 v8, 0
	v_lshlrev_b32_e32 v17, 3, v0
	v_add_nc_u32_e32 v15, s7, v14
	v_or_b32_e32 v20, s6, v13
	v_lshlrev_b32_e32 v24, 3, v13
	v_lshl_or_b32 v14, v14, 6, v23
	v_lshl_add_u32 v18, v1, 6, 0x800
	v_ashrrev_i32_e32 v19, 31, v15
	v_mul_lo_u32 v21, s25, v15
	v_mad_u64_u32 v[10:11], null, s24, v15, 0
	s_waitcnt lgkmcnt(0)
	s_add_u32 s9, s4, s10
	s_addc_u32 s10, s5, s11
	s_add_u32 s0, s16, s0
	s_addc_u32 s1, s17, s1
	v_mul_lo_u32 v22, s24, v19
	s_load_dwordx2 s[0:1], s[0:1], 0x0
	v_lshrrev_b32_e32 v19, 5, v12
	v_mul_lo_u32 v25, s19, v20
	v_mad_u64_u32 v[12:13], null, s18, v20, 0
	s_lshl_b64 s[4:5], s[20:21], 3
	v_mov_b32_e32 v3, 0
	v_add3_u32 v11, v11, v22, v21
	v_mov_b32_e32 v5, 0
	v_mov_b32_e32 v7, 0
	;; [unrolled: 1-line block ×3, first 2 shown]
	v_add_nc_u32_e32 v21, 0x800, v14
	v_lshlrev_b64 v[10:11], 3, v[10:11]
	v_add_co_u32 v22, vcc_lo, s9, v10
	s_waitcnt lgkmcnt(0)
	s_add_u32 s4, s0, s4
	s_addc_u32 s5, s1, s5
	s_ashr_i32 s0, s6, 31
	v_add_co_ci_u32_e64 v23, null, s10, v11, vcc_lo
	s_mul_i32 s1, s18, s0
	v_cmp_gt_i32_e64 s0, s8, v20
	v_add3_u32 v13, v13, s1, v25
	v_lshl_or_b32 v20, v19, 8, v24
	v_cmp_gt_i32_e64 s1, s8, v15
	v_mov_b32_e32 v11, 0
	v_lshlrev_b64 v[12:13], 3, v[12:13]
	v_add_co_u32 v24, vcc_lo, s4, v12
	v_add_co_ci_u32_e64 v25, null, s5, v13, vcc_lo
	s_mov_b64 s[4:5], 0
	s_branch .LBB501_6
.LBB501_5:                              ;   in Loop: Header=BB501_6 Depth=1
	s_or_b32 exec_lo, exec_lo, s9
	s_waitcnt vmcnt(0) lgkmcnt(0)
	ds_write_b64 v21, v[14:15]
	s_waitcnt lgkmcnt(0)
	s_barrier
	buffer_gl0_inv
	ds_read_b128 v[12:15], v18
	ds_read2_b64 v[26:29], v17 offset1:16
	ds_read_b128 v[30:33], v18 offset:1024
	ds_read_b128 v[34:37], v18 offset:16
	ds_read2_b64 v[38:41], v17 offset0:32 offset1:48
	ds_read_b128 v[42:45], v18 offset:1040
	s_add_u32 s4, s4, 8
	s_addc_u32 s5, s5, 0
	v_cmp_gt_i64_e64 s9, s[12:13], s[4:5]
	s_and_b32 vcc_lo, exec_lo, s9
	s_waitcnt lgkmcnt(4)
	v_fma_f64 v[8:9], v[26:27], v[12:13], v[8:9]
	v_fma_f64 v[6:7], v[28:29], v[12:13], v[6:7]
	s_waitcnt lgkmcnt(3)
	v_fma_f64 v[12:13], v[26:27], v[30:31], v[4:5]
	v_fma_f64 v[26:27], v[28:29], v[30:31], v[2:3]
	ds_read2_b64 v[2:5], v17 offset0:64 offset1:80
	s_waitcnt lgkmcnt(2)
	v_fma_f64 v[28:29], v[38:39], v[14:15], v[8:9]
	v_fma_f64 v[14:15], v[40:41], v[14:15], v[6:7]
	;; [unrolled: 1-line block ×4, first 2 shown]
	ds_read2_b64 v[6:9], v17 offset0:96 offset1:112
	s_waitcnt lgkmcnt(1)
	v_fma_f64 v[28:29], v[2:3], v[34:35], v[28:29]
	v_fma_f64 v[30:31], v[4:5], v[34:35], v[14:15]
	v_fma_f64 v[32:33], v[2:3], v[42:43], v[12:13]
	v_fma_f64 v[26:27], v[4:5], v[42:43], v[26:27]
	ds_read_b128 v[2:5], v18 offset:32
	ds_read2_b64 v[12:15], v17 offset0:128 offset1:144
	s_waitcnt lgkmcnt(2)
	v_fma_f64 v[38:39], v[6:7], v[36:37], v[28:29]
	v_fma_f64 v[40:41], v[8:9], v[36:37], v[30:31]
	;; [unrolled: 1-line block ×4, first 2 shown]
	ds_read_b128 v[6:9], v18 offset:1056
	ds_read_b128 v[26:29], v18 offset:48
	ds_read2_b64 v[30:33], v17 offset0:160 offset1:176
	ds_read_b128 v[34:37], v18 offset:1072
	s_waitcnt lgkmcnt(4)
	v_fma_f64 v[38:39], v[12:13], v[2:3], v[38:39]
	v_fma_f64 v[2:3], v[14:15], v[2:3], v[40:41]
	s_waitcnt lgkmcnt(3)
	v_fma_f64 v[40:41], v[12:13], v[6:7], v[42:43]
	v_fma_f64 v[6:7], v[14:15], v[6:7], v[44:45]
	ds_read2_b64 v[12:15], v17 offset0:192 offset1:208
	s_waitcnt lgkmcnt(2)
	v_fma_f64 v[38:39], v[30:31], v[4:5], v[38:39]
	v_fma_f64 v[2:3], v[32:33], v[4:5], v[2:3]
	;; [unrolled: 1-line block ×4, first 2 shown]
	ds_read2_b64 v[30:33], v17 offset0:224 offset1:240
	s_waitcnt lgkmcnt(0)
	s_barrier
	buffer_gl0_inv
	v_fma_f64 v[8:9], v[12:13], v[26:27], v[38:39]
	v_fma_f64 v[2:3], v[14:15], v[26:27], v[2:3]
	;; [unrolled: 1-line block ×8, first 2 shown]
	s_cbranch_vccz .LBB501_12
.LBB501_6:                              ; =>This Inner Loop Header: Depth=1
	v_mov_b32_e32 v12, 0
	v_mov_b32_e32 v13, 0
	s_and_saveexec_b32 s9, s0
	s_cbranch_execz .LBB501_10
; %bb.7:                                ;   in Loop: Header=BB501_6 Depth=1
	v_mov_b32_e32 v12, 0
	v_add_nc_u32_e32 v10, s4, v19
	v_mov_b32_e32 v13, 0
	s_mov_b32 s10, exec_lo
	v_cmpx_gt_u64_e64 s[12:13], v[10:11]
	s_cbranch_execz .LBB501_9
; %bb.8:                                ;   in Loop: Header=BB501_6 Depth=1
	v_lshlrev_b64 v[12:13], 3, v[10:11]
	v_add_co_u32 v12, vcc_lo, v24, v12
	v_add_co_ci_u32_e64 v13, null, v25, v13, vcc_lo
	flat_load_dwordx2 v[12:13], v[12:13]
.LBB501_9:                              ;   in Loop: Header=BB501_6 Depth=1
	s_or_b32 exec_lo, exec_lo, s10
.LBB501_10:                             ;   in Loop: Header=BB501_6 Depth=1
	s_or_b32 exec_lo, exec_lo, s9
	v_add_nc_u32_e32 v10, s4, v16
	v_mov_b32_e32 v14, 0
	v_mov_b32_e32 v15, 0
	s_waitcnt vmcnt(0) lgkmcnt(0)
	ds_write_b64 v20, v[12:13]
	v_cmp_gt_u64_e32 vcc_lo, s[12:13], v[10:11]
	s_and_b32 s10, vcc_lo, s1
	s_and_saveexec_b32 s9, s10
	s_cbranch_execz .LBB501_5
; %bb.11:                               ;   in Loop: Header=BB501_6 Depth=1
	v_lshlrev_b64 v[12:13], 3, v[10:11]
	v_add_co_u32 v12, vcc_lo, v22, v12
	v_add_co_ci_u32_e64 v13, null, v23, v13, vcc_lo
	flat_load_dwordx2 v[14:15], v[12:13]
	s_branch .LBB501_5
.LBB501_12:
	v_add_nc_u32_e32 v13, s7, v1
	s_lshl_b64 s[0:1], s[42:43], 3
	v_add_nc_u32_e32 v0, s6, v0
	s_waitcnt lgkmcnt(0)
	s_add_u32 s4, s2, s0
	v_cmp_neq_f64_e64 s2, s[36:37], 0
	v_ashrrev_i32_e32 v1, 31, v13
	v_mul_lo_u32 v12, s41, v13
	v_mad_u64_u32 v[10:11], null, s40, v13, 0
	s_addc_u32 s3, s3, s1
	v_mul_lo_u32 v1, s40, v1
	v_cmp_le_i32_e32 vcc_lo, v13, v0
	v_cmp_gt_i32_e64 s0, s8, v0
	s_and_b32 s5, vcc_lo, s0
	v_add3_u32 v11, v11, v1, v12
	v_ashrrev_i32_e32 v1, 31, v0
	v_lshlrev_b64 v[10:11], 3, v[10:11]
	v_cndmask_b32_e64 v12, 0, 1, s2
	v_add_co_u32 v14, s1, s4, v10
	v_add_co_ci_u32_e64 v15, null, s3, v11, s1
	s_and_saveexec_b32 s1, s5
	s_cbranch_execz .LBB501_16
; %bb.13:
	v_mul_f64 v[8:9], s[14:15], v[8:9]
	v_lshlrev_b64 v[10:11], 3, v[0:1]
	v_add_co_u32 v10, vcc_lo, v14, v10
	v_add_co_ci_u32_e64 v11, null, v15, v11, vcc_lo
	s_andn2_b32 vcc_lo, exec_lo, s2
	s_cbranch_vccnz .LBB501_15
; %bb.14:
	flat_load_dwordx2 v[16:17], v[10:11]
	s_waitcnt vmcnt(0) lgkmcnt(0)
	v_fma_f64 v[8:9], s[36:37], v[16:17], v[8:9]
.LBB501_15:
	flat_store_dwordx2 v[10:11], v[8:9]
.LBB501_16:
	s_or_b32 exec_lo, exec_lo, s1
	v_add_nc_u32_e32 v8, 16, v0
	v_cmp_le_i32_e32 vcc_lo, v13, v8
	v_cmp_gt_i32_e64 s1, s8, v8
	v_ashrrev_i32_e32 v9, 31, v8
	s_and_b32 s2, vcc_lo, s1
	s_and_saveexec_b32 s5, s2
	s_cbranch_execz .LBB501_20
; %bb.17:
	v_mul_f64 v[6:7], s[14:15], v[6:7]
	v_lshlrev_b64 v[10:11], 3, v[8:9]
	v_cmp_ne_u32_e32 vcc_lo, 1, v12
	v_add_co_u32 v10, s2, v14, v10
	v_add_co_ci_u32_e64 v11, null, v15, v11, s2
	s_cbranch_vccnz .LBB501_19
; %bb.18:
	flat_load_dwordx2 v[14:15], v[10:11]
	s_waitcnt vmcnt(0) lgkmcnt(0)
	v_fma_f64 v[6:7], s[36:37], v[14:15], v[6:7]
.LBB501_19:
	flat_store_dwordx2 v[10:11], v[6:7]
.LBB501_20:
	s_or_b32 exec_lo, exec_lo, s5
	v_add_nc_u32_e32 v10, 16, v13
	v_ashrrev_i32_e32 v11, 31, v10
	v_mul_lo_u32 v13, s41, v10
	v_mad_u64_u32 v[6:7], null, s40, v10, 0
	v_cmp_le_i32_e32 vcc_lo, v10, v0
	v_mul_lo_u32 v11, s40, v11
	s_and_b32 s0, vcc_lo, s0
	v_add3_u32 v7, v7, v11, v13
	v_lshlrev_b64 v[6:7], 3, v[6:7]
	v_add_co_u32 v6, s2, s4, v6
	v_add_co_ci_u32_e64 v7, null, s3, v7, s2
	s_and_saveexec_b32 s2, s0
	s_cbranch_execz .LBB501_24
; %bb.21:
	v_mul_f64 v[4:5], s[14:15], v[4:5]
	v_lshlrev_b64 v[0:1], 3, v[0:1]
	v_cmp_ne_u32_e32 vcc_lo, 1, v12
	v_add_co_u32 v0, s0, v6, v0
	v_add_co_ci_u32_e64 v1, null, v7, v1, s0
	s_cbranch_vccnz .LBB501_23
; %bb.22:
	flat_load_dwordx2 v[13:14], v[0:1]
	s_waitcnt vmcnt(0) lgkmcnt(0)
	v_fma_f64 v[4:5], s[36:37], v[13:14], v[4:5]
.LBB501_23:
	flat_store_dwordx2 v[0:1], v[4:5]
.LBB501_24:
	s_or_b32 exec_lo, exec_lo, s2
	v_cmp_le_i32_e32 vcc_lo, v10, v8
	s_and_b32 s0, vcc_lo, s1
	s_and_saveexec_b32 s1, s0
	s_cbranch_execz .LBB501_28
; %bb.25:
	v_mul_f64 v[0:1], s[14:15], v[2:3]
	v_lshlrev_b64 v[2:3], 3, v[8:9]
	v_cmp_ne_u32_e32 vcc_lo, 1, v12
	v_add_co_u32 v2, s0, v6, v2
	v_add_co_ci_u32_e64 v3, null, v7, v3, s0
	s_cbranch_vccnz .LBB501_27
; %bb.26:
	flat_load_dwordx2 v[4:5], v[2:3]
	s_waitcnt vmcnt(0) lgkmcnt(0)
	v_fma_f64 v[0:1], s[36:37], v[4:5], v[0:1]
.LBB501_27:
	flat_store_dwordx2 v[2:3], v[0:1]
.LBB501_28:
	s_endpgm
	.section	.rodata,"a",@progbits
	.p2align	6, 0x0
	.amdhsa_kernel _ZL29rocblas_internal_gemmt_kernelIlLi16ELi32ELi8ELc67ELc78ELc76ELb0ELb0EddPKPKdPKPdEviT_T9_T10_S7_lS9_S7_lS8_T11_S7_li
		.amdhsa_group_segment_fixed_size 4096
		.amdhsa_private_segment_fixed_size 0
		.amdhsa_kernarg_size 108
		.amdhsa_user_sgpr_count 6
		.amdhsa_user_sgpr_private_segment_buffer 1
		.amdhsa_user_sgpr_dispatch_ptr 0
		.amdhsa_user_sgpr_queue_ptr 0
		.amdhsa_user_sgpr_kernarg_segment_ptr 1
		.amdhsa_user_sgpr_dispatch_id 0
		.amdhsa_user_sgpr_flat_scratch_init 0
		.amdhsa_user_sgpr_private_segment_size 0
		.amdhsa_wavefront_size32 1
		.amdhsa_uses_dynamic_stack 0
		.amdhsa_system_sgpr_private_segment_wavefront_offset 0
		.amdhsa_system_sgpr_workgroup_id_x 1
		.amdhsa_system_sgpr_workgroup_id_y 1
		.amdhsa_system_sgpr_workgroup_id_z 1
		.amdhsa_system_sgpr_workgroup_info 0
		.amdhsa_system_vgpr_workitem_id 1
		.amdhsa_next_free_vgpr 46
		.amdhsa_next_free_sgpr 44
		.amdhsa_reserve_vcc 1
		.amdhsa_reserve_flat_scratch 0
		.amdhsa_float_round_mode_32 0
		.amdhsa_float_round_mode_16_64 0
		.amdhsa_float_denorm_mode_32 3
		.amdhsa_float_denorm_mode_16_64 3
		.amdhsa_dx10_clamp 1
		.amdhsa_ieee_mode 1
		.amdhsa_fp16_overflow 0
		.amdhsa_workgroup_processor_mode 1
		.amdhsa_memory_ordered 1
		.amdhsa_forward_progress 1
		.amdhsa_shared_vgpr_count 0
		.amdhsa_exception_fp_ieee_invalid_op 0
		.amdhsa_exception_fp_denorm_src 0
		.amdhsa_exception_fp_ieee_div_zero 0
		.amdhsa_exception_fp_ieee_overflow 0
		.amdhsa_exception_fp_ieee_underflow 0
		.amdhsa_exception_fp_ieee_inexact 0
		.amdhsa_exception_int_div_zero 0
	.end_amdhsa_kernel
	.section	.text._ZL29rocblas_internal_gemmt_kernelIlLi16ELi32ELi8ELc67ELc78ELc76ELb0ELb0EddPKPKdPKPdEviT_T9_T10_S7_lS9_S7_lS8_T11_S7_li,"axG",@progbits,_ZL29rocblas_internal_gemmt_kernelIlLi16ELi32ELi8ELc67ELc78ELc76ELb0ELb0EddPKPKdPKPdEviT_T9_T10_S7_lS9_S7_lS8_T11_S7_li,comdat
.Lfunc_end501:
	.size	_ZL29rocblas_internal_gemmt_kernelIlLi16ELi32ELi8ELc67ELc78ELc76ELb0ELb0EddPKPKdPKPdEviT_T9_T10_S7_lS9_S7_lS8_T11_S7_li, .Lfunc_end501-_ZL29rocblas_internal_gemmt_kernelIlLi16ELi32ELi8ELc67ELc78ELc76ELb0ELb0EddPKPKdPKPdEviT_T9_T10_S7_lS9_S7_lS8_T11_S7_li
                                        ; -- End function
	.set _ZL29rocblas_internal_gemmt_kernelIlLi16ELi32ELi8ELc67ELc78ELc76ELb0ELb0EddPKPKdPKPdEviT_T9_T10_S7_lS9_S7_lS8_T11_S7_li.num_vgpr, 46
	.set _ZL29rocblas_internal_gemmt_kernelIlLi16ELi32ELi8ELc67ELc78ELc76ELb0ELb0EddPKPKdPKPdEviT_T9_T10_S7_lS9_S7_lS8_T11_S7_li.num_agpr, 0
	.set _ZL29rocblas_internal_gemmt_kernelIlLi16ELi32ELi8ELc67ELc78ELc76ELb0ELb0EddPKPKdPKPdEviT_T9_T10_S7_lS9_S7_lS8_T11_S7_li.numbered_sgpr, 44
	.set _ZL29rocblas_internal_gemmt_kernelIlLi16ELi32ELi8ELc67ELc78ELc76ELb0ELb0EddPKPKdPKPdEviT_T9_T10_S7_lS9_S7_lS8_T11_S7_li.num_named_barrier, 0
	.set _ZL29rocblas_internal_gemmt_kernelIlLi16ELi32ELi8ELc67ELc78ELc76ELb0ELb0EddPKPKdPKPdEviT_T9_T10_S7_lS9_S7_lS8_T11_S7_li.private_seg_size, 0
	.set _ZL29rocblas_internal_gemmt_kernelIlLi16ELi32ELi8ELc67ELc78ELc76ELb0ELb0EddPKPKdPKPdEviT_T9_T10_S7_lS9_S7_lS8_T11_S7_li.uses_vcc, 1
	.set _ZL29rocblas_internal_gemmt_kernelIlLi16ELi32ELi8ELc67ELc78ELc76ELb0ELb0EddPKPKdPKPdEviT_T9_T10_S7_lS9_S7_lS8_T11_S7_li.uses_flat_scratch, 0
	.set _ZL29rocblas_internal_gemmt_kernelIlLi16ELi32ELi8ELc67ELc78ELc76ELb0ELb0EddPKPKdPKPdEviT_T9_T10_S7_lS9_S7_lS8_T11_S7_li.has_dyn_sized_stack, 0
	.set _ZL29rocblas_internal_gemmt_kernelIlLi16ELi32ELi8ELc67ELc78ELc76ELb0ELb0EddPKPKdPKPdEviT_T9_T10_S7_lS9_S7_lS8_T11_S7_li.has_recursion, 0
	.set _ZL29rocblas_internal_gemmt_kernelIlLi16ELi32ELi8ELc67ELc78ELc76ELb0ELb0EddPKPKdPKPdEviT_T9_T10_S7_lS9_S7_lS8_T11_S7_li.has_indirect_call, 0
	.section	.AMDGPU.csdata,"",@progbits
; Kernel info:
; codeLenInByte = 1680
; TotalNumSgprs: 46
; NumVgprs: 46
; ScratchSize: 0
; MemoryBound: 0
; FloatMode: 240
; IeeeMode: 1
; LDSByteSize: 4096 bytes/workgroup (compile time only)
; SGPRBlocks: 0
; VGPRBlocks: 5
; NumSGPRsForWavesPerEU: 46
; NumVGPRsForWavesPerEU: 46
; Occupancy: 16
; WaveLimiterHint : 1
; COMPUTE_PGM_RSRC2:SCRATCH_EN: 0
; COMPUTE_PGM_RSRC2:USER_SGPR: 6
; COMPUTE_PGM_RSRC2:TRAP_HANDLER: 0
; COMPUTE_PGM_RSRC2:TGID_X_EN: 1
; COMPUTE_PGM_RSRC2:TGID_Y_EN: 1
; COMPUTE_PGM_RSRC2:TGID_Z_EN: 1
; COMPUTE_PGM_RSRC2:TIDIG_COMP_CNT: 1
	.section	.text._ZL29rocblas_internal_gemmt_kernelIlLi16ELi32ELi8ELc67ELc84ELc76ELb0ELb0EddPKPKdPKPdEviT_T9_T10_S7_lS9_S7_lS8_T11_S7_li,"axG",@progbits,_ZL29rocblas_internal_gemmt_kernelIlLi16ELi32ELi8ELc67ELc84ELc76ELb0ELb0EddPKPKdPKPdEviT_T9_T10_S7_lS9_S7_lS8_T11_S7_li,comdat
	.globl	_ZL29rocblas_internal_gemmt_kernelIlLi16ELi32ELi8ELc67ELc84ELc76ELb0ELb0EddPKPKdPKPdEviT_T9_T10_S7_lS9_S7_lS8_T11_S7_li ; -- Begin function _ZL29rocblas_internal_gemmt_kernelIlLi16ELi32ELi8ELc67ELc84ELc76ELb0ELb0EddPKPKdPKPdEviT_T9_T10_S7_lS9_S7_lS8_T11_S7_li
	.p2align	8
	.type	_ZL29rocblas_internal_gemmt_kernelIlLi16ELi32ELi8ELc67ELc84ELc76ELb0ELb0EddPKPKdPKPdEviT_T9_T10_S7_lS9_S7_lS8_T11_S7_li,@function
_ZL29rocblas_internal_gemmt_kernelIlLi16ELi32ELi8ELc67ELc84ELc76ELb0ELb0EddPKPKdPKPdEviT_T9_T10_S7_lS9_S7_lS8_T11_S7_li: ; @_ZL29rocblas_internal_gemmt_kernelIlLi16ELi32ELi8ELc67ELc84ELc76ELb0ELb0EddPKPKdPKPdEviT_T9_T10_S7_lS9_S7_lS8_T11_S7_li
; %bb.0:
	s_clause 0x1
	s_load_dwordx8 s[36:43], s[4:5], 0x48
	s_load_dwordx16 s[12:27], s[4:5], 0x8
	s_waitcnt lgkmcnt(0)
	v_cmp_neq_f64_e64 s0, s[36:37], 1.0
	s_and_b32 vcc_lo, exec_lo, s0
	s_cbranch_vccnz .LBB502_2
; %bb.1:
	v_cmp_neq_f64_e64 s0, s[14:15], 0
	s_cmp_lg_u64 s[12:13], 0
	s_cselect_b32 s1, -1, 0
	s_and_b32 s0, s1, s0
.LBB502_2:
	s_andn2_b32 vcc_lo, exec_lo, s0
	s_cbranch_vccnz .LBB502_28
; %bb.3:
	v_cmp_eq_f64_e64 s10, s[14:15], 0
	s_mov_b32 s9, 0
	v_mov_b32_e32 v8, 0
	s_lshl_b64 s[0:1], s[8:9], 3
	v_mov_b32_e32 v6, 0
	s_add_u32 s2, s38, s0
	s_addc_u32 s3, s39, s1
	s_load_dword s8, s[4:5], 0x0
	s_load_dwordx2 s[2:3], s[2:3], 0x0
	v_cmp_lt_i64_e64 s4, s[12:13], 1
	v_mov_b32_e32 v4, 0
	v_mov_b32_e32 v2, 0
	;; [unrolled: 1-line block ×6, first 2 shown]
	s_lshl_b32 s6, s6, 5
	s_lshl_b32 s7, s7, 5
	s_or_b32 s4, s10, s4
	s_and_b32 vcc_lo, exec_lo, s4
	s_cbranch_vccnz .LBB502_12
; %bb.4:
	s_add_u32 s4, s22, s0
	s_addc_u32 s5, s23, s1
	s_lshl_b64 s[10:11], s[26:27], 3
	s_load_dwordx2 s[4:5], s[4:5], 0x0
	v_lshl_add_u32 v10, v1, 4, v0
	v_and_b32_e32 v16, 7, v0
	v_mov_b32_e32 v2, 0
	v_mov_b32_e32 v4, 0
	;; [unrolled: 1-line block ×3, first 2 shown]
	v_and_b32_e32 v11, 31, v10
	v_lshrrev_b32_e32 v14, 3, v10
	v_lshrrev_b32_e32 v19, 5, v10
	v_lshlrev_b32_e32 v20, 3, v16
	v_mov_b32_e32 v8, 0
	v_or_b32_e32 v15, s6, v11
	v_add_nc_u32_e32 v10, s7, v14
	v_lshlrev_b32_e32 v21, 3, v11
	v_lshl_or_b32 v23, v14, 6, v20
	v_lshlrev_b32_e32 v17, 3, v0
	v_mul_lo_u32 v22, s19, v15
	v_mad_u64_u32 v[12:13], null, s18, v15, 0
	v_ashrrev_i32_e32 v11, 31, v10
	s_waitcnt lgkmcnt(0)
	s_add_u32 s9, s4, s10
	s_addc_u32 s10, s5, s11
	s_add_u32 s0, s16, s0
	s_addc_u32 s1, s17, s1
	s_lshl_b64 s[4:5], s[20:21], 3
	s_load_dwordx2 s[0:1], s[0:1], 0x0
	v_lshl_or_b32 v20, v19, 8, v21
	v_add_nc_u32_e32 v21, 0x800, v23
	v_lshl_add_u32 v18, v1, 6, 0x800
	v_mov_b32_e32 v3, 0
	v_mov_b32_e32 v5, 0
	v_mov_b32_e32 v7, 0
	v_mov_b32_e32 v9, 0
	s_waitcnt lgkmcnt(0)
	s_add_u32 s4, s0, s4
	s_addc_u32 s5, s1, s5
	s_ashr_i32 s0, s6, 31
	s_mul_i32 s1, s18, s0
	v_cmp_gt_i32_e64 s0, s8, v15
	v_add3_u32 v13, v13, s1, v22
	v_lshlrev_b64 v[14:15], 3, v[10:11]
	v_cmp_gt_i32_e64 s1, s8, v10
	v_lshlrev_b64 v[10:11], 3, v[12:13]
	v_add_co_u32 v22, vcc_lo, s9, v14
	v_add_co_ci_u32_e64 v23, null, s10, v15, vcc_lo
	v_add_co_u32 v24, vcc_lo, s4, v10
	v_add_co_ci_u32_e64 v25, null, s5, v11, vcc_lo
	v_mov_b32_e32 v11, 0
	s_mov_b64 s[4:5], 0
	s_branch .LBB502_6
.LBB502_5:                              ;   in Loop: Header=BB502_6 Depth=1
	s_or_b32 exec_lo, exec_lo, s9
	s_waitcnt vmcnt(0) lgkmcnt(0)
	ds_write_b64 v21, v[14:15]
	s_waitcnt lgkmcnt(0)
	s_barrier
	buffer_gl0_inv
	ds_read_b128 v[12:15], v18
	ds_read2_b64 v[26:29], v17 offset1:16
	ds_read_b128 v[30:33], v18 offset:1024
	ds_read_b128 v[34:37], v18 offset:16
	ds_read2_b64 v[38:41], v17 offset0:32 offset1:48
	ds_read_b128 v[42:45], v18 offset:1040
	s_add_u32 s4, s4, 8
	s_addc_u32 s5, s5, 0
	v_cmp_gt_i64_e64 s9, s[12:13], s[4:5]
	s_and_b32 vcc_lo, exec_lo, s9
	s_waitcnt lgkmcnt(4)
	v_fma_f64 v[8:9], v[26:27], v[12:13], v[8:9]
	v_fma_f64 v[6:7], v[28:29], v[12:13], v[6:7]
	s_waitcnt lgkmcnt(3)
	v_fma_f64 v[12:13], v[26:27], v[30:31], v[4:5]
	v_fma_f64 v[26:27], v[28:29], v[30:31], v[2:3]
	ds_read2_b64 v[2:5], v17 offset0:64 offset1:80
	s_waitcnt lgkmcnt(2)
	v_fma_f64 v[28:29], v[38:39], v[14:15], v[8:9]
	v_fma_f64 v[14:15], v[40:41], v[14:15], v[6:7]
	;; [unrolled: 1-line block ×4, first 2 shown]
	ds_read2_b64 v[6:9], v17 offset0:96 offset1:112
	s_waitcnt lgkmcnt(1)
	v_fma_f64 v[28:29], v[2:3], v[34:35], v[28:29]
	v_fma_f64 v[30:31], v[4:5], v[34:35], v[14:15]
	;; [unrolled: 1-line block ×4, first 2 shown]
	ds_read_b128 v[2:5], v18 offset:32
	ds_read2_b64 v[12:15], v17 offset0:128 offset1:144
	s_waitcnt lgkmcnt(2)
	v_fma_f64 v[38:39], v[6:7], v[36:37], v[28:29]
	v_fma_f64 v[40:41], v[8:9], v[36:37], v[30:31]
	;; [unrolled: 1-line block ×4, first 2 shown]
	ds_read_b128 v[6:9], v18 offset:1056
	ds_read_b128 v[26:29], v18 offset:48
	ds_read2_b64 v[30:33], v17 offset0:160 offset1:176
	ds_read_b128 v[34:37], v18 offset:1072
	s_waitcnt lgkmcnt(4)
	v_fma_f64 v[38:39], v[12:13], v[2:3], v[38:39]
	v_fma_f64 v[2:3], v[14:15], v[2:3], v[40:41]
	s_waitcnt lgkmcnt(3)
	v_fma_f64 v[40:41], v[12:13], v[6:7], v[42:43]
	v_fma_f64 v[6:7], v[14:15], v[6:7], v[44:45]
	ds_read2_b64 v[12:15], v17 offset0:192 offset1:208
	s_waitcnt lgkmcnt(2)
	v_fma_f64 v[38:39], v[30:31], v[4:5], v[38:39]
	v_fma_f64 v[2:3], v[32:33], v[4:5], v[2:3]
	;; [unrolled: 1-line block ×4, first 2 shown]
	ds_read2_b64 v[30:33], v17 offset0:224 offset1:240
	s_waitcnt lgkmcnt(0)
	s_barrier
	buffer_gl0_inv
	v_fma_f64 v[8:9], v[12:13], v[26:27], v[38:39]
	v_fma_f64 v[2:3], v[14:15], v[26:27], v[2:3]
	;; [unrolled: 1-line block ×8, first 2 shown]
	s_cbranch_vccz .LBB502_12
.LBB502_6:                              ; =>This Inner Loop Header: Depth=1
	v_mov_b32_e32 v12, 0
	v_mov_b32_e32 v13, 0
	s_and_saveexec_b32 s9, s0
	s_cbranch_execz .LBB502_10
; %bb.7:                                ;   in Loop: Header=BB502_6 Depth=1
	v_mov_b32_e32 v12, 0
	v_add_nc_u32_e32 v10, s4, v19
	v_mov_b32_e32 v13, 0
	s_mov_b32 s10, exec_lo
	v_cmpx_gt_u64_e64 s[12:13], v[10:11]
	s_cbranch_execz .LBB502_9
; %bb.8:                                ;   in Loop: Header=BB502_6 Depth=1
	v_lshlrev_b64 v[12:13], 3, v[10:11]
	v_add_co_u32 v12, vcc_lo, v24, v12
	v_add_co_ci_u32_e64 v13, null, v25, v13, vcc_lo
	flat_load_dwordx2 v[12:13], v[12:13]
.LBB502_9:                              ;   in Loop: Header=BB502_6 Depth=1
	s_or_b32 exec_lo, exec_lo, s10
.LBB502_10:                             ;   in Loop: Header=BB502_6 Depth=1
	s_or_b32 exec_lo, exec_lo, s9
	v_add_nc_u32_e32 v10, s4, v16
	v_mov_b32_e32 v14, 0
	v_mov_b32_e32 v15, 0
	s_waitcnt vmcnt(0) lgkmcnt(0)
	ds_write_b64 v20, v[12:13]
	v_cmp_gt_u64_e32 vcc_lo, s[12:13], v[10:11]
	s_and_b32 s10, vcc_lo, s1
	s_and_saveexec_b32 s9, s10
	s_cbranch_execz .LBB502_5
; %bb.11:                               ;   in Loop: Header=BB502_6 Depth=1
	v_mad_u64_u32 v[12:13], null, s24, v10, 0
	v_mad_u64_u32 v[13:14], null, s25, v10, v[13:14]
	v_lshlrev_b64 v[12:13], 3, v[12:13]
	v_add_co_u32 v12, vcc_lo, v22, v12
	v_add_co_ci_u32_e64 v13, null, v23, v13, vcc_lo
	flat_load_dwordx2 v[14:15], v[12:13]
	s_branch .LBB502_5
.LBB502_12:
	v_add_nc_u32_e32 v13, s7, v1
	s_lshl_b64 s[0:1], s[42:43], 3
	v_add_nc_u32_e32 v0, s6, v0
	s_waitcnt lgkmcnt(0)
	s_add_u32 s4, s2, s0
	v_cmp_neq_f64_e64 s2, s[36:37], 0
	v_ashrrev_i32_e32 v1, 31, v13
	v_mul_lo_u32 v12, s41, v13
	v_mad_u64_u32 v[10:11], null, s40, v13, 0
	s_addc_u32 s3, s3, s1
	v_mul_lo_u32 v1, s40, v1
	v_cmp_le_i32_e32 vcc_lo, v13, v0
	v_cmp_gt_i32_e64 s0, s8, v0
	s_and_b32 s5, vcc_lo, s0
	v_add3_u32 v11, v11, v1, v12
	v_ashrrev_i32_e32 v1, 31, v0
	v_lshlrev_b64 v[10:11], 3, v[10:11]
	v_cndmask_b32_e64 v12, 0, 1, s2
	v_add_co_u32 v14, s1, s4, v10
	v_add_co_ci_u32_e64 v15, null, s3, v11, s1
	s_and_saveexec_b32 s1, s5
	s_cbranch_execz .LBB502_16
; %bb.13:
	v_mul_f64 v[8:9], s[14:15], v[8:9]
	v_lshlrev_b64 v[10:11], 3, v[0:1]
	v_add_co_u32 v10, vcc_lo, v14, v10
	v_add_co_ci_u32_e64 v11, null, v15, v11, vcc_lo
	s_andn2_b32 vcc_lo, exec_lo, s2
	s_cbranch_vccnz .LBB502_15
; %bb.14:
	flat_load_dwordx2 v[16:17], v[10:11]
	s_waitcnt vmcnt(0) lgkmcnt(0)
	v_fma_f64 v[8:9], s[36:37], v[16:17], v[8:9]
.LBB502_15:
	flat_store_dwordx2 v[10:11], v[8:9]
.LBB502_16:
	s_or_b32 exec_lo, exec_lo, s1
	v_add_nc_u32_e32 v8, 16, v0
	v_cmp_le_i32_e32 vcc_lo, v13, v8
	v_cmp_gt_i32_e64 s1, s8, v8
	v_ashrrev_i32_e32 v9, 31, v8
	s_and_b32 s2, vcc_lo, s1
	s_and_saveexec_b32 s5, s2
	s_cbranch_execz .LBB502_20
; %bb.17:
	v_mul_f64 v[6:7], s[14:15], v[6:7]
	v_lshlrev_b64 v[10:11], 3, v[8:9]
	v_cmp_ne_u32_e32 vcc_lo, 1, v12
	v_add_co_u32 v10, s2, v14, v10
	v_add_co_ci_u32_e64 v11, null, v15, v11, s2
	s_cbranch_vccnz .LBB502_19
; %bb.18:
	flat_load_dwordx2 v[14:15], v[10:11]
	s_waitcnt vmcnt(0) lgkmcnt(0)
	v_fma_f64 v[6:7], s[36:37], v[14:15], v[6:7]
.LBB502_19:
	flat_store_dwordx2 v[10:11], v[6:7]
.LBB502_20:
	s_or_b32 exec_lo, exec_lo, s5
	v_add_nc_u32_e32 v10, 16, v13
	v_ashrrev_i32_e32 v11, 31, v10
	v_mul_lo_u32 v13, s41, v10
	v_mad_u64_u32 v[6:7], null, s40, v10, 0
	v_cmp_le_i32_e32 vcc_lo, v10, v0
	v_mul_lo_u32 v11, s40, v11
	s_and_b32 s0, vcc_lo, s0
	v_add3_u32 v7, v7, v11, v13
	v_lshlrev_b64 v[6:7], 3, v[6:7]
	v_add_co_u32 v6, s2, s4, v6
	v_add_co_ci_u32_e64 v7, null, s3, v7, s2
	s_and_saveexec_b32 s2, s0
	s_cbranch_execz .LBB502_24
; %bb.21:
	v_mul_f64 v[4:5], s[14:15], v[4:5]
	v_lshlrev_b64 v[0:1], 3, v[0:1]
	v_cmp_ne_u32_e32 vcc_lo, 1, v12
	v_add_co_u32 v0, s0, v6, v0
	v_add_co_ci_u32_e64 v1, null, v7, v1, s0
	s_cbranch_vccnz .LBB502_23
; %bb.22:
	flat_load_dwordx2 v[13:14], v[0:1]
	s_waitcnt vmcnt(0) lgkmcnt(0)
	v_fma_f64 v[4:5], s[36:37], v[13:14], v[4:5]
.LBB502_23:
	flat_store_dwordx2 v[0:1], v[4:5]
.LBB502_24:
	s_or_b32 exec_lo, exec_lo, s2
	v_cmp_le_i32_e32 vcc_lo, v10, v8
	s_and_b32 s0, vcc_lo, s1
	s_and_saveexec_b32 s1, s0
	s_cbranch_execz .LBB502_28
; %bb.25:
	v_mul_f64 v[0:1], s[14:15], v[2:3]
	v_lshlrev_b64 v[2:3], 3, v[8:9]
	v_cmp_ne_u32_e32 vcc_lo, 1, v12
	v_add_co_u32 v2, s0, v6, v2
	v_add_co_ci_u32_e64 v3, null, v7, v3, s0
	s_cbranch_vccnz .LBB502_27
; %bb.26:
	flat_load_dwordx2 v[4:5], v[2:3]
	s_waitcnt vmcnt(0) lgkmcnt(0)
	v_fma_f64 v[0:1], s[36:37], v[4:5], v[0:1]
.LBB502_27:
	flat_store_dwordx2 v[2:3], v[0:1]
.LBB502_28:
	s_endpgm
	.section	.rodata,"a",@progbits
	.p2align	6, 0x0
	.amdhsa_kernel _ZL29rocblas_internal_gemmt_kernelIlLi16ELi32ELi8ELc67ELc84ELc76ELb0ELb0EddPKPKdPKPdEviT_T9_T10_S7_lS9_S7_lS8_T11_S7_li
		.amdhsa_group_segment_fixed_size 4096
		.amdhsa_private_segment_fixed_size 0
		.amdhsa_kernarg_size 108
		.amdhsa_user_sgpr_count 6
		.amdhsa_user_sgpr_private_segment_buffer 1
		.amdhsa_user_sgpr_dispatch_ptr 0
		.amdhsa_user_sgpr_queue_ptr 0
		.amdhsa_user_sgpr_kernarg_segment_ptr 1
		.amdhsa_user_sgpr_dispatch_id 0
		.amdhsa_user_sgpr_flat_scratch_init 0
		.amdhsa_user_sgpr_private_segment_size 0
		.amdhsa_wavefront_size32 1
		.amdhsa_uses_dynamic_stack 0
		.amdhsa_system_sgpr_private_segment_wavefront_offset 0
		.amdhsa_system_sgpr_workgroup_id_x 1
		.amdhsa_system_sgpr_workgroup_id_y 1
		.amdhsa_system_sgpr_workgroup_id_z 1
		.amdhsa_system_sgpr_workgroup_info 0
		.amdhsa_system_vgpr_workitem_id 1
		.amdhsa_next_free_vgpr 46
		.amdhsa_next_free_sgpr 44
		.amdhsa_reserve_vcc 1
		.amdhsa_reserve_flat_scratch 0
		.amdhsa_float_round_mode_32 0
		.amdhsa_float_round_mode_16_64 0
		.amdhsa_float_denorm_mode_32 3
		.amdhsa_float_denorm_mode_16_64 3
		.amdhsa_dx10_clamp 1
		.amdhsa_ieee_mode 1
		.amdhsa_fp16_overflow 0
		.amdhsa_workgroup_processor_mode 1
		.amdhsa_memory_ordered 1
		.amdhsa_forward_progress 1
		.amdhsa_shared_vgpr_count 0
		.amdhsa_exception_fp_ieee_invalid_op 0
		.amdhsa_exception_fp_denorm_src 0
		.amdhsa_exception_fp_ieee_div_zero 0
		.amdhsa_exception_fp_ieee_overflow 0
		.amdhsa_exception_fp_ieee_underflow 0
		.amdhsa_exception_fp_ieee_inexact 0
		.amdhsa_exception_int_div_zero 0
	.end_amdhsa_kernel
	.section	.text._ZL29rocblas_internal_gemmt_kernelIlLi16ELi32ELi8ELc67ELc84ELc76ELb0ELb0EddPKPKdPKPdEviT_T9_T10_S7_lS9_S7_lS8_T11_S7_li,"axG",@progbits,_ZL29rocblas_internal_gemmt_kernelIlLi16ELi32ELi8ELc67ELc84ELc76ELb0ELb0EddPKPKdPKPdEviT_T9_T10_S7_lS9_S7_lS8_T11_S7_li,comdat
.Lfunc_end502:
	.size	_ZL29rocblas_internal_gemmt_kernelIlLi16ELi32ELi8ELc67ELc84ELc76ELb0ELb0EddPKPKdPKPdEviT_T9_T10_S7_lS9_S7_lS8_T11_S7_li, .Lfunc_end502-_ZL29rocblas_internal_gemmt_kernelIlLi16ELi32ELi8ELc67ELc84ELc76ELb0ELb0EddPKPKdPKPdEviT_T9_T10_S7_lS9_S7_lS8_T11_S7_li
                                        ; -- End function
	.set _ZL29rocblas_internal_gemmt_kernelIlLi16ELi32ELi8ELc67ELc84ELc76ELb0ELb0EddPKPKdPKPdEviT_T9_T10_S7_lS9_S7_lS8_T11_S7_li.num_vgpr, 46
	.set _ZL29rocblas_internal_gemmt_kernelIlLi16ELi32ELi8ELc67ELc84ELc76ELb0ELb0EddPKPKdPKPdEviT_T9_T10_S7_lS9_S7_lS8_T11_S7_li.num_agpr, 0
	.set _ZL29rocblas_internal_gemmt_kernelIlLi16ELi32ELi8ELc67ELc84ELc76ELb0ELb0EddPKPKdPKPdEviT_T9_T10_S7_lS9_S7_lS8_T11_S7_li.numbered_sgpr, 44
	.set _ZL29rocblas_internal_gemmt_kernelIlLi16ELi32ELi8ELc67ELc84ELc76ELb0ELb0EddPKPKdPKPdEviT_T9_T10_S7_lS9_S7_lS8_T11_S7_li.num_named_barrier, 0
	.set _ZL29rocblas_internal_gemmt_kernelIlLi16ELi32ELi8ELc67ELc84ELc76ELb0ELb0EddPKPKdPKPdEviT_T9_T10_S7_lS9_S7_lS8_T11_S7_li.private_seg_size, 0
	.set _ZL29rocblas_internal_gemmt_kernelIlLi16ELi32ELi8ELc67ELc84ELc76ELb0ELb0EddPKPKdPKPdEviT_T9_T10_S7_lS9_S7_lS8_T11_S7_li.uses_vcc, 1
	.set _ZL29rocblas_internal_gemmt_kernelIlLi16ELi32ELi8ELc67ELc84ELc76ELb0ELb0EddPKPKdPKPdEviT_T9_T10_S7_lS9_S7_lS8_T11_S7_li.uses_flat_scratch, 0
	.set _ZL29rocblas_internal_gemmt_kernelIlLi16ELi32ELi8ELc67ELc84ELc76ELb0ELb0EddPKPKdPKPdEviT_T9_T10_S7_lS9_S7_lS8_T11_S7_li.has_dyn_sized_stack, 0
	.set _ZL29rocblas_internal_gemmt_kernelIlLi16ELi32ELi8ELc67ELc84ELc76ELb0ELb0EddPKPKdPKPdEviT_T9_T10_S7_lS9_S7_lS8_T11_S7_li.has_recursion, 0
	.set _ZL29rocblas_internal_gemmt_kernelIlLi16ELi32ELi8ELc67ELc84ELc76ELb0ELb0EddPKPKdPKPdEviT_T9_T10_S7_lS9_S7_lS8_T11_S7_li.has_indirect_call, 0
	.section	.AMDGPU.csdata,"",@progbits
; Kernel info:
; codeLenInByte = 1664
; TotalNumSgprs: 46
; NumVgprs: 46
; ScratchSize: 0
; MemoryBound: 0
; FloatMode: 240
; IeeeMode: 1
; LDSByteSize: 4096 bytes/workgroup (compile time only)
; SGPRBlocks: 0
; VGPRBlocks: 5
; NumSGPRsForWavesPerEU: 46
; NumVGPRsForWavesPerEU: 46
; Occupancy: 16
; WaveLimiterHint : 1
; COMPUTE_PGM_RSRC2:SCRATCH_EN: 0
; COMPUTE_PGM_RSRC2:USER_SGPR: 6
; COMPUTE_PGM_RSRC2:TRAP_HANDLER: 0
; COMPUTE_PGM_RSRC2:TGID_X_EN: 1
; COMPUTE_PGM_RSRC2:TGID_Y_EN: 1
; COMPUTE_PGM_RSRC2:TGID_Z_EN: 1
; COMPUTE_PGM_RSRC2:TIDIG_COMP_CNT: 1
	.section	.text._ZL29rocblas_internal_gemmt_kernelIlLi16ELi32ELi8ELc67ELc67ELc76ELb0ELb0EddPKPKdPKPdEviT_T9_T10_S7_lS9_S7_lS8_T11_S7_li,"axG",@progbits,_ZL29rocblas_internal_gemmt_kernelIlLi16ELi32ELi8ELc67ELc67ELc76ELb0ELb0EddPKPKdPKPdEviT_T9_T10_S7_lS9_S7_lS8_T11_S7_li,comdat
	.globl	_ZL29rocblas_internal_gemmt_kernelIlLi16ELi32ELi8ELc67ELc67ELc76ELb0ELb0EddPKPKdPKPdEviT_T9_T10_S7_lS9_S7_lS8_T11_S7_li ; -- Begin function _ZL29rocblas_internal_gemmt_kernelIlLi16ELi32ELi8ELc67ELc67ELc76ELb0ELb0EddPKPKdPKPdEviT_T9_T10_S7_lS9_S7_lS8_T11_S7_li
	.p2align	8
	.type	_ZL29rocblas_internal_gemmt_kernelIlLi16ELi32ELi8ELc67ELc67ELc76ELb0ELb0EddPKPKdPKPdEviT_T9_T10_S7_lS9_S7_lS8_T11_S7_li,@function
_ZL29rocblas_internal_gemmt_kernelIlLi16ELi32ELi8ELc67ELc67ELc76ELb0ELb0EddPKPKdPKPdEviT_T9_T10_S7_lS9_S7_lS8_T11_S7_li: ; @_ZL29rocblas_internal_gemmt_kernelIlLi16ELi32ELi8ELc67ELc67ELc76ELb0ELb0EddPKPKdPKPdEviT_T9_T10_S7_lS9_S7_lS8_T11_S7_li
; %bb.0:
	s_clause 0x1
	s_load_dwordx8 s[36:43], s[4:5], 0x48
	s_load_dwordx16 s[12:27], s[4:5], 0x8
	s_waitcnt lgkmcnt(0)
	v_cmp_neq_f64_e64 s0, s[36:37], 1.0
	s_and_b32 vcc_lo, exec_lo, s0
	s_cbranch_vccnz .LBB503_2
; %bb.1:
	v_cmp_neq_f64_e64 s0, s[14:15], 0
	s_cmp_lg_u64 s[12:13], 0
	s_cselect_b32 s1, -1, 0
	s_and_b32 s0, s1, s0
.LBB503_2:
	s_andn2_b32 vcc_lo, exec_lo, s0
	s_cbranch_vccnz .LBB503_28
; %bb.3:
	v_cmp_eq_f64_e64 s10, s[14:15], 0
	s_mov_b32 s9, 0
	v_mov_b32_e32 v8, 0
	s_lshl_b64 s[0:1], s[8:9], 3
	v_mov_b32_e32 v6, 0
	s_add_u32 s2, s38, s0
	s_addc_u32 s3, s39, s1
	s_load_dword s8, s[4:5], 0x0
	s_load_dwordx2 s[2:3], s[2:3], 0x0
	v_cmp_lt_i64_e64 s4, s[12:13], 1
	v_mov_b32_e32 v4, 0
	v_mov_b32_e32 v2, 0
	;; [unrolled: 1-line block ×6, first 2 shown]
	s_lshl_b32 s6, s6, 5
	s_lshl_b32 s7, s7, 5
	s_or_b32 s4, s10, s4
	s_and_b32 vcc_lo, exec_lo, s4
	s_cbranch_vccnz .LBB503_12
; %bb.4:
	s_add_u32 s4, s22, s0
	s_addc_u32 s5, s23, s1
	s_lshl_b64 s[10:11], s[26:27], 3
	s_load_dwordx2 s[4:5], s[4:5], 0x0
	v_lshl_add_u32 v10, v1, 4, v0
	v_and_b32_e32 v16, 7, v0
	v_mov_b32_e32 v2, 0
	v_mov_b32_e32 v4, 0
	;; [unrolled: 1-line block ×3, first 2 shown]
	v_and_b32_e32 v11, 31, v10
	v_lshrrev_b32_e32 v14, 3, v10
	v_lshrrev_b32_e32 v19, 5, v10
	v_lshlrev_b32_e32 v20, 3, v16
	v_mov_b32_e32 v8, 0
	v_or_b32_e32 v15, s6, v11
	v_add_nc_u32_e32 v10, s7, v14
	v_lshlrev_b32_e32 v21, 3, v11
	v_lshl_or_b32 v23, v14, 6, v20
	v_lshlrev_b32_e32 v17, 3, v0
	v_mul_lo_u32 v22, s19, v15
	v_mad_u64_u32 v[12:13], null, s18, v15, 0
	v_ashrrev_i32_e32 v11, 31, v10
	s_waitcnt lgkmcnt(0)
	s_add_u32 s9, s4, s10
	s_addc_u32 s10, s5, s11
	s_add_u32 s0, s16, s0
	s_addc_u32 s1, s17, s1
	s_lshl_b64 s[4:5], s[20:21], 3
	s_load_dwordx2 s[0:1], s[0:1], 0x0
	v_lshl_or_b32 v20, v19, 8, v21
	v_add_nc_u32_e32 v21, 0x800, v23
	v_lshl_add_u32 v18, v1, 6, 0x800
	v_mov_b32_e32 v3, 0
	v_mov_b32_e32 v5, 0
	;; [unrolled: 1-line block ×4, first 2 shown]
	s_waitcnt lgkmcnt(0)
	s_add_u32 s4, s0, s4
	s_addc_u32 s5, s1, s5
	s_ashr_i32 s0, s6, 31
	s_mul_i32 s1, s18, s0
	v_cmp_gt_i32_e64 s0, s8, v15
	v_add3_u32 v13, v13, s1, v22
	v_lshlrev_b64 v[14:15], 3, v[10:11]
	v_cmp_gt_i32_e64 s1, s8, v10
	v_lshlrev_b64 v[10:11], 3, v[12:13]
	v_add_co_u32 v22, vcc_lo, s9, v14
	v_add_co_ci_u32_e64 v23, null, s10, v15, vcc_lo
	v_add_co_u32 v24, vcc_lo, s4, v10
	v_add_co_ci_u32_e64 v25, null, s5, v11, vcc_lo
	v_mov_b32_e32 v11, 0
	s_mov_b64 s[4:5], 0
	s_branch .LBB503_6
.LBB503_5:                              ;   in Loop: Header=BB503_6 Depth=1
	s_or_b32 exec_lo, exec_lo, s9
	s_waitcnt vmcnt(0) lgkmcnt(0)
	ds_write_b64 v21, v[14:15]
	s_waitcnt lgkmcnt(0)
	s_barrier
	buffer_gl0_inv
	ds_read_b128 v[12:15], v18
	ds_read2_b64 v[26:29], v17 offset1:16
	ds_read_b128 v[30:33], v18 offset:1024
	ds_read_b128 v[34:37], v18 offset:16
	ds_read2_b64 v[38:41], v17 offset0:32 offset1:48
	ds_read_b128 v[42:45], v18 offset:1040
	s_add_u32 s4, s4, 8
	s_addc_u32 s5, s5, 0
	v_cmp_gt_i64_e64 s9, s[12:13], s[4:5]
	s_and_b32 vcc_lo, exec_lo, s9
	s_waitcnt lgkmcnt(4)
	v_fma_f64 v[8:9], v[26:27], v[12:13], v[8:9]
	v_fma_f64 v[6:7], v[28:29], v[12:13], v[6:7]
	s_waitcnt lgkmcnt(3)
	v_fma_f64 v[12:13], v[26:27], v[30:31], v[4:5]
	v_fma_f64 v[26:27], v[28:29], v[30:31], v[2:3]
	ds_read2_b64 v[2:5], v17 offset0:64 offset1:80
	s_waitcnt lgkmcnt(2)
	v_fma_f64 v[28:29], v[38:39], v[14:15], v[8:9]
	v_fma_f64 v[14:15], v[40:41], v[14:15], v[6:7]
	;; [unrolled: 1-line block ×4, first 2 shown]
	ds_read2_b64 v[6:9], v17 offset0:96 offset1:112
	s_waitcnt lgkmcnt(1)
	v_fma_f64 v[28:29], v[2:3], v[34:35], v[28:29]
	v_fma_f64 v[30:31], v[4:5], v[34:35], v[14:15]
	;; [unrolled: 1-line block ×4, first 2 shown]
	ds_read_b128 v[2:5], v18 offset:32
	ds_read2_b64 v[12:15], v17 offset0:128 offset1:144
	s_waitcnt lgkmcnt(2)
	v_fma_f64 v[38:39], v[6:7], v[36:37], v[28:29]
	v_fma_f64 v[40:41], v[8:9], v[36:37], v[30:31]
	;; [unrolled: 1-line block ×4, first 2 shown]
	ds_read_b128 v[6:9], v18 offset:1056
	ds_read_b128 v[26:29], v18 offset:48
	ds_read2_b64 v[30:33], v17 offset0:160 offset1:176
	ds_read_b128 v[34:37], v18 offset:1072
	s_waitcnt lgkmcnt(4)
	v_fma_f64 v[38:39], v[12:13], v[2:3], v[38:39]
	v_fma_f64 v[2:3], v[14:15], v[2:3], v[40:41]
	s_waitcnt lgkmcnt(3)
	v_fma_f64 v[40:41], v[12:13], v[6:7], v[42:43]
	v_fma_f64 v[6:7], v[14:15], v[6:7], v[44:45]
	ds_read2_b64 v[12:15], v17 offset0:192 offset1:208
	s_waitcnt lgkmcnt(2)
	v_fma_f64 v[38:39], v[30:31], v[4:5], v[38:39]
	v_fma_f64 v[2:3], v[32:33], v[4:5], v[2:3]
	;; [unrolled: 1-line block ×4, first 2 shown]
	ds_read2_b64 v[30:33], v17 offset0:224 offset1:240
	s_waitcnt lgkmcnt(0)
	s_barrier
	buffer_gl0_inv
	v_fma_f64 v[8:9], v[12:13], v[26:27], v[38:39]
	v_fma_f64 v[2:3], v[14:15], v[26:27], v[2:3]
	;; [unrolled: 1-line block ×8, first 2 shown]
	s_cbranch_vccz .LBB503_12
.LBB503_6:                              ; =>This Inner Loop Header: Depth=1
	v_mov_b32_e32 v12, 0
	v_mov_b32_e32 v13, 0
	s_and_saveexec_b32 s9, s0
	s_cbranch_execz .LBB503_10
; %bb.7:                                ;   in Loop: Header=BB503_6 Depth=1
	v_mov_b32_e32 v12, 0
	v_add_nc_u32_e32 v10, s4, v19
	v_mov_b32_e32 v13, 0
	s_mov_b32 s10, exec_lo
	v_cmpx_gt_u64_e64 s[12:13], v[10:11]
	s_cbranch_execz .LBB503_9
; %bb.8:                                ;   in Loop: Header=BB503_6 Depth=1
	v_lshlrev_b64 v[12:13], 3, v[10:11]
	v_add_co_u32 v12, vcc_lo, v24, v12
	v_add_co_ci_u32_e64 v13, null, v25, v13, vcc_lo
	flat_load_dwordx2 v[12:13], v[12:13]
.LBB503_9:                              ;   in Loop: Header=BB503_6 Depth=1
	s_or_b32 exec_lo, exec_lo, s10
.LBB503_10:                             ;   in Loop: Header=BB503_6 Depth=1
	s_or_b32 exec_lo, exec_lo, s9
	v_add_nc_u32_e32 v10, s4, v16
	v_mov_b32_e32 v14, 0
	v_mov_b32_e32 v15, 0
	s_waitcnt vmcnt(0) lgkmcnt(0)
	ds_write_b64 v20, v[12:13]
	v_cmp_gt_u64_e32 vcc_lo, s[12:13], v[10:11]
	s_and_b32 s10, vcc_lo, s1
	s_and_saveexec_b32 s9, s10
	s_cbranch_execz .LBB503_5
; %bb.11:                               ;   in Loop: Header=BB503_6 Depth=1
	v_mad_u64_u32 v[12:13], null, s24, v10, 0
	v_mad_u64_u32 v[13:14], null, s25, v10, v[13:14]
	v_lshlrev_b64 v[12:13], 3, v[12:13]
	v_add_co_u32 v12, vcc_lo, v22, v12
	v_add_co_ci_u32_e64 v13, null, v23, v13, vcc_lo
	flat_load_dwordx2 v[14:15], v[12:13]
	s_branch .LBB503_5
.LBB503_12:
	v_add_nc_u32_e32 v13, s7, v1
	s_lshl_b64 s[0:1], s[42:43], 3
	v_add_nc_u32_e32 v0, s6, v0
	s_waitcnt lgkmcnt(0)
	s_add_u32 s4, s2, s0
	v_cmp_neq_f64_e64 s2, s[36:37], 0
	v_ashrrev_i32_e32 v1, 31, v13
	v_mul_lo_u32 v12, s41, v13
	v_mad_u64_u32 v[10:11], null, s40, v13, 0
	s_addc_u32 s3, s3, s1
	v_mul_lo_u32 v1, s40, v1
	v_cmp_le_i32_e32 vcc_lo, v13, v0
	v_cmp_gt_i32_e64 s0, s8, v0
	s_and_b32 s5, vcc_lo, s0
	v_add3_u32 v11, v11, v1, v12
	v_ashrrev_i32_e32 v1, 31, v0
	v_lshlrev_b64 v[10:11], 3, v[10:11]
	v_cndmask_b32_e64 v12, 0, 1, s2
	v_add_co_u32 v14, s1, s4, v10
	v_add_co_ci_u32_e64 v15, null, s3, v11, s1
	s_and_saveexec_b32 s1, s5
	s_cbranch_execz .LBB503_16
; %bb.13:
	v_mul_f64 v[8:9], s[14:15], v[8:9]
	v_lshlrev_b64 v[10:11], 3, v[0:1]
	v_add_co_u32 v10, vcc_lo, v14, v10
	v_add_co_ci_u32_e64 v11, null, v15, v11, vcc_lo
	s_andn2_b32 vcc_lo, exec_lo, s2
	s_cbranch_vccnz .LBB503_15
; %bb.14:
	flat_load_dwordx2 v[16:17], v[10:11]
	s_waitcnt vmcnt(0) lgkmcnt(0)
	v_fma_f64 v[8:9], s[36:37], v[16:17], v[8:9]
.LBB503_15:
	flat_store_dwordx2 v[10:11], v[8:9]
.LBB503_16:
	s_or_b32 exec_lo, exec_lo, s1
	v_add_nc_u32_e32 v8, 16, v0
	v_cmp_le_i32_e32 vcc_lo, v13, v8
	v_cmp_gt_i32_e64 s1, s8, v8
	v_ashrrev_i32_e32 v9, 31, v8
	s_and_b32 s2, vcc_lo, s1
	s_and_saveexec_b32 s5, s2
	s_cbranch_execz .LBB503_20
; %bb.17:
	v_mul_f64 v[6:7], s[14:15], v[6:7]
	v_lshlrev_b64 v[10:11], 3, v[8:9]
	v_cmp_ne_u32_e32 vcc_lo, 1, v12
	v_add_co_u32 v10, s2, v14, v10
	v_add_co_ci_u32_e64 v11, null, v15, v11, s2
	s_cbranch_vccnz .LBB503_19
; %bb.18:
	flat_load_dwordx2 v[14:15], v[10:11]
	s_waitcnt vmcnt(0) lgkmcnt(0)
	v_fma_f64 v[6:7], s[36:37], v[14:15], v[6:7]
.LBB503_19:
	flat_store_dwordx2 v[10:11], v[6:7]
.LBB503_20:
	s_or_b32 exec_lo, exec_lo, s5
	v_add_nc_u32_e32 v10, 16, v13
	v_ashrrev_i32_e32 v11, 31, v10
	v_mul_lo_u32 v13, s41, v10
	v_mad_u64_u32 v[6:7], null, s40, v10, 0
	v_cmp_le_i32_e32 vcc_lo, v10, v0
	v_mul_lo_u32 v11, s40, v11
	s_and_b32 s0, vcc_lo, s0
	v_add3_u32 v7, v7, v11, v13
	v_lshlrev_b64 v[6:7], 3, v[6:7]
	v_add_co_u32 v6, s2, s4, v6
	v_add_co_ci_u32_e64 v7, null, s3, v7, s2
	s_and_saveexec_b32 s2, s0
	s_cbranch_execz .LBB503_24
; %bb.21:
	v_mul_f64 v[4:5], s[14:15], v[4:5]
	v_lshlrev_b64 v[0:1], 3, v[0:1]
	v_cmp_ne_u32_e32 vcc_lo, 1, v12
	v_add_co_u32 v0, s0, v6, v0
	v_add_co_ci_u32_e64 v1, null, v7, v1, s0
	s_cbranch_vccnz .LBB503_23
; %bb.22:
	flat_load_dwordx2 v[13:14], v[0:1]
	s_waitcnt vmcnt(0) lgkmcnt(0)
	v_fma_f64 v[4:5], s[36:37], v[13:14], v[4:5]
.LBB503_23:
	flat_store_dwordx2 v[0:1], v[4:5]
.LBB503_24:
	s_or_b32 exec_lo, exec_lo, s2
	v_cmp_le_i32_e32 vcc_lo, v10, v8
	s_and_b32 s0, vcc_lo, s1
	s_and_saveexec_b32 s1, s0
	s_cbranch_execz .LBB503_28
; %bb.25:
	v_mul_f64 v[0:1], s[14:15], v[2:3]
	v_lshlrev_b64 v[2:3], 3, v[8:9]
	v_cmp_ne_u32_e32 vcc_lo, 1, v12
	v_add_co_u32 v2, s0, v6, v2
	v_add_co_ci_u32_e64 v3, null, v7, v3, s0
	s_cbranch_vccnz .LBB503_27
; %bb.26:
	flat_load_dwordx2 v[4:5], v[2:3]
	s_waitcnt vmcnt(0) lgkmcnt(0)
	v_fma_f64 v[0:1], s[36:37], v[4:5], v[0:1]
.LBB503_27:
	flat_store_dwordx2 v[2:3], v[0:1]
.LBB503_28:
	s_endpgm
	.section	.rodata,"a",@progbits
	.p2align	6, 0x0
	.amdhsa_kernel _ZL29rocblas_internal_gemmt_kernelIlLi16ELi32ELi8ELc67ELc67ELc76ELb0ELb0EddPKPKdPKPdEviT_T9_T10_S7_lS9_S7_lS8_T11_S7_li
		.amdhsa_group_segment_fixed_size 4096
		.amdhsa_private_segment_fixed_size 0
		.amdhsa_kernarg_size 108
		.amdhsa_user_sgpr_count 6
		.amdhsa_user_sgpr_private_segment_buffer 1
		.amdhsa_user_sgpr_dispatch_ptr 0
		.amdhsa_user_sgpr_queue_ptr 0
		.amdhsa_user_sgpr_kernarg_segment_ptr 1
		.amdhsa_user_sgpr_dispatch_id 0
		.amdhsa_user_sgpr_flat_scratch_init 0
		.amdhsa_user_sgpr_private_segment_size 0
		.amdhsa_wavefront_size32 1
		.amdhsa_uses_dynamic_stack 0
		.amdhsa_system_sgpr_private_segment_wavefront_offset 0
		.amdhsa_system_sgpr_workgroup_id_x 1
		.amdhsa_system_sgpr_workgroup_id_y 1
		.amdhsa_system_sgpr_workgroup_id_z 1
		.amdhsa_system_sgpr_workgroup_info 0
		.amdhsa_system_vgpr_workitem_id 1
		.amdhsa_next_free_vgpr 46
		.amdhsa_next_free_sgpr 44
		.amdhsa_reserve_vcc 1
		.amdhsa_reserve_flat_scratch 0
		.amdhsa_float_round_mode_32 0
		.amdhsa_float_round_mode_16_64 0
		.amdhsa_float_denorm_mode_32 3
		.amdhsa_float_denorm_mode_16_64 3
		.amdhsa_dx10_clamp 1
		.amdhsa_ieee_mode 1
		.amdhsa_fp16_overflow 0
		.amdhsa_workgroup_processor_mode 1
		.amdhsa_memory_ordered 1
		.amdhsa_forward_progress 1
		.amdhsa_shared_vgpr_count 0
		.amdhsa_exception_fp_ieee_invalid_op 0
		.amdhsa_exception_fp_denorm_src 0
		.amdhsa_exception_fp_ieee_div_zero 0
		.amdhsa_exception_fp_ieee_overflow 0
		.amdhsa_exception_fp_ieee_underflow 0
		.amdhsa_exception_fp_ieee_inexact 0
		.amdhsa_exception_int_div_zero 0
	.end_amdhsa_kernel
	.section	.text._ZL29rocblas_internal_gemmt_kernelIlLi16ELi32ELi8ELc67ELc67ELc76ELb0ELb0EddPKPKdPKPdEviT_T9_T10_S7_lS9_S7_lS8_T11_S7_li,"axG",@progbits,_ZL29rocblas_internal_gemmt_kernelIlLi16ELi32ELi8ELc67ELc67ELc76ELb0ELb0EddPKPKdPKPdEviT_T9_T10_S7_lS9_S7_lS8_T11_S7_li,comdat
.Lfunc_end503:
	.size	_ZL29rocblas_internal_gemmt_kernelIlLi16ELi32ELi8ELc67ELc67ELc76ELb0ELb0EddPKPKdPKPdEviT_T9_T10_S7_lS9_S7_lS8_T11_S7_li, .Lfunc_end503-_ZL29rocblas_internal_gemmt_kernelIlLi16ELi32ELi8ELc67ELc67ELc76ELb0ELb0EddPKPKdPKPdEviT_T9_T10_S7_lS9_S7_lS8_T11_S7_li
                                        ; -- End function
	.set _ZL29rocblas_internal_gemmt_kernelIlLi16ELi32ELi8ELc67ELc67ELc76ELb0ELb0EddPKPKdPKPdEviT_T9_T10_S7_lS9_S7_lS8_T11_S7_li.num_vgpr, 46
	.set _ZL29rocblas_internal_gemmt_kernelIlLi16ELi32ELi8ELc67ELc67ELc76ELb0ELb0EddPKPKdPKPdEviT_T9_T10_S7_lS9_S7_lS8_T11_S7_li.num_agpr, 0
	.set _ZL29rocblas_internal_gemmt_kernelIlLi16ELi32ELi8ELc67ELc67ELc76ELb0ELb0EddPKPKdPKPdEviT_T9_T10_S7_lS9_S7_lS8_T11_S7_li.numbered_sgpr, 44
	.set _ZL29rocblas_internal_gemmt_kernelIlLi16ELi32ELi8ELc67ELc67ELc76ELb0ELb0EddPKPKdPKPdEviT_T9_T10_S7_lS9_S7_lS8_T11_S7_li.num_named_barrier, 0
	.set _ZL29rocblas_internal_gemmt_kernelIlLi16ELi32ELi8ELc67ELc67ELc76ELb0ELb0EddPKPKdPKPdEviT_T9_T10_S7_lS9_S7_lS8_T11_S7_li.private_seg_size, 0
	.set _ZL29rocblas_internal_gemmt_kernelIlLi16ELi32ELi8ELc67ELc67ELc76ELb0ELb0EddPKPKdPKPdEviT_T9_T10_S7_lS9_S7_lS8_T11_S7_li.uses_vcc, 1
	.set _ZL29rocblas_internal_gemmt_kernelIlLi16ELi32ELi8ELc67ELc67ELc76ELb0ELb0EddPKPKdPKPdEviT_T9_T10_S7_lS9_S7_lS8_T11_S7_li.uses_flat_scratch, 0
	.set _ZL29rocblas_internal_gemmt_kernelIlLi16ELi32ELi8ELc67ELc67ELc76ELb0ELb0EddPKPKdPKPdEviT_T9_T10_S7_lS9_S7_lS8_T11_S7_li.has_dyn_sized_stack, 0
	.set _ZL29rocblas_internal_gemmt_kernelIlLi16ELi32ELi8ELc67ELc67ELc76ELb0ELb0EddPKPKdPKPdEviT_T9_T10_S7_lS9_S7_lS8_T11_S7_li.has_recursion, 0
	.set _ZL29rocblas_internal_gemmt_kernelIlLi16ELi32ELi8ELc67ELc67ELc76ELb0ELb0EddPKPKdPKPdEviT_T9_T10_S7_lS9_S7_lS8_T11_S7_li.has_indirect_call, 0
	.section	.AMDGPU.csdata,"",@progbits
; Kernel info:
; codeLenInByte = 1664
; TotalNumSgprs: 46
; NumVgprs: 46
; ScratchSize: 0
; MemoryBound: 0
; FloatMode: 240
; IeeeMode: 1
; LDSByteSize: 4096 bytes/workgroup (compile time only)
; SGPRBlocks: 0
; VGPRBlocks: 5
; NumSGPRsForWavesPerEU: 46
; NumVGPRsForWavesPerEU: 46
; Occupancy: 16
; WaveLimiterHint : 1
; COMPUTE_PGM_RSRC2:SCRATCH_EN: 0
; COMPUTE_PGM_RSRC2:USER_SGPR: 6
; COMPUTE_PGM_RSRC2:TRAP_HANDLER: 0
; COMPUTE_PGM_RSRC2:TGID_X_EN: 1
; COMPUTE_PGM_RSRC2:TGID_Y_EN: 1
; COMPUTE_PGM_RSRC2:TGID_Z_EN: 1
; COMPUTE_PGM_RSRC2:TIDIG_COMP_CNT: 1
	.section	.text._ZL29rocblas_internal_gemmt_kernelIlLi16ELi32ELi8ELc78ELc78ELc85ELb0ELb0E19rocblas_complex_numIfEPKS1_PKS3_PKPS1_EviT_T9_T10_S9_lSB_S9_lSA_T11_S9_li,"axG",@progbits,_ZL29rocblas_internal_gemmt_kernelIlLi16ELi32ELi8ELc78ELc78ELc85ELb0ELb0E19rocblas_complex_numIfEPKS1_PKS3_PKPS1_EviT_T9_T10_S9_lSB_S9_lSA_T11_S9_li,comdat
	.globl	_ZL29rocblas_internal_gemmt_kernelIlLi16ELi32ELi8ELc78ELc78ELc85ELb0ELb0E19rocblas_complex_numIfEPKS1_PKS3_PKPS1_EviT_T9_T10_S9_lSB_S9_lSA_T11_S9_li ; -- Begin function _ZL29rocblas_internal_gemmt_kernelIlLi16ELi32ELi8ELc78ELc78ELc85ELb0ELb0E19rocblas_complex_numIfEPKS1_PKS3_PKPS1_EviT_T9_T10_S9_lSB_S9_lSA_T11_S9_li
	.p2align	8
	.type	_ZL29rocblas_internal_gemmt_kernelIlLi16ELi32ELi8ELc78ELc78ELc85ELb0ELb0E19rocblas_complex_numIfEPKS1_PKS3_PKPS1_EviT_T9_T10_S9_lSB_S9_lSA_T11_S9_li,@function
_ZL29rocblas_internal_gemmt_kernelIlLi16ELi32ELi8ELc78ELc78ELc85ELb0ELb0E19rocblas_complex_numIfEPKS1_PKS3_PKPS1_EviT_T9_T10_S9_lSB_S9_lSA_T11_S9_li: ; @_ZL29rocblas_internal_gemmt_kernelIlLi16ELi32ELi8ELc78ELc78ELc85ELb0ELb0E19rocblas_complex_numIfEPKS1_PKS3_PKPS1_EviT_T9_T10_S9_lSB_S9_lSA_T11_S9_li
; %bb.0:
	s_clause 0x1
	s_load_dwordx8 s[36:43], s[4:5], 0x48
	s_load_dwordx16 s[12:27], s[4:5], 0x8
	s_waitcnt lgkmcnt(0)
	s_load_dwordx2 s[2:3], s[36:37], 0x0
	s_load_dwordx2 s[10:11], s[14:15], 0x0
	s_waitcnt lgkmcnt(0)
	s_and_b32 s0, s3, 0x7fffffff
	v_cmp_eq_f32_e64 s1, s2, 1.0
	s_cmp_eq_u32 s0, 0
	s_mov_b32 s0, 0
	s_cselect_b32 s15, -1, 0
	s_and_b32 s1, s1, s15
	s_andn2_b32 vcc_lo, exec_lo, s1
	s_mov_b32 s1, -1
	s_cbranch_vccnz .LBB504_4
; %bb.1:
	s_cmp_lg_u64 s[12:13], 0
	s_cbranch_scc0 .LBB504_3
; %bb.2:
	v_cmp_neq_f32_e64 s0, s10, 0
	v_cmp_neq_f32_e64 s1, s11, 0
	s_or_b32 s0, s0, s1
.LBB504_3:
	s_mov_b32 s1, s0
.LBB504_4:
	s_and_b32 vcc_lo, exec_lo, s1
	s_cbranch_vccz .LBB504_34
; %bb.5:
	s_mov_b32 s9, 0
	s_load_dword s14, s[4:5], 0x0
	s_lshl_b64 s[0:1], s[8:9], 3
	v_cmp_eq_f32_e64 s8, s10, 0
	s_add_u32 s4, s38, s0
	s_addc_u32 s5, s39, s1
	v_cmp_eq_f32_e64 s9, s11, 0
	s_load_dwordx2 s[4:5], s[4:5], 0x0
	v_cmp_lt_i64_e64 s28, s[12:13], 1
	v_mov_b32_e32 v22, 0
	v_mov_b32_e32 v23, 0
	s_and_b32 s9, s8, s9
	v_mov_b32_e32 v20, 0
	v_mov_b32_e32 v21, 0
	;; [unrolled: 1-line block ×6, first 2 shown]
	s_lshl_b32 s8, s6, 5
	s_or_b32 s6, s9, s28
	s_lshl_b32 s9, s7, 5
	s_and_b32 vcc_lo, exec_lo, s6
	s_cbranch_vccnz .LBB504_18
; %bb.6:
	s_add_u32 s6, s22, s0
	s_addc_u32 s7, s23, s1
	v_lshl_add_u32 v2, v1, 4, v0
	s_load_dwordx2 s[6:7], s[6:7], 0x0
	s_lshl_b64 s[22:23], s[26:27], 3
	v_and_b32_e32 v6, 7, v0
	v_lshlrev_b32_e32 v7, 3, v0
	v_lshrrev_b32_e32 v10, 3, v2
	v_and_b32_e32 v13, 31, v2
	v_lshl_add_u32 v8, v1, 6, 0x800
	v_lshlrev_b32_e32 v20, 3, v6
	v_mov_b32_e32 v3, 0
	v_add_nc_u32_e32 v11, s9, v10
	v_or_b32_e32 v12, s8, v13
	v_mov_b32_e32 v17, 0
	v_lshl_or_b32 v20, v10, 6, v20
	v_mov_b32_e32 v16, 0
	v_ashrrev_i32_e32 v9, 31, v11
	v_mul_lo_u32 v14, s25, v11
	v_mad_u64_u32 v[4:5], null, s24, v11, 0
	s_waitcnt lgkmcnt(0)
	v_cmp_gt_i32_e32 vcc_lo, s14, v11
	v_mul_lo_u32 v15, s24, v9
	s_add_u32 s22, s6, s22
	s_addc_u32 s23, s7, s23
	s_add_u32 s0, s16, s0
	s_addc_u32 s1, s17, s1
	v_lshrrev_b32_e32 v9, 5, v2
	s_load_dwordx2 s[6:7], s[0:1], 0x0
	v_lshlrev_b32_e32 v2, 3, v13
	v_add3_u32 v5, v5, v15, v14
	v_ashrrev_i32_e32 v13, 31, v12
	v_cmp_gt_i32_e64 s0, s14, v12
	v_cmp_le_i32_e64 s16, s14, v12
	s_lshl_b64 s[20:21], s[20:21], 3
	v_lshlrev_b64 v[4:5], 3, v[4:5]
	v_lshlrev_b64 v[14:15], 3, v[12:13]
	v_mov_b32_e32 v19, 0
	v_mov_b32_e32 v18, 0
	;; [unrolled: 1-line block ×3, first 2 shown]
	v_lshl_or_b32 v10, v9, 8, v2
	v_add_co_u32 v12, s1, s22, v4
	v_add_co_ci_u32_e64 v13, null, s23, v5, s1
	v_add_nc_u32_e32 v11, 0x800, v20
	v_mov_b32_e32 v20, 0
	v_mov_b32_e32 v23, 0
	s_waitcnt lgkmcnt(0)
	s_add_u32 s1, s6, s20
	s_addc_u32 s6, s7, s21
	v_add_co_u32 v14, s1, s1, v14
	v_add_co_ci_u32_e64 v15, null, s6, v15, s1
	v_mov_b32_e32 v22, 0
	s_mov_b64 s[6:7], 0
	s_xor_b32 s1, vcc_lo, -1
                                        ; implicit-def: $vgpr4_vgpr5
	s_branch .LBB504_8
.LBB504_7:                              ;   in Loop: Header=BB504_8 Depth=1
	s_or_b32 exec_lo, exec_lo, s17
	s_waitcnt lgkmcnt(0)
	s_barrier
	buffer_gl0_inv
	ds_read_b128 v[24:27], v8
	ds_read2_b64 v[28:31], v7 offset1:16
	ds_read_b128 v[32:35], v8 offset:1024
	ds_read_b128 v[36:39], v8 offset:16
	;; [unrolled: 1-line block ×4, first 2 shown]
	ds_read2_b64 v[48:51], v7 offset0:32 offset1:48
	ds_read_b128 v[52:55], v8 offset:1040
	s_add_u32 s6, s6, 8
	s_addc_u32 s7, s7, 0
	v_cmp_gt_i64_e64 s17, s[12:13], s[6:7]
	s_and_b32 vcc_lo, exec_lo, s17
	s_waitcnt lgkmcnt(6)
	v_mul_f32_e32 v2, v25, v29
	v_mul_f32_e32 v56, v24, v29
	;; [unrolled: 1-line block ×4, first 2 shown]
	s_waitcnt lgkmcnt(5)
	v_mul_f32_e32 v59, v33, v29
	v_mul_f32_e32 v29, v32, v29
	;; [unrolled: 1-line block ×3, first 2 shown]
	v_fma_f32 v2, v24, v28, -v2
	v_fmac_f32_e32 v56, v25, v28
	v_fma_f32 v24, v24, v30, -v57
	v_fmac_f32_e32 v58, v25, v30
	v_fma_f32 v25, v32, v28, -v59
	v_fmac_f32_e32 v29, v33, v28
	v_mul_f32_e32 v31, v32, v31
	v_fma_f32 v28, v32, v30, -v60
	v_add_f32_e32 v2, v22, v2
	v_add_f32_e32 v22, v23, v56
	;; [unrolled: 1-line block ×6, first 2 shown]
	s_waitcnt lgkmcnt(1)
	v_mul_f32_e32 v32, v27, v49
	ds_read2_b64 v[18:21], v7 offset0:64 offset1:80
	v_fmac_f32_e32 v31, v33, v30
	v_add_f32_e32 v16, v16, v28
	v_mul_f32_e32 v28, v26, v49
	v_fma_f32 v30, v26, v48, -v32
	v_mul_f32_e32 v32, v27, v51
	v_add_f32_e32 v17, v17, v31
	v_mul_f32_e32 v31, v26, v51
	v_fmac_f32_e32 v28, v27, v48
	v_add_f32_e32 v2, v2, v30
	v_fma_f32 v26, v26, v50, -v32
	v_mul_f32_e32 v30, v35, v49
	v_fmac_f32_e32 v31, v27, v50
	v_add_f32_e32 v28, v22, v28
	v_mul_f32_e32 v22, v34, v49
	v_add_f32_e32 v26, v23, v26
	v_fma_f32 v23, v34, v48, -v30
	v_mul_f32_e32 v27, v35, v51
	v_add_f32_e32 v30, v24, v31
	v_fmac_f32_e32 v22, v35, v48
	v_mul_f32_e32 v31, v34, v51
	v_add_f32_e32 v32, v25, v23
	v_fma_f32 v23, v34, v50, -v27
	s_waitcnt lgkmcnt(0)
	v_mul_f32_e32 v24, v37, v19
	v_add_f32_e32 v27, v29, v22
	v_fmac_f32_e32 v31, v35, v50
	v_mul_f32_e32 v29, v36, v19
	v_add_f32_e32 v16, v16, v23
	v_fma_f32 v33, v36, v18, -v24
	v_mul_f32_e32 v34, v37, v21
	ds_read2_b64 v[22:25], v7 offset0:96 offset1:112
	v_fmac_f32_e32 v29, v37, v18
	v_add_f32_e32 v31, v17, v31
	v_add_f32_e32 v2, v2, v33
	v_mul_f32_e32 v17, v36, v21
	v_fma_f32 v33, v36, v20, -v34
	v_add_f32_e32 v28, v28, v29
	v_mul_f32_e32 v29, v53, v19
	v_mul_f32_e32 v19, v52, v19
	v_fmac_f32_e32 v17, v37, v20
	v_add_f32_e32 v26, v26, v33
	v_mul_f32_e32 v33, v53, v21
	v_mul_f32_e32 v21, v52, v21
	v_fmac_f32_e32 v19, v53, v18
	v_add_f32_e32 v30, v30, v17
	v_fma_f32 v29, v52, v18, -v29
	v_fma_f32 v17, v52, v20, -v33
	v_fmac_f32_e32 v21, v53, v20
	v_add_f32_e32 v33, v27, v19
	s_waitcnt lgkmcnt(0)
	v_mul_f32_e32 v20, v39, v23
	v_add_f32_e32 v34, v16, v17
	ds_read2_b64 v[16:19], v7 offset0:128 offset1:144
	v_add_f32_e32 v32, v32, v29
	v_mul_f32_e32 v27, v38, v23
	v_mul_f32_e32 v29, v39, v25
	v_fma_f32 v20, v38, v22, -v20
	v_add_f32_e32 v31, v31, v21
	v_mul_f32_e32 v21, v38, v25
	v_fmac_f32_e32 v27, v39, v22
	v_fma_f32 v29, v38, v24, -v29
	v_add_f32_e32 v2, v2, v20
	v_mul_f32_e32 v20, v55, v23
	v_fmac_f32_e32 v21, v39, v24
	v_add_f32_e32 v35, v28, v27
	v_add_f32_e32 v36, v26, v29
	v_mul_f32_e32 v23, v54, v23
	v_fma_f32 v20, v54, v22, -v20
	v_mul_f32_e32 v37, v55, v25
	ds_read_b128 v[26:29], v8 offset:1056
	v_add_f32_e32 v38, v30, v21
	v_fmac_f32_e32 v23, v55, v22
	v_mul_f32_e32 v25, v54, v25
	v_fma_f32 v21, v54, v24, -v37
	v_add_f32_e32 v37, v32, v20
	s_waitcnt lgkmcnt(1)
	v_mul_f32_e32 v20, v41, v17
	v_add_f32_e32 v39, v33, v23
	v_fmac_f32_e32 v25, v55, v24
	v_add_f32_e32 v24, v34, v21
	v_mul_f32_e32 v32, v41, v19
	v_fma_f32 v30, v40, v16, -v20
	ds_read2_b64 v[20:23], v7 offset0:160 offset1:176
	v_mul_f32_e32 v34, v40, v17
	v_add_f32_e32 v25, v31, v25
	v_fma_f32 v48, v40, v18, -v32
	v_mul_f32_e32 v40, v40, v19
	v_add_f32_e32 v2, v2, v30
	v_fmac_f32_e32 v34, v41, v16
	ds_read_b128 v[30:33], v8 offset:1072
	s_waitcnt lgkmcnt(2)
	v_mul_f32_e32 v49, v27, v17
	v_mul_f32_e32 v17, v26, v17
	v_fmac_f32_e32 v40, v41, v18
	v_mul_f32_e32 v41, v27, v19
	v_add_f32_e32 v34, v35, v34
	v_add_f32_e32 v35, v36, v48
	v_fma_f32 v36, v26, v16, -v49
	v_fmac_f32_e32 v17, v27, v16
	v_add_f32_e32 v38, v38, v40
	v_mul_f32_e32 v40, v26, v19
	v_fma_f32 v16, v26, v18, -v41
	v_add_f32_e32 v36, v37, v36
	v_add_f32_e32 v26, v39, v17
	s_waitcnt lgkmcnt(1)
	v_mul_f32_e32 v37, v43, v21
	v_fmac_f32_e32 v40, v27, v18
	v_add_f32_e32 v24, v24, v16
	ds_read2_b64 v[16:19], v7 offset0:192 offset1:208
	v_mul_f32_e32 v27, v42, v21
	v_fma_f32 v37, v42, v20, -v37
	v_mul_f32_e32 v39, v43, v23
	v_add_f32_e32 v40, v25, v40
	v_mul_f32_e32 v25, v42, v23
	v_fmac_f32_e32 v27, v43, v20
	v_add_f32_e32 v2, v2, v37
	v_fma_f32 v37, v42, v22, -v39
	v_fmac_f32_e32 v25, v43, v22
	v_add_f32_e32 v34, v34, v27
	v_mul_f32_e32 v27, v29, v21
	v_mul_f32_e32 v21, v28, v21
	v_add_f32_e32 v35, v35, v37
	v_mul_f32_e32 v37, v29, v23
	v_add_f32_e32 v38, v38, v25
	v_fma_f32 v27, v28, v20, -v27
	v_fmac_f32_e32 v21, v29, v20
	v_mul_f32_e32 v20, v28, v23
	v_fma_f32 v23, v28, v22, -v37
	s_waitcnt lgkmcnt(0)
	v_mul_f32_e32 v25, v45, v17
	v_add_f32_e32 v28, v36, v27
	v_add_f32_e32 v21, v26, v21
	v_fmac_f32_e32 v20, v29, v22
	v_add_f32_e32 v22, v24, v23
	v_fma_f32 v29, v44, v16, -v25
	ds_read2_b64 v[24:27], v7 offset0:224 offset1:240
	v_mul_f32_e32 v23, v44, v17
	v_mul_f32_e32 v37, v31, v17
	;; [unrolled: 1-line block ×4, first 2 shown]
	v_add_f32_e32 v2, v2, v29
	v_fmac_f32_e32 v23, v45, v16
	v_mul_f32_e32 v29, v44, v19
	v_fmac_f32_e32 v17, v31, v16
	v_fma_f32 v36, v44, v18, -v36
	v_add_f32_e32 v20, v40, v20
	v_add_f32_e32 v23, v34, v23
	v_fma_f32 v34, v30, v16, -v37
	v_mul_f32_e32 v16, v31, v19
	v_mul_f32_e32 v19, v30, v19
	v_fmac_f32_e32 v29, v45, v18
	v_add_f32_e32 v17, v21, v17
	v_add_f32_e32 v35, v35, v36
	v_fma_f32 v16, v30, v18, -v16
	v_fmac_f32_e32 v19, v31, v18
	s_waitcnt lgkmcnt(0)
	v_mul_f32_e32 v21, v47, v25
	v_mul_f32_e32 v18, v47, v27
	v_add_f32_e32 v28, v28, v34
	v_mul_f32_e32 v30, v46, v25
	v_add_f32_e32 v16, v22, v16
	v_fma_f32 v21, v46, v24, -v21
	v_fma_f32 v18, v46, v26, -v18
	v_mul_f32_e32 v31, v46, v27
	v_add_f32_e32 v34, v20, v19
	v_mul_f32_e32 v19, v32, v25
	v_add_f32_e32 v22, v2, v21
	v_add_f32_e32 v20, v35, v18
	v_mul_f32_e32 v2, v33, v25
	v_mul_f32_e32 v18, v33, v27
	;; [unrolled: 1-line block ×3, first 2 shown]
	v_add_f32_e32 v29, v38, v29
	v_fmac_f32_e32 v30, v47, v24
	v_fmac_f32_e32 v31, v47, v26
	v_fma_f32 v2, v32, v24, -v2
	v_fmac_f32_e32 v19, v33, v24
	v_fma_f32 v24, v32, v26, -v18
	v_fmac_f32_e32 v25, v33, v26
	v_add_f32_e32 v23, v23, v30
	v_add_f32_e32 v21, v29, v31
	v_add_f32_e32 v18, v28, v2
	v_add_f32_e32 v19, v17, v19
	v_add_f32_e32 v16, v16, v24
	v_add_f32_e32 v17, v34, v25
	s_barrier
	buffer_gl0_inv
	s_cbranch_vccz .LBB504_18
.LBB504_8:                              ; =>This Inner Loop Header: Depth=1
	s_mov_b32 s21, s16
	s_mov_b32 s17, 0
	s_and_saveexec_b32 s20, s0
	s_cbranch_execnz .LBB504_16
; %bb.9:                                ;   in Loop: Header=BB504_8 Depth=1
	s_or_b32 exec_lo, exec_lo, s20
	s_and_saveexec_b32 s20, s21
	s_xor_b32 s20, exec_lo, s20
	s_cbranch_execnz .LBB504_17
.LBB504_10:                             ;   in Loop: Header=BB504_8 Depth=1
	s_or_b32 exec_lo, exec_lo, s20
	s_and_saveexec_b32 s20, s17
	s_cbranch_execz .LBB504_12
.LBB504_11:                             ;   in Loop: Header=BB504_8 Depth=1
	v_mul_lo_u32 v2, s19, v4
	v_mul_lo_u32 v26, s18, v5
	v_mad_u64_u32 v[24:25], null, s18, v4, 0
	v_add3_u32 v25, v25, v26, v2
	v_lshlrev_b64 v[24:25], 3, v[24:25]
	v_add_co_u32 v24, vcc_lo, v14, v24
	v_add_co_ci_u32_e64 v25, null, v15, v25, vcc_lo
	flat_load_dwordx2 v[24:25], v[24:25]
	s_waitcnt vmcnt(0) lgkmcnt(0)
	ds_write_b64 v10, v[24:25]
.LBB504_12:                             ;   in Loop: Header=BB504_8 Depth=1
	s_or_b32 exec_lo, exec_lo, s20
	v_add_nc_u32_e32 v2, s6, v6
	v_cmp_le_u64_e32 vcc_lo, s[12:13], v[2:3]
	s_or_b32 s17, vcc_lo, s1
	s_and_saveexec_b32 s20, s17
	s_xor_b32 s17, exec_lo, s20
; %bb.13:                               ;   in Loop: Header=BB504_8 Depth=1
	v_mov_b32_e32 v2, v3
	ds_write_b64 v11, v[2:3]
; %bb.14:                               ;   in Loop: Header=BB504_8 Depth=1
	s_andn2_saveexec_b32 s17, s17
	s_cbranch_execz .LBB504_7
; %bb.15:                               ;   in Loop: Header=BB504_8 Depth=1
	v_lshlrev_b64 v[24:25], 3, v[2:3]
	v_add_co_u32 v24, vcc_lo, v12, v24
	v_add_co_ci_u32_e64 v25, null, v13, v25, vcc_lo
	flat_load_dwordx2 v[24:25], v[24:25]
	s_waitcnt vmcnt(0) lgkmcnt(0)
	ds_write_b64 v11, v[24:25]
	s_branch .LBB504_7
.LBB504_16:                             ;   in Loop: Header=BB504_8 Depth=1
	v_add_nc_u32_e32 v2, s6, v9
	v_mov_b32_e32 v5, v3
	s_andn2_b32 s21, s16, exec_lo
	s_mov_b32 s17, exec_lo
	v_cmp_le_u64_e32 vcc_lo, s[12:13], v[2:3]
	v_mov_b32_e32 v4, v2
	s_and_b32 s22, vcc_lo, exec_lo
	s_or_b32 s21, s21, s22
	s_or_b32 exec_lo, exec_lo, s20
	s_and_saveexec_b32 s20, s21
	s_xor_b32 s20, exec_lo, s20
	s_cbranch_execz .LBB504_10
.LBB504_17:                             ;   in Loop: Header=BB504_8 Depth=1
	v_mov_b32_e32 v2, v3
	s_andn2_b32 s17, s17, exec_lo
	ds_write_b64 v10, v[2:3]
	s_or_b32 exec_lo, exec_lo, s20
	s_and_saveexec_b32 s20, s17
	s_cbranch_execnz .LBB504_11
	s_branch .LBB504_12
.LBB504_18:
	v_add_nc_u32_e32 v9, s9, v1
	s_lshl_b64 s[0:1], s[42:43], 3
	v_add_nc_u32_e32 v0, s8, v0
	v_cmp_neq_f32_e64 s6, s2, 0
	s_waitcnt lgkmcnt(0)
	s_add_u32 s4, s4, s0
	v_ashrrev_i32_e32 v3, 31, v9
	v_mul_lo_u32 v4, s41, v9
	v_mad_u64_u32 v[1:2], null, s40, v9, 0
	s_addc_u32 s5, s5, s1
	v_mul_lo_u32 v3, s40, v3
	s_xor_b32 s7, s15, -1
	v_cmp_gt_i32_e64 s0, s14, v9
	v_cmp_le_i32_e32 vcc_lo, v0, v9
	s_or_b32 s6, s6, s7
	v_cndmask_b32_e64 v8, 0, 1, s6
	s_and_b32 s7, s0, vcc_lo
	v_add3_u32 v2, v2, v3, v4
	v_lshlrev_b64 v[2:3], 3, v[1:2]
	v_ashrrev_i32_e32 v1, 31, v0
	v_add_co_u32 v6, s1, s4, v2
	v_add_co_ci_u32_e64 v7, null, s5, v3, s1
	s_and_saveexec_b32 s1, s7
	s_cbranch_execz .LBB504_22
; %bb.19:
	v_lshlrev_b64 v[4:5], 3, v[0:1]
	v_mul_f32_e32 v2, s11, v23
	v_mul_f32_e32 v3, s10, v23
	v_fma_f32 v2, v22, s10, -v2
	v_add_co_u32 v4, vcc_lo, v6, v4
	v_fmac_f32_e32 v3, s11, v22
	v_add_co_ci_u32_e64 v5, null, v7, v5, vcc_lo
	s_andn2_b32 vcc_lo, exec_lo, s6
	s_cbranch_vccnz .LBB504_21
; %bb.20:
	flat_load_dwordx2 v[10:11], v[4:5]
	s_waitcnt vmcnt(0) lgkmcnt(0)
	v_mul_f32_e32 v12, s3, v11
	v_mul_f32_e32 v11, s2, v11
	v_fma_f32 v12, v10, s2, -v12
	v_fmac_f32_e32 v11, s3, v10
	v_add_f32_e32 v2, v2, v12
	v_add_f32_e32 v3, v3, v11
.LBB504_21:
	flat_store_dwordx2 v[4:5], v[2:3]
.LBB504_22:
	s_or_b32 exec_lo, exec_lo, s1
	v_add_nc_u32_e32 v2, 16, v0
	v_cmp_le_i32_e32 vcc_lo, v2, v9
	v_ashrrev_i32_e32 v3, 31, v2
	s_and_b32 s0, s0, vcc_lo
	s_and_saveexec_b32 s1, s0
	s_cbranch_execz .LBB504_26
; %bb.23:
	v_lshlrev_b64 v[10:11], 3, v[2:3]
	v_mul_f32_e32 v4, s11, v21
	v_mul_f32_e32 v5, s10, v21
	v_cmp_ne_u32_e32 vcc_lo, 1, v8
	v_fma_f32 v4, v20, s10, -v4
	v_add_co_u32 v6, s0, v6, v10
	v_fmac_f32_e32 v5, s11, v20
	v_add_co_ci_u32_e64 v7, null, v7, v11, s0
	s_cbranch_vccnz .LBB504_25
; %bb.24:
	flat_load_dwordx2 v[10:11], v[6:7]
	s_waitcnt vmcnt(0) lgkmcnt(0)
	v_mul_f32_e32 v12, s3, v11
	v_mul_f32_e32 v11, s2, v11
	v_fma_f32 v12, v10, s2, -v12
	v_fmac_f32_e32 v11, s3, v10
	v_add_f32_e32 v4, v4, v12
	v_add_f32_e32 v5, v5, v11
.LBB504_25:
	flat_store_dwordx2 v[6:7], v[4:5]
.LBB504_26:
	s_or_b32 exec_lo, exec_lo, s1
	v_add_nc_u32_e32 v9, 16, v9
	v_ashrrev_i32_e32 v6, 31, v9
	v_mul_lo_u32 v7, s41, v9
	v_mad_u64_u32 v[4:5], null, s40, v9, 0
	v_cmp_gt_i32_e64 s0, s14, v9
	v_mul_lo_u32 v6, s40, v6
	v_cmp_le_i32_e32 vcc_lo, v0, v9
	v_add3_u32 v5, v5, v6, v7
	v_lshlrev_b64 v[4:5], 3, v[4:5]
	v_add_co_u32 v6, s1, s4, v4
	v_add_co_ci_u32_e64 v7, null, s5, v5, s1
	s_and_b32 s1, s0, vcc_lo
	s_and_saveexec_b32 s4, s1
	s_cbranch_execz .LBB504_30
; %bb.27:
	v_lshlrev_b64 v[0:1], 3, v[0:1]
	v_mul_f32_e32 v4, s11, v19
	v_mul_f32_e32 v5, s10, v19
	v_cmp_ne_u32_e32 vcc_lo, 1, v8
	v_fma_f32 v4, v18, s10, -v4
	v_add_co_u32 v0, s1, v6, v0
	v_fmac_f32_e32 v5, s11, v18
	v_add_co_ci_u32_e64 v1, null, v7, v1, s1
	s_cbranch_vccnz .LBB504_29
; %bb.28:
	flat_load_dwordx2 v[10:11], v[0:1]
	s_waitcnt vmcnt(0) lgkmcnt(0)
	v_mul_f32_e32 v12, s3, v11
	v_mul_f32_e32 v11, s2, v11
	v_fma_f32 v12, v10, s2, -v12
	v_fmac_f32_e32 v11, s3, v10
	v_add_f32_e32 v4, v4, v12
	v_add_f32_e32 v5, v5, v11
.LBB504_29:
	flat_store_dwordx2 v[0:1], v[4:5]
.LBB504_30:
	s_or_b32 exec_lo, exec_lo, s4
	v_cmp_le_i32_e32 vcc_lo, v2, v9
	s_and_b32 s0, s0, vcc_lo
	s_and_saveexec_b32 s1, s0
	s_cbranch_execz .LBB504_34
; %bb.31:
	v_lshlrev_b64 v[2:3], 3, v[2:3]
	v_mul_f32_e32 v0, s11, v17
	v_mul_f32_e32 v1, s10, v17
	v_cmp_ne_u32_e32 vcc_lo, 1, v8
	v_fma_f32 v0, v16, s10, -v0
	v_add_co_u32 v2, s0, v6, v2
	v_fmac_f32_e32 v1, s11, v16
	v_add_co_ci_u32_e64 v3, null, v7, v3, s0
	s_cbranch_vccnz .LBB504_33
; %bb.32:
	flat_load_dwordx2 v[4:5], v[2:3]
	s_waitcnt vmcnt(0) lgkmcnt(0)
	v_mul_f32_e32 v6, s3, v5
	v_mul_f32_e32 v5, s2, v5
	v_fma_f32 v6, v4, s2, -v6
	v_fmac_f32_e32 v5, s3, v4
	v_add_f32_e32 v0, v0, v6
	v_add_f32_e32 v1, v1, v5
.LBB504_33:
	flat_store_dwordx2 v[2:3], v[0:1]
.LBB504_34:
	s_endpgm
	.section	.rodata,"a",@progbits
	.p2align	6, 0x0
	.amdhsa_kernel _ZL29rocblas_internal_gemmt_kernelIlLi16ELi32ELi8ELc78ELc78ELc85ELb0ELb0E19rocblas_complex_numIfEPKS1_PKS3_PKPS1_EviT_T9_T10_S9_lSB_S9_lSA_T11_S9_li
		.amdhsa_group_segment_fixed_size 4096
		.amdhsa_private_segment_fixed_size 0
		.amdhsa_kernarg_size 108
		.amdhsa_user_sgpr_count 6
		.amdhsa_user_sgpr_private_segment_buffer 1
		.amdhsa_user_sgpr_dispatch_ptr 0
		.amdhsa_user_sgpr_queue_ptr 0
		.amdhsa_user_sgpr_kernarg_segment_ptr 1
		.amdhsa_user_sgpr_dispatch_id 0
		.amdhsa_user_sgpr_flat_scratch_init 0
		.amdhsa_user_sgpr_private_segment_size 0
		.amdhsa_wavefront_size32 1
		.amdhsa_uses_dynamic_stack 0
		.amdhsa_system_sgpr_private_segment_wavefront_offset 0
		.amdhsa_system_sgpr_workgroup_id_x 1
		.amdhsa_system_sgpr_workgroup_id_y 1
		.amdhsa_system_sgpr_workgroup_id_z 1
		.amdhsa_system_sgpr_workgroup_info 0
		.amdhsa_system_vgpr_workitem_id 1
		.amdhsa_next_free_vgpr 61
		.amdhsa_next_free_sgpr 44
		.amdhsa_reserve_vcc 1
		.amdhsa_reserve_flat_scratch 0
		.amdhsa_float_round_mode_32 0
		.amdhsa_float_round_mode_16_64 0
		.amdhsa_float_denorm_mode_32 3
		.amdhsa_float_denorm_mode_16_64 3
		.amdhsa_dx10_clamp 1
		.amdhsa_ieee_mode 1
		.amdhsa_fp16_overflow 0
		.amdhsa_workgroup_processor_mode 1
		.amdhsa_memory_ordered 1
		.amdhsa_forward_progress 1
		.amdhsa_shared_vgpr_count 0
		.amdhsa_exception_fp_ieee_invalid_op 0
		.amdhsa_exception_fp_denorm_src 0
		.amdhsa_exception_fp_ieee_div_zero 0
		.amdhsa_exception_fp_ieee_overflow 0
		.amdhsa_exception_fp_ieee_underflow 0
		.amdhsa_exception_fp_ieee_inexact 0
		.amdhsa_exception_int_div_zero 0
	.end_amdhsa_kernel
	.section	.text._ZL29rocblas_internal_gemmt_kernelIlLi16ELi32ELi8ELc78ELc78ELc85ELb0ELb0E19rocblas_complex_numIfEPKS1_PKS3_PKPS1_EviT_T9_T10_S9_lSB_S9_lSA_T11_S9_li,"axG",@progbits,_ZL29rocblas_internal_gemmt_kernelIlLi16ELi32ELi8ELc78ELc78ELc85ELb0ELb0E19rocblas_complex_numIfEPKS1_PKS3_PKPS1_EviT_T9_T10_S9_lSB_S9_lSA_T11_S9_li,comdat
.Lfunc_end504:
	.size	_ZL29rocblas_internal_gemmt_kernelIlLi16ELi32ELi8ELc78ELc78ELc85ELb0ELb0E19rocblas_complex_numIfEPKS1_PKS3_PKPS1_EviT_T9_T10_S9_lSB_S9_lSA_T11_S9_li, .Lfunc_end504-_ZL29rocblas_internal_gemmt_kernelIlLi16ELi32ELi8ELc78ELc78ELc85ELb0ELb0E19rocblas_complex_numIfEPKS1_PKS3_PKPS1_EviT_T9_T10_S9_lSB_S9_lSA_T11_S9_li
                                        ; -- End function
	.set _ZL29rocblas_internal_gemmt_kernelIlLi16ELi32ELi8ELc78ELc78ELc85ELb0ELb0E19rocblas_complex_numIfEPKS1_PKS3_PKPS1_EviT_T9_T10_S9_lSB_S9_lSA_T11_S9_li.num_vgpr, 61
	.set _ZL29rocblas_internal_gemmt_kernelIlLi16ELi32ELi8ELc78ELc78ELc85ELb0ELb0E19rocblas_complex_numIfEPKS1_PKS3_PKPS1_EviT_T9_T10_S9_lSB_S9_lSA_T11_S9_li.num_agpr, 0
	.set _ZL29rocblas_internal_gemmt_kernelIlLi16ELi32ELi8ELc78ELc78ELc85ELb0ELb0E19rocblas_complex_numIfEPKS1_PKS3_PKPS1_EviT_T9_T10_S9_lSB_S9_lSA_T11_S9_li.numbered_sgpr, 44
	.set _ZL29rocblas_internal_gemmt_kernelIlLi16ELi32ELi8ELc78ELc78ELc85ELb0ELb0E19rocblas_complex_numIfEPKS1_PKS3_PKPS1_EviT_T9_T10_S9_lSB_S9_lSA_T11_S9_li.num_named_barrier, 0
	.set _ZL29rocblas_internal_gemmt_kernelIlLi16ELi32ELi8ELc78ELc78ELc85ELb0ELb0E19rocblas_complex_numIfEPKS1_PKS3_PKPS1_EviT_T9_T10_S9_lSB_S9_lSA_T11_S9_li.private_seg_size, 0
	.set _ZL29rocblas_internal_gemmt_kernelIlLi16ELi32ELi8ELc78ELc78ELc85ELb0ELb0E19rocblas_complex_numIfEPKS1_PKS3_PKPS1_EviT_T9_T10_S9_lSB_S9_lSA_T11_S9_li.uses_vcc, 1
	.set _ZL29rocblas_internal_gemmt_kernelIlLi16ELi32ELi8ELc78ELc78ELc85ELb0ELb0E19rocblas_complex_numIfEPKS1_PKS3_PKPS1_EviT_T9_T10_S9_lSB_S9_lSA_T11_S9_li.uses_flat_scratch, 0
	.set _ZL29rocblas_internal_gemmt_kernelIlLi16ELi32ELi8ELc78ELc78ELc85ELb0ELb0E19rocblas_complex_numIfEPKS1_PKS3_PKPS1_EviT_T9_T10_S9_lSB_S9_lSA_T11_S9_li.has_dyn_sized_stack, 0
	.set _ZL29rocblas_internal_gemmt_kernelIlLi16ELi32ELi8ELc78ELc78ELc85ELb0ELb0E19rocblas_complex_numIfEPKS1_PKS3_PKPS1_EviT_T9_T10_S9_lSB_S9_lSA_T11_S9_li.has_recursion, 0
	.set _ZL29rocblas_internal_gemmt_kernelIlLi16ELi32ELi8ELc78ELc78ELc85ELb0ELb0E19rocblas_complex_numIfEPKS1_PKS3_PKPS1_EviT_T9_T10_S9_lSB_S9_lSA_T11_S9_li.has_indirect_call, 0
	.section	.AMDGPU.csdata,"",@progbits
; Kernel info:
; codeLenInByte = 2632
; TotalNumSgprs: 46
; NumVgprs: 61
; ScratchSize: 0
; MemoryBound: 0
; FloatMode: 240
; IeeeMode: 1
; LDSByteSize: 4096 bytes/workgroup (compile time only)
; SGPRBlocks: 0
; VGPRBlocks: 7
; NumSGPRsForWavesPerEU: 46
; NumVGPRsForWavesPerEU: 61
; Occupancy: 16
; WaveLimiterHint : 1
; COMPUTE_PGM_RSRC2:SCRATCH_EN: 0
; COMPUTE_PGM_RSRC2:USER_SGPR: 6
; COMPUTE_PGM_RSRC2:TRAP_HANDLER: 0
; COMPUTE_PGM_RSRC2:TGID_X_EN: 1
; COMPUTE_PGM_RSRC2:TGID_Y_EN: 1
; COMPUTE_PGM_RSRC2:TGID_Z_EN: 1
; COMPUTE_PGM_RSRC2:TIDIG_COMP_CNT: 1
	.section	.text._ZL29rocblas_internal_gemmt_kernelIlLi16ELi32ELi8ELc78ELc84ELc85ELb0ELb0E19rocblas_complex_numIfEPKS1_PKS3_PKPS1_EviT_T9_T10_S9_lSB_S9_lSA_T11_S9_li,"axG",@progbits,_ZL29rocblas_internal_gemmt_kernelIlLi16ELi32ELi8ELc78ELc84ELc85ELb0ELb0E19rocblas_complex_numIfEPKS1_PKS3_PKPS1_EviT_T9_T10_S9_lSB_S9_lSA_T11_S9_li,comdat
	.globl	_ZL29rocblas_internal_gemmt_kernelIlLi16ELi32ELi8ELc78ELc84ELc85ELb0ELb0E19rocblas_complex_numIfEPKS1_PKS3_PKPS1_EviT_T9_T10_S9_lSB_S9_lSA_T11_S9_li ; -- Begin function _ZL29rocblas_internal_gemmt_kernelIlLi16ELi32ELi8ELc78ELc84ELc85ELb0ELb0E19rocblas_complex_numIfEPKS1_PKS3_PKPS1_EviT_T9_T10_S9_lSB_S9_lSA_T11_S9_li
	.p2align	8
	.type	_ZL29rocblas_internal_gemmt_kernelIlLi16ELi32ELi8ELc78ELc84ELc85ELb0ELb0E19rocblas_complex_numIfEPKS1_PKS3_PKPS1_EviT_T9_T10_S9_lSB_S9_lSA_T11_S9_li,@function
_ZL29rocblas_internal_gemmt_kernelIlLi16ELi32ELi8ELc78ELc84ELc85ELb0ELb0E19rocblas_complex_numIfEPKS1_PKS3_PKPS1_EviT_T9_T10_S9_lSB_S9_lSA_T11_S9_li: ; @_ZL29rocblas_internal_gemmt_kernelIlLi16ELi32ELi8ELc78ELc84ELc85ELb0ELb0E19rocblas_complex_numIfEPKS1_PKS3_PKPS1_EviT_T9_T10_S9_lSB_S9_lSA_T11_S9_li
; %bb.0:
	s_clause 0x1
	s_load_dwordx8 s[36:43], s[4:5], 0x48
	s_load_dwordx16 s[12:27], s[4:5], 0x8
	s_waitcnt lgkmcnt(0)
	s_load_dwordx2 s[2:3], s[36:37], 0x0
	s_load_dwordx2 s[10:11], s[14:15], 0x0
	s_waitcnt lgkmcnt(0)
	s_and_b32 s0, s3, 0x7fffffff
	v_cmp_eq_f32_e64 s1, s2, 1.0
	s_cmp_eq_u32 s0, 0
	s_mov_b32 s0, 0
	s_cselect_b32 s15, -1, 0
	s_and_b32 s1, s1, s15
	s_andn2_b32 vcc_lo, exec_lo, s1
	s_mov_b32 s1, -1
	s_cbranch_vccnz .LBB505_4
; %bb.1:
	s_cmp_lg_u64 s[12:13], 0
	s_cbranch_scc0 .LBB505_3
; %bb.2:
	v_cmp_neq_f32_e64 s0, s10, 0
	v_cmp_neq_f32_e64 s1, s11, 0
	s_or_b32 s0, s0, s1
.LBB505_3:
	s_mov_b32 s1, s0
.LBB505_4:
	s_and_b32 vcc_lo, exec_lo, s1
	s_cbranch_vccz .LBB505_34
; %bb.5:
	s_mov_b32 s9, 0
	s_load_dword s14, s[4:5], 0x0
	s_lshl_b64 s[0:1], s[8:9], 3
	v_cmp_eq_f32_e64 s8, s10, 0
	s_add_u32 s4, s38, s0
	s_addc_u32 s5, s39, s1
	v_cmp_eq_f32_e64 s9, s11, 0
	s_load_dwordx2 s[4:5], s[4:5], 0x0
	v_cmp_lt_i64_e64 s28, s[12:13], 1
	v_mov_b32_e32 v23, 0
	v_mov_b32_e32 v22, 0
	s_and_b32 s9, s8, s9
	v_mov_b32_e32 v20, 0
	v_mov_b32_e32 v21, 0
	;; [unrolled: 1-line block ×6, first 2 shown]
	s_lshl_b32 s8, s6, 5
	s_or_b32 s6, s9, s28
	s_lshl_b32 s9, s7, 5
	s_and_b32 vcc_lo, exec_lo, s6
	s_cbranch_vccnz .LBB505_18
; %bb.6:
	s_add_u32 s6, s22, s0
	s_addc_u32 s7, s23, s1
	v_lshl_add_u32 v2, v1, 4, v0
	s_load_dwordx2 s[6:7], s[6:7], 0x0
	s_lshl_b64 s[22:23], s[26:27], 3
	v_and_b32_e32 v6, 7, v0
	v_lshlrev_b32_e32 v7, 3, v0
	v_lshrrev_b32_e32 v5, 3, v2
	v_and_b32_e32 v10, 31, v2
	v_lshrrev_b32_e32 v9, 5, v2
	v_lshlrev_b32_e32 v11, 3, v6
	v_lshl_add_u32 v8, v1, 6, 0x800
	v_add_nc_u32_e32 v4, s9, v5
	v_or_b32_e32 v12, s8, v10
	v_lshlrev_b32_e32 v2, 3, v10
	v_lshl_or_b32 v11, v5, 6, v11
	v_mov_b32_e32 v3, 0
	v_ashrrev_i32_e32 v5, 31, v4
	v_ashrrev_i32_e32 v13, 31, v12
	s_waitcnt lgkmcnt(0)
	v_cmp_gt_i32_e32 vcc_lo, s14, v4
	v_mov_b32_e32 v17, 0
	v_mov_b32_e32 v16, 0
	v_lshlrev_b64 v[14:15], 3, v[4:5]
	s_add_u32 s22, s6, s22
	s_addc_u32 s23, s7, s23
	s_add_u32 s0, s16, s0
	s_addc_u32 s1, s17, s1
	v_lshlrev_b64 v[4:5], 3, v[12:13]
	s_load_dwordx2 s[6:7], s[0:1], 0x0
	v_cmp_gt_i32_e64 s0, s14, v12
	v_cmp_le_i32_e64 s16, s14, v12
	s_lshl_b64 s[20:21], s[20:21], 3
	v_add_co_u32 v12, s1, s22, v14
	v_add_co_ci_u32_e64 v13, null, s23, v15, s1
	v_mov_b32_e32 v19, 0
	v_mov_b32_e32 v18, 0
	;; [unrolled: 1-line block ×5, first 2 shown]
	v_lshl_or_b32 v10, v9, 8, v2
	v_add_nc_u32_e32 v11, 0x800, v11
	v_mov_b32_e32 v23, 0
	s_waitcnt lgkmcnt(0)
	s_add_u32 s1, s6, s20
	s_addc_u32 s6, s7, s21
	v_add_co_u32 v14, s1, s1, v4
	v_add_co_ci_u32_e64 v15, null, s6, v5, s1
	s_mov_b64 s[6:7], 0
	s_xor_b32 s1, vcc_lo, -1
                                        ; implicit-def: $vgpr4_vgpr5
	s_branch .LBB505_8
.LBB505_7:                              ;   in Loop: Header=BB505_8 Depth=1
	s_or_b32 exec_lo, exec_lo, s17
	s_waitcnt lgkmcnt(0)
	s_barrier
	buffer_gl0_inv
	ds_read_b128 v[24:27], v8
	ds_read2_b64 v[28:31], v7 offset1:16
	ds_read_b128 v[32:35], v8 offset:1024
	ds_read_b128 v[36:39], v8 offset:16
	;; [unrolled: 1-line block ×4, first 2 shown]
	ds_read2_b64 v[48:51], v7 offset0:32 offset1:48
	ds_read_b128 v[52:55], v8 offset:1040
	s_add_u32 s6, s6, 8
	s_addc_u32 s7, s7, 0
	v_cmp_gt_i64_e64 s17, s[12:13], s[6:7]
	s_and_b32 vcc_lo, exec_lo, s17
	s_waitcnt lgkmcnt(6)
	v_mul_f32_e32 v2, v25, v29
	v_mul_f32_e32 v56, v24, v29
	;; [unrolled: 1-line block ×4, first 2 shown]
	s_waitcnt lgkmcnt(5)
	v_mul_f32_e32 v59, v33, v29
	v_mul_f32_e32 v29, v32, v29
	;; [unrolled: 1-line block ×3, first 2 shown]
	v_fma_f32 v2, v24, v28, -v2
	v_fmac_f32_e32 v56, v25, v28
	v_fma_f32 v24, v24, v30, -v57
	v_fmac_f32_e32 v58, v25, v30
	v_fma_f32 v25, v32, v28, -v59
	v_fmac_f32_e32 v29, v33, v28
	v_mul_f32_e32 v31, v32, v31
	v_fma_f32 v28, v32, v30, -v60
	v_add_f32_e32 v2, v23, v2
	v_add_f32_e32 v23, v20, v24
	;; [unrolled: 1-line block ×5, first 2 shown]
	s_waitcnt lgkmcnt(1)
	v_mul_f32_e32 v32, v27, v49
	ds_read2_b64 v[18:21], v7 offset0:64 offset1:80
	v_fmac_f32_e32 v31, v33, v30
	v_add_f32_e32 v16, v16, v28
	v_mul_f32_e32 v28, v26, v49
	v_fma_f32 v30, v26, v48, -v32
	v_mul_f32_e32 v32, v27, v51
	v_add_f32_e32 v22, v22, v56
	v_add_f32_e32 v17, v17, v31
	v_fmac_f32_e32 v28, v27, v48
	v_mul_f32_e32 v31, v26, v51
	v_add_f32_e32 v2, v2, v30
	v_fma_f32 v26, v26, v50, -v32
	v_mul_f32_e32 v30, v35, v49
	v_add_f32_e32 v28, v22, v28
	v_fmac_f32_e32 v31, v27, v50
	v_mul_f32_e32 v22, v34, v49
	v_add_f32_e32 v26, v23, v26
	v_fma_f32 v23, v34, v48, -v30
	v_mul_f32_e32 v27, v35, v51
	v_add_f32_e32 v30, v24, v31
	v_fmac_f32_e32 v22, v35, v48
	v_mul_f32_e32 v31, v34, v51
	v_add_f32_e32 v32, v25, v23
	v_fma_f32 v23, v34, v50, -v27
	s_waitcnt lgkmcnt(0)
	v_mul_f32_e32 v24, v37, v19
	v_add_f32_e32 v27, v29, v22
	v_fmac_f32_e32 v31, v35, v50
	v_mul_f32_e32 v29, v36, v19
	v_add_f32_e32 v16, v16, v23
	v_fma_f32 v33, v36, v18, -v24
	v_mul_f32_e32 v34, v37, v21
	ds_read2_b64 v[22:25], v7 offset0:96 offset1:112
	v_fmac_f32_e32 v29, v37, v18
	v_add_f32_e32 v31, v17, v31
	v_add_f32_e32 v2, v2, v33
	v_mul_f32_e32 v17, v36, v21
	v_fma_f32 v33, v36, v20, -v34
	v_add_f32_e32 v28, v28, v29
	v_mul_f32_e32 v29, v53, v19
	v_mul_f32_e32 v19, v52, v19
	v_fmac_f32_e32 v17, v37, v20
	v_add_f32_e32 v26, v26, v33
	v_mul_f32_e32 v33, v53, v21
	v_mul_f32_e32 v21, v52, v21
	v_fmac_f32_e32 v19, v53, v18
	v_add_f32_e32 v30, v30, v17
	v_fma_f32 v29, v52, v18, -v29
	v_fma_f32 v17, v52, v20, -v33
	v_fmac_f32_e32 v21, v53, v20
	v_add_f32_e32 v33, v27, v19
	s_waitcnt lgkmcnt(0)
	v_mul_f32_e32 v20, v39, v23
	v_add_f32_e32 v34, v16, v17
	ds_read2_b64 v[16:19], v7 offset0:128 offset1:144
	v_add_f32_e32 v32, v32, v29
	v_mul_f32_e32 v27, v38, v23
	v_mul_f32_e32 v29, v39, v25
	v_fma_f32 v20, v38, v22, -v20
	v_add_f32_e32 v31, v31, v21
	v_mul_f32_e32 v21, v38, v25
	v_fmac_f32_e32 v27, v39, v22
	v_fma_f32 v29, v38, v24, -v29
	v_add_f32_e32 v2, v2, v20
	v_mul_f32_e32 v20, v55, v23
	v_fmac_f32_e32 v21, v39, v24
	v_add_f32_e32 v35, v28, v27
	v_add_f32_e32 v36, v26, v29
	v_mul_f32_e32 v23, v54, v23
	v_fma_f32 v20, v54, v22, -v20
	v_mul_f32_e32 v37, v55, v25
	ds_read_b128 v[26:29], v8 offset:1056
	v_add_f32_e32 v38, v30, v21
	v_fmac_f32_e32 v23, v55, v22
	v_mul_f32_e32 v25, v54, v25
	v_fma_f32 v21, v54, v24, -v37
	v_add_f32_e32 v37, v32, v20
	s_waitcnt lgkmcnt(1)
	v_mul_f32_e32 v20, v41, v17
	v_add_f32_e32 v39, v33, v23
	v_fmac_f32_e32 v25, v55, v24
	v_add_f32_e32 v24, v34, v21
	v_mul_f32_e32 v32, v41, v19
	v_fma_f32 v30, v40, v16, -v20
	ds_read2_b64 v[20:23], v7 offset0:160 offset1:176
	v_mul_f32_e32 v34, v40, v17
	v_add_f32_e32 v25, v31, v25
	v_fma_f32 v48, v40, v18, -v32
	v_mul_f32_e32 v40, v40, v19
	v_add_f32_e32 v2, v2, v30
	v_fmac_f32_e32 v34, v41, v16
	ds_read_b128 v[30:33], v8 offset:1072
	s_waitcnt lgkmcnt(2)
	v_mul_f32_e32 v49, v27, v17
	v_mul_f32_e32 v17, v26, v17
	v_fmac_f32_e32 v40, v41, v18
	v_mul_f32_e32 v41, v27, v19
	v_add_f32_e32 v34, v35, v34
	v_add_f32_e32 v35, v36, v48
	v_fma_f32 v36, v26, v16, -v49
	v_fmac_f32_e32 v17, v27, v16
	v_add_f32_e32 v38, v38, v40
	v_mul_f32_e32 v40, v26, v19
	v_fma_f32 v16, v26, v18, -v41
	v_add_f32_e32 v36, v37, v36
	v_add_f32_e32 v26, v39, v17
	s_waitcnt lgkmcnt(1)
	v_mul_f32_e32 v37, v43, v21
	v_fmac_f32_e32 v40, v27, v18
	v_add_f32_e32 v24, v24, v16
	ds_read2_b64 v[16:19], v7 offset0:192 offset1:208
	v_mul_f32_e32 v27, v42, v21
	v_fma_f32 v37, v42, v20, -v37
	v_mul_f32_e32 v39, v43, v23
	v_add_f32_e32 v40, v25, v40
	v_mul_f32_e32 v25, v42, v23
	v_fmac_f32_e32 v27, v43, v20
	v_add_f32_e32 v2, v2, v37
	v_fma_f32 v37, v42, v22, -v39
	v_fmac_f32_e32 v25, v43, v22
	v_add_f32_e32 v34, v34, v27
	v_mul_f32_e32 v27, v29, v21
	v_mul_f32_e32 v21, v28, v21
	v_add_f32_e32 v35, v35, v37
	v_mul_f32_e32 v37, v29, v23
	v_add_f32_e32 v38, v38, v25
	v_fma_f32 v27, v28, v20, -v27
	v_fmac_f32_e32 v21, v29, v20
	v_mul_f32_e32 v20, v28, v23
	v_fma_f32 v23, v28, v22, -v37
	s_waitcnt lgkmcnt(0)
	v_mul_f32_e32 v25, v45, v17
	v_add_f32_e32 v28, v36, v27
	v_add_f32_e32 v21, v26, v21
	v_fmac_f32_e32 v20, v29, v22
	v_add_f32_e32 v22, v24, v23
	v_fma_f32 v29, v44, v16, -v25
	ds_read2_b64 v[24:27], v7 offset0:224 offset1:240
	v_mul_f32_e32 v23, v44, v17
	v_mul_f32_e32 v37, v31, v17
	;; [unrolled: 1-line block ×4, first 2 shown]
	v_add_f32_e32 v2, v2, v29
	v_fmac_f32_e32 v23, v45, v16
	v_mul_f32_e32 v29, v44, v19
	v_fmac_f32_e32 v17, v31, v16
	v_fma_f32 v36, v44, v18, -v36
	v_add_f32_e32 v20, v40, v20
	v_add_f32_e32 v34, v34, v23
	v_fma_f32 v23, v30, v16, -v37
	v_mul_f32_e32 v16, v31, v19
	v_mul_f32_e32 v19, v30, v19
	v_fmac_f32_e32 v29, v45, v18
	v_add_f32_e32 v17, v21, v17
	v_add_f32_e32 v35, v35, v36
	v_fma_f32 v16, v30, v18, -v16
	v_fmac_f32_e32 v19, v31, v18
	s_waitcnt lgkmcnt(0)
	v_mul_f32_e32 v21, v47, v25
	v_mul_f32_e32 v18, v47, v27
	v_add_f32_e32 v28, v28, v23
	v_mul_f32_e32 v30, v46, v25
	v_mul_f32_e32 v31, v46, v27
	v_fma_f32 v21, v46, v24, -v21
	v_fma_f32 v18, v46, v26, -v18
	v_add_f32_e32 v36, v20, v19
	v_mul_f32_e32 v19, v32, v25
	v_add_f32_e32 v29, v38, v29
	v_add_f32_e32 v23, v2, v21
	;; [unrolled: 1-line block ×3, first 2 shown]
	v_mul_f32_e32 v2, v33, v25
	v_mul_f32_e32 v18, v33, v27
	;; [unrolled: 1-line block ×3, first 2 shown]
	v_add_f32_e32 v16, v22, v16
	v_fmac_f32_e32 v30, v47, v24
	v_fmac_f32_e32 v31, v47, v26
	v_fma_f32 v2, v32, v24, -v2
	v_fmac_f32_e32 v19, v33, v24
	v_fma_f32 v24, v32, v26, -v18
	v_fmac_f32_e32 v25, v33, v26
	v_add_f32_e32 v22, v34, v30
	v_add_f32_e32 v21, v29, v31
	;; [unrolled: 1-line block ×6, first 2 shown]
	s_barrier
	buffer_gl0_inv
	s_cbranch_vccz .LBB505_18
.LBB505_8:                              ; =>This Inner Loop Header: Depth=1
	s_mov_b32 s21, s16
	s_mov_b32 s17, 0
	s_and_saveexec_b32 s20, s0
	s_cbranch_execnz .LBB505_16
; %bb.9:                                ;   in Loop: Header=BB505_8 Depth=1
	s_or_b32 exec_lo, exec_lo, s20
	s_and_saveexec_b32 s20, s21
	s_xor_b32 s20, exec_lo, s20
	s_cbranch_execnz .LBB505_17
.LBB505_10:                             ;   in Loop: Header=BB505_8 Depth=1
	s_or_b32 exec_lo, exec_lo, s20
	s_and_saveexec_b32 s20, s17
	s_cbranch_execz .LBB505_12
.LBB505_11:                             ;   in Loop: Header=BB505_8 Depth=1
	v_mul_lo_u32 v2, s19, v4
	v_mul_lo_u32 v26, s18, v5
	v_mad_u64_u32 v[24:25], null, s18, v4, 0
	v_add3_u32 v25, v25, v26, v2
	v_lshlrev_b64 v[24:25], 3, v[24:25]
	v_add_co_u32 v24, vcc_lo, v14, v24
	v_add_co_ci_u32_e64 v25, null, v15, v25, vcc_lo
	flat_load_dwordx2 v[24:25], v[24:25]
	s_waitcnt vmcnt(0) lgkmcnt(0)
	ds_write_b64 v10, v[24:25]
.LBB505_12:                             ;   in Loop: Header=BB505_8 Depth=1
	s_or_b32 exec_lo, exec_lo, s20
	v_add_nc_u32_e32 v2, s6, v6
	v_cmp_le_u64_e32 vcc_lo, s[12:13], v[2:3]
	s_or_b32 s17, vcc_lo, s1
	s_and_saveexec_b32 s20, s17
	s_xor_b32 s17, exec_lo, s20
; %bb.13:                               ;   in Loop: Header=BB505_8 Depth=1
	v_mov_b32_e32 v2, v3
	ds_write_b64 v11, v[2:3]
; %bb.14:                               ;   in Loop: Header=BB505_8 Depth=1
	s_andn2_saveexec_b32 s17, s17
	s_cbranch_execz .LBB505_7
; %bb.15:                               ;   in Loop: Header=BB505_8 Depth=1
	v_mad_u64_u32 v[24:25], null, s24, v2, 0
	v_mad_u64_u32 v[25:26], null, s25, v2, v[25:26]
	v_lshlrev_b64 v[24:25], 3, v[24:25]
	v_add_co_u32 v24, vcc_lo, v12, v24
	v_add_co_ci_u32_e64 v25, null, v13, v25, vcc_lo
	flat_load_dwordx2 v[24:25], v[24:25]
	s_waitcnt vmcnt(0) lgkmcnt(0)
	ds_write_b64 v11, v[24:25]
	s_branch .LBB505_7
.LBB505_16:                             ;   in Loop: Header=BB505_8 Depth=1
	v_add_nc_u32_e32 v2, s6, v9
	v_mov_b32_e32 v5, v3
	s_andn2_b32 s21, s16, exec_lo
	s_mov_b32 s17, exec_lo
	v_cmp_le_u64_e32 vcc_lo, s[12:13], v[2:3]
	v_mov_b32_e32 v4, v2
	s_and_b32 s22, vcc_lo, exec_lo
	s_or_b32 s21, s21, s22
	s_or_b32 exec_lo, exec_lo, s20
	s_and_saveexec_b32 s20, s21
	s_xor_b32 s20, exec_lo, s20
	s_cbranch_execz .LBB505_10
.LBB505_17:                             ;   in Loop: Header=BB505_8 Depth=1
	v_mov_b32_e32 v2, v3
	s_andn2_b32 s17, s17, exec_lo
	ds_write_b64 v10, v[2:3]
	s_or_b32 exec_lo, exec_lo, s20
	s_and_saveexec_b32 s20, s17
	s_cbranch_execnz .LBB505_11
	s_branch .LBB505_12
.LBB505_18:
	v_add_nc_u32_e32 v9, s9, v1
	s_lshl_b64 s[0:1], s[42:43], 3
	v_add_nc_u32_e32 v0, s8, v0
	v_cmp_neq_f32_e64 s6, s2, 0
	s_waitcnt lgkmcnt(0)
	s_add_u32 s4, s4, s0
	v_ashrrev_i32_e32 v3, 31, v9
	v_mul_lo_u32 v4, s41, v9
	v_mad_u64_u32 v[1:2], null, s40, v9, 0
	s_addc_u32 s5, s5, s1
	v_mul_lo_u32 v3, s40, v3
	s_xor_b32 s7, s15, -1
	v_cmp_gt_i32_e64 s0, s14, v9
	v_cmp_le_i32_e32 vcc_lo, v0, v9
	s_or_b32 s6, s6, s7
	v_cndmask_b32_e64 v8, 0, 1, s6
	s_and_b32 s7, s0, vcc_lo
	v_add3_u32 v2, v2, v3, v4
	v_lshlrev_b64 v[2:3], 3, v[1:2]
	v_ashrrev_i32_e32 v1, 31, v0
	v_add_co_u32 v6, s1, s4, v2
	v_add_co_ci_u32_e64 v7, null, s5, v3, s1
	s_and_saveexec_b32 s1, s7
	s_cbranch_execz .LBB505_22
; %bb.19:
	v_lshlrev_b64 v[4:5], 3, v[0:1]
	v_mul_f32_e32 v2, s11, v22
	v_mul_f32_e32 v3, s10, v22
	v_fma_f32 v2, v23, s10, -v2
	v_add_co_u32 v4, vcc_lo, v6, v4
	v_fmac_f32_e32 v3, s11, v23
	v_add_co_ci_u32_e64 v5, null, v7, v5, vcc_lo
	s_andn2_b32 vcc_lo, exec_lo, s6
	s_cbranch_vccnz .LBB505_21
; %bb.20:
	flat_load_dwordx2 v[10:11], v[4:5]
	s_waitcnt vmcnt(0) lgkmcnt(0)
	v_mul_f32_e32 v12, s3, v11
	v_mul_f32_e32 v11, s2, v11
	v_fma_f32 v12, v10, s2, -v12
	v_fmac_f32_e32 v11, s3, v10
	v_add_f32_e32 v2, v2, v12
	v_add_f32_e32 v3, v3, v11
.LBB505_21:
	flat_store_dwordx2 v[4:5], v[2:3]
.LBB505_22:
	s_or_b32 exec_lo, exec_lo, s1
	v_add_nc_u32_e32 v2, 16, v0
	v_cmp_le_i32_e32 vcc_lo, v2, v9
	v_ashrrev_i32_e32 v3, 31, v2
	s_and_b32 s0, s0, vcc_lo
	s_and_saveexec_b32 s1, s0
	s_cbranch_execz .LBB505_26
; %bb.23:
	v_lshlrev_b64 v[10:11], 3, v[2:3]
	v_mul_f32_e32 v4, s11, v21
	v_mul_f32_e32 v5, s10, v21
	v_cmp_ne_u32_e32 vcc_lo, 1, v8
	v_fma_f32 v4, v20, s10, -v4
	v_add_co_u32 v6, s0, v6, v10
	v_fmac_f32_e32 v5, s11, v20
	v_add_co_ci_u32_e64 v7, null, v7, v11, s0
	s_cbranch_vccnz .LBB505_25
; %bb.24:
	flat_load_dwordx2 v[10:11], v[6:7]
	s_waitcnt vmcnt(0) lgkmcnt(0)
	v_mul_f32_e32 v12, s3, v11
	v_mul_f32_e32 v11, s2, v11
	v_fma_f32 v12, v10, s2, -v12
	v_fmac_f32_e32 v11, s3, v10
	v_add_f32_e32 v4, v4, v12
	v_add_f32_e32 v5, v5, v11
.LBB505_25:
	flat_store_dwordx2 v[6:7], v[4:5]
.LBB505_26:
	s_or_b32 exec_lo, exec_lo, s1
	v_add_nc_u32_e32 v9, 16, v9
	v_ashrrev_i32_e32 v6, 31, v9
	v_mul_lo_u32 v7, s41, v9
	v_mad_u64_u32 v[4:5], null, s40, v9, 0
	v_cmp_gt_i32_e64 s0, s14, v9
	v_mul_lo_u32 v6, s40, v6
	v_cmp_le_i32_e32 vcc_lo, v0, v9
	v_add3_u32 v5, v5, v6, v7
	v_lshlrev_b64 v[4:5], 3, v[4:5]
	v_add_co_u32 v6, s1, s4, v4
	v_add_co_ci_u32_e64 v7, null, s5, v5, s1
	s_and_b32 s1, s0, vcc_lo
	s_and_saveexec_b32 s4, s1
	s_cbranch_execz .LBB505_30
; %bb.27:
	v_lshlrev_b64 v[0:1], 3, v[0:1]
	v_mul_f32_e32 v4, s11, v19
	v_mul_f32_e32 v5, s10, v19
	v_cmp_ne_u32_e32 vcc_lo, 1, v8
	v_fma_f32 v4, v18, s10, -v4
	v_add_co_u32 v0, s1, v6, v0
	v_fmac_f32_e32 v5, s11, v18
	v_add_co_ci_u32_e64 v1, null, v7, v1, s1
	s_cbranch_vccnz .LBB505_29
; %bb.28:
	flat_load_dwordx2 v[10:11], v[0:1]
	s_waitcnt vmcnt(0) lgkmcnt(0)
	v_mul_f32_e32 v12, s3, v11
	v_mul_f32_e32 v11, s2, v11
	v_fma_f32 v12, v10, s2, -v12
	v_fmac_f32_e32 v11, s3, v10
	v_add_f32_e32 v4, v4, v12
	v_add_f32_e32 v5, v5, v11
.LBB505_29:
	flat_store_dwordx2 v[0:1], v[4:5]
.LBB505_30:
	s_or_b32 exec_lo, exec_lo, s4
	v_cmp_le_i32_e32 vcc_lo, v2, v9
	s_and_b32 s0, s0, vcc_lo
	s_and_saveexec_b32 s1, s0
	s_cbranch_execz .LBB505_34
; %bb.31:
	v_lshlrev_b64 v[2:3], 3, v[2:3]
	v_mul_f32_e32 v0, s11, v17
	v_mul_f32_e32 v1, s10, v17
	v_cmp_ne_u32_e32 vcc_lo, 1, v8
	v_fma_f32 v0, v16, s10, -v0
	v_add_co_u32 v2, s0, v6, v2
	v_fmac_f32_e32 v1, s11, v16
	v_add_co_ci_u32_e64 v3, null, v7, v3, s0
	s_cbranch_vccnz .LBB505_33
; %bb.32:
	flat_load_dwordx2 v[4:5], v[2:3]
	s_waitcnt vmcnt(0) lgkmcnt(0)
	v_mul_f32_e32 v6, s3, v5
	v_mul_f32_e32 v5, s2, v5
	v_fma_f32 v6, v4, s2, -v6
	v_fmac_f32_e32 v5, s3, v4
	v_add_f32_e32 v0, v0, v6
	v_add_f32_e32 v1, v1, v5
.LBB505_33:
	flat_store_dwordx2 v[2:3], v[0:1]
.LBB505_34:
	s_endpgm
	.section	.rodata,"a",@progbits
	.p2align	6, 0x0
	.amdhsa_kernel _ZL29rocblas_internal_gemmt_kernelIlLi16ELi32ELi8ELc78ELc84ELc85ELb0ELb0E19rocblas_complex_numIfEPKS1_PKS3_PKPS1_EviT_T9_T10_S9_lSB_S9_lSA_T11_S9_li
		.amdhsa_group_segment_fixed_size 4096
		.amdhsa_private_segment_fixed_size 0
		.amdhsa_kernarg_size 108
		.amdhsa_user_sgpr_count 6
		.amdhsa_user_sgpr_private_segment_buffer 1
		.amdhsa_user_sgpr_dispatch_ptr 0
		.amdhsa_user_sgpr_queue_ptr 0
		.amdhsa_user_sgpr_kernarg_segment_ptr 1
		.amdhsa_user_sgpr_dispatch_id 0
		.amdhsa_user_sgpr_flat_scratch_init 0
		.amdhsa_user_sgpr_private_segment_size 0
		.amdhsa_wavefront_size32 1
		.amdhsa_uses_dynamic_stack 0
		.amdhsa_system_sgpr_private_segment_wavefront_offset 0
		.amdhsa_system_sgpr_workgroup_id_x 1
		.amdhsa_system_sgpr_workgroup_id_y 1
		.amdhsa_system_sgpr_workgroup_id_z 1
		.amdhsa_system_sgpr_workgroup_info 0
		.amdhsa_system_vgpr_workitem_id 1
		.amdhsa_next_free_vgpr 61
		.amdhsa_next_free_sgpr 44
		.amdhsa_reserve_vcc 1
		.amdhsa_reserve_flat_scratch 0
		.amdhsa_float_round_mode_32 0
		.amdhsa_float_round_mode_16_64 0
		.amdhsa_float_denorm_mode_32 3
		.amdhsa_float_denorm_mode_16_64 3
		.amdhsa_dx10_clamp 1
		.amdhsa_ieee_mode 1
		.amdhsa_fp16_overflow 0
		.amdhsa_workgroup_processor_mode 1
		.amdhsa_memory_ordered 1
		.amdhsa_forward_progress 1
		.amdhsa_shared_vgpr_count 0
		.amdhsa_exception_fp_ieee_invalid_op 0
		.amdhsa_exception_fp_denorm_src 0
		.amdhsa_exception_fp_ieee_div_zero 0
		.amdhsa_exception_fp_ieee_overflow 0
		.amdhsa_exception_fp_ieee_underflow 0
		.amdhsa_exception_fp_ieee_inexact 0
		.amdhsa_exception_int_div_zero 0
	.end_amdhsa_kernel
	.section	.text._ZL29rocblas_internal_gemmt_kernelIlLi16ELi32ELi8ELc78ELc84ELc85ELb0ELb0E19rocblas_complex_numIfEPKS1_PKS3_PKPS1_EviT_T9_T10_S9_lSB_S9_lSA_T11_S9_li,"axG",@progbits,_ZL29rocblas_internal_gemmt_kernelIlLi16ELi32ELi8ELc78ELc84ELc85ELb0ELb0E19rocblas_complex_numIfEPKS1_PKS3_PKPS1_EviT_T9_T10_S9_lSB_S9_lSA_T11_S9_li,comdat
.Lfunc_end505:
	.size	_ZL29rocblas_internal_gemmt_kernelIlLi16ELi32ELi8ELc78ELc84ELc85ELb0ELb0E19rocblas_complex_numIfEPKS1_PKS3_PKPS1_EviT_T9_T10_S9_lSB_S9_lSA_T11_S9_li, .Lfunc_end505-_ZL29rocblas_internal_gemmt_kernelIlLi16ELi32ELi8ELc78ELc84ELc85ELb0ELb0E19rocblas_complex_numIfEPKS1_PKS3_PKPS1_EviT_T9_T10_S9_lSB_S9_lSA_T11_S9_li
                                        ; -- End function
	.set _ZL29rocblas_internal_gemmt_kernelIlLi16ELi32ELi8ELc78ELc84ELc85ELb0ELb0E19rocblas_complex_numIfEPKS1_PKS3_PKPS1_EviT_T9_T10_S9_lSB_S9_lSA_T11_S9_li.num_vgpr, 61
	.set _ZL29rocblas_internal_gemmt_kernelIlLi16ELi32ELi8ELc78ELc84ELc85ELb0ELb0E19rocblas_complex_numIfEPKS1_PKS3_PKPS1_EviT_T9_T10_S9_lSB_S9_lSA_T11_S9_li.num_agpr, 0
	.set _ZL29rocblas_internal_gemmt_kernelIlLi16ELi32ELi8ELc78ELc84ELc85ELb0ELb0E19rocblas_complex_numIfEPKS1_PKS3_PKPS1_EviT_T9_T10_S9_lSB_S9_lSA_T11_S9_li.numbered_sgpr, 44
	.set _ZL29rocblas_internal_gemmt_kernelIlLi16ELi32ELi8ELc78ELc84ELc85ELb0ELb0E19rocblas_complex_numIfEPKS1_PKS3_PKPS1_EviT_T9_T10_S9_lSB_S9_lSA_T11_S9_li.num_named_barrier, 0
	.set _ZL29rocblas_internal_gemmt_kernelIlLi16ELi32ELi8ELc78ELc84ELc85ELb0ELb0E19rocblas_complex_numIfEPKS1_PKS3_PKPS1_EviT_T9_T10_S9_lSB_S9_lSA_T11_S9_li.private_seg_size, 0
	.set _ZL29rocblas_internal_gemmt_kernelIlLi16ELi32ELi8ELc78ELc84ELc85ELb0ELb0E19rocblas_complex_numIfEPKS1_PKS3_PKPS1_EviT_T9_T10_S9_lSB_S9_lSA_T11_S9_li.uses_vcc, 1
	.set _ZL29rocblas_internal_gemmt_kernelIlLi16ELi32ELi8ELc78ELc84ELc85ELb0ELb0E19rocblas_complex_numIfEPKS1_PKS3_PKPS1_EviT_T9_T10_S9_lSB_S9_lSA_T11_S9_li.uses_flat_scratch, 0
	.set _ZL29rocblas_internal_gemmt_kernelIlLi16ELi32ELi8ELc78ELc84ELc85ELb0ELb0E19rocblas_complex_numIfEPKS1_PKS3_PKPS1_EviT_T9_T10_S9_lSB_S9_lSA_T11_S9_li.has_dyn_sized_stack, 0
	.set _ZL29rocblas_internal_gemmt_kernelIlLi16ELi32ELi8ELc78ELc84ELc85ELb0ELb0E19rocblas_complex_numIfEPKS1_PKS3_PKPS1_EviT_T9_T10_S9_lSB_S9_lSA_T11_S9_li.has_recursion, 0
	.set _ZL29rocblas_internal_gemmt_kernelIlLi16ELi32ELi8ELc78ELc84ELc85ELb0ELb0E19rocblas_complex_numIfEPKS1_PKS3_PKPS1_EviT_T9_T10_S9_lSB_S9_lSA_T11_S9_li.has_indirect_call, 0
	.section	.AMDGPU.csdata,"",@progbits
; Kernel info:
; codeLenInByte = 2616
; TotalNumSgprs: 46
; NumVgprs: 61
; ScratchSize: 0
; MemoryBound: 0
; FloatMode: 240
; IeeeMode: 1
; LDSByteSize: 4096 bytes/workgroup (compile time only)
; SGPRBlocks: 0
; VGPRBlocks: 7
; NumSGPRsForWavesPerEU: 46
; NumVGPRsForWavesPerEU: 61
; Occupancy: 16
; WaveLimiterHint : 1
; COMPUTE_PGM_RSRC2:SCRATCH_EN: 0
; COMPUTE_PGM_RSRC2:USER_SGPR: 6
; COMPUTE_PGM_RSRC2:TRAP_HANDLER: 0
; COMPUTE_PGM_RSRC2:TGID_X_EN: 1
; COMPUTE_PGM_RSRC2:TGID_Y_EN: 1
; COMPUTE_PGM_RSRC2:TGID_Z_EN: 1
; COMPUTE_PGM_RSRC2:TIDIG_COMP_CNT: 1
	.section	.text._ZL29rocblas_internal_gemmt_kernelIlLi16ELi32ELi8ELc78ELc67ELc85ELb0ELb1E19rocblas_complex_numIfEPKS1_PKS3_PKPS1_EviT_T9_T10_S9_lSB_S9_lSA_T11_S9_li,"axG",@progbits,_ZL29rocblas_internal_gemmt_kernelIlLi16ELi32ELi8ELc78ELc67ELc85ELb0ELb1E19rocblas_complex_numIfEPKS1_PKS3_PKPS1_EviT_T9_T10_S9_lSB_S9_lSA_T11_S9_li,comdat
	.globl	_ZL29rocblas_internal_gemmt_kernelIlLi16ELi32ELi8ELc78ELc67ELc85ELb0ELb1E19rocblas_complex_numIfEPKS1_PKS3_PKPS1_EviT_T9_T10_S9_lSB_S9_lSA_T11_S9_li ; -- Begin function _ZL29rocblas_internal_gemmt_kernelIlLi16ELi32ELi8ELc78ELc67ELc85ELb0ELb1E19rocblas_complex_numIfEPKS1_PKS3_PKPS1_EviT_T9_T10_S9_lSB_S9_lSA_T11_S9_li
	.p2align	8
	.type	_ZL29rocblas_internal_gemmt_kernelIlLi16ELi32ELi8ELc78ELc67ELc85ELb0ELb1E19rocblas_complex_numIfEPKS1_PKS3_PKPS1_EviT_T9_T10_S9_lSB_S9_lSA_T11_S9_li,@function
_ZL29rocblas_internal_gemmt_kernelIlLi16ELi32ELi8ELc78ELc67ELc85ELb0ELb1E19rocblas_complex_numIfEPKS1_PKS3_PKPS1_EviT_T9_T10_S9_lSB_S9_lSA_T11_S9_li: ; @_ZL29rocblas_internal_gemmt_kernelIlLi16ELi32ELi8ELc78ELc67ELc85ELb0ELb1E19rocblas_complex_numIfEPKS1_PKS3_PKPS1_EviT_T9_T10_S9_lSB_S9_lSA_T11_S9_li
; %bb.0:
	s_clause 0x1
	s_load_dwordx8 s[36:43], s[4:5], 0x48
	s_load_dwordx16 s[12:27], s[4:5], 0x8
	s_waitcnt lgkmcnt(0)
	s_load_dwordx2 s[2:3], s[36:37], 0x0
	s_load_dwordx2 s[10:11], s[14:15], 0x0
	s_waitcnt lgkmcnt(0)
	s_and_b32 s0, s3, 0x7fffffff
	v_cmp_eq_f32_e64 s1, s2, 1.0
	s_cmp_eq_u32 s0, 0
	s_mov_b32 s0, 0
	s_cselect_b32 s15, -1, 0
	s_and_b32 s1, s1, s15
	s_andn2_b32 vcc_lo, exec_lo, s1
	s_mov_b32 s1, -1
	s_cbranch_vccnz .LBB506_4
; %bb.1:
	s_cmp_lg_u64 s[12:13], 0
	s_cbranch_scc0 .LBB506_3
; %bb.2:
	v_cmp_neq_f32_e64 s0, s10, 0
	v_cmp_neq_f32_e64 s1, s11, 0
	s_or_b32 s0, s0, s1
.LBB506_3:
	s_mov_b32 s1, s0
.LBB506_4:
	s_and_b32 vcc_lo, exec_lo, s1
	s_cbranch_vccz .LBB506_34
; %bb.5:
	s_mov_b32 s9, 0
	s_load_dword s14, s[4:5], 0x0
	s_lshl_b64 s[0:1], s[8:9], 3
	v_cmp_eq_f32_e64 s8, s10, 0
	s_add_u32 s4, s38, s0
	s_addc_u32 s5, s39, s1
	v_cmp_eq_f32_e64 s9, s11, 0
	s_load_dwordx2 s[4:5], s[4:5], 0x0
	v_cmp_lt_i64_e64 s28, s[12:13], 1
	v_mov_b32_e32 v23, 0
	v_mov_b32_e32 v22, 0
	s_and_b32 s9, s8, s9
	v_mov_b32_e32 v20, 0
	v_mov_b32_e32 v21, 0
	;; [unrolled: 1-line block ×6, first 2 shown]
	s_lshl_b32 s8, s6, 5
	s_or_b32 s6, s9, s28
	s_lshl_b32 s9, s7, 5
	s_and_b32 vcc_lo, exec_lo, s6
	s_cbranch_vccnz .LBB506_18
; %bb.6:
	s_add_u32 s6, s22, s0
	s_addc_u32 s7, s23, s1
	v_lshl_add_u32 v2, v1, 4, v0
	s_load_dwordx2 s[6:7], s[6:7], 0x0
	s_lshl_b64 s[22:23], s[26:27], 3
	v_and_b32_e32 v6, 7, v0
	v_lshlrev_b32_e32 v7, 3, v0
	v_lshrrev_b32_e32 v5, 3, v2
	v_and_b32_e32 v10, 31, v2
	v_lshrrev_b32_e32 v9, 5, v2
	v_lshlrev_b32_e32 v11, 3, v6
	v_lshl_add_u32 v8, v1, 6, 0x800
	v_add_nc_u32_e32 v4, s9, v5
	v_or_b32_e32 v12, s8, v10
	v_lshlrev_b32_e32 v2, 3, v10
	v_lshl_or_b32 v11, v5, 6, v11
	v_mov_b32_e32 v3, 0
	v_ashrrev_i32_e32 v5, 31, v4
	v_ashrrev_i32_e32 v13, 31, v12
	s_waitcnt lgkmcnt(0)
	v_cmp_gt_i32_e32 vcc_lo, s14, v4
	v_mov_b32_e32 v17, 0
	v_mov_b32_e32 v16, 0
	v_lshlrev_b64 v[14:15], 3, v[4:5]
	s_add_u32 s22, s6, s22
	s_addc_u32 s23, s7, s23
	s_add_u32 s0, s16, s0
	s_addc_u32 s1, s17, s1
	v_lshlrev_b64 v[4:5], 3, v[12:13]
	s_load_dwordx2 s[6:7], s[0:1], 0x0
	v_cmp_gt_i32_e64 s0, s14, v12
	v_cmp_le_i32_e64 s16, s14, v12
	s_lshl_b64 s[20:21], s[20:21], 3
	v_add_co_u32 v12, s1, s22, v14
	v_add_co_ci_u32_e64 v13, null, s23, v15, s1
	v_mov_b32_e32 v19, 0
	v_mov_b32_e32 v18, 0
	;; [unrolled: 1-line block ×5, first 2 shown]
	v_lshl_or_b32 v10, v9, 8, v2
	v_add_nc_u32_e32 v11, 0x800, v11
	v_mov_b32_e32 v23, 0
	s_waitcnt lgkmcnt(0)
	s_add_u32 s1, s6, s20
	s_addc_u32 s6, s7, s21
	v_add_co_u32 v14, s1, s1, v4
	v_add_co_ci_u32_e64 v15, null, s6, v5, s1
	s_mov_b64 s[6:7], 0
	s_xor_b32 s1, vcc_lo, -1
                                        ; implicit-def: $vgpr4_vgpr5
	s_branch .LBB506_8
.LBB506_7:                              ;   in Loop: Header=BB506_8 Depth=1
	s_or_b32 exec_lo, exec_lo, s17
	ds_write_b32 v11, v24 offset:4
	s_waitcnt lgkmcnt(0)
	s_barrier
	buffer_gl0_inv
	ds_read_b128 v[24:27], v8
	ds_read2_b64 v[28:31], v7 offset1:16
	ds_read_b128 v[32:35], v8 offset:1024
	ds_read_b128 v[36:39], v8 offset:16
	ds_read_b128 v[40:43], v8 offset:32
	ds_read_b128 v[44:47], v8 offset:48
	ds_read2_b64 v[48:51], v7 offset0:32 offset1:48
	ds_read_b128 v[52:55], v8 offset:1040
	s_add_u32 s6, s6, 8
	s_addc_u32 s7, s7, 0
	v_cmp_gt_i64_e64 s17, s[12:13], s[6:7]
	s_and_b32 vcc_lo, exec_lo, s17
	s_waitcnt lgkmcnt(6)
	v_mul_f32_e32 v2, v25, v29
	v_mul_f32_e32 v56, v24, v29
	;; [unrolled: 1-line block ×4, first 2 shown]
	s_waitcnt lgkmcnt(5)
	v_mul_f32_e32 v59, v33, v29
	v_mul_f32_e32 v29, v32, v29
	;; [unrolled: 1-line block ×3, first 2 shown]
	v_fma_f32 v2, v24, v28, -v2
	v_fmac_f32_e32 v56, v25, v28
	v_fma_f32 v24, v24, v30, -v57
	v_fmac_f32_e32 v58, v25, v30
	;; [unrolled: 2-line block ×3, first 2 shown]
	v_mul_f32_e32 v31, v32, v31
	v_fma_f32 v28, v32, v30, -v60
	v_add_f32_e32 v2, v23, v2
	v_add_f32_e32 v23, v20, v24
	;; [unrolled: 1-line block ×5, first 2 shown]
	s_waitcnt lgkmcnt(1)
	v_mul_f32_e32 v32, v27, v49
	ds_read2_b64 v[18:21], v7 offset0:64 offset1:80
	v_fmac_f32_e32 v31, v33, v30
	v_add_f32_e32 v16, v16, v28
	v_mul_f32_e32 v28, v26, v49
	v_fma_f32 v30, v26, v48, -v32
	v_mul_f32_e32 v32, v27, v51
	v_add_f32_e32 v22, v22, v56
	v_add_f32_e32 v17, v17, v31
	v_fmac_f32_e32 v28, v27, v48
	v_mul_f32_e32 v31, v26, v51
	v_add_f32_e32 v2, v2, v30
	v_fma_f32 v26, v26, v50, -v32
	v_mul_f32_e32 v30, v35, v49
	v_add_f32_e32 v28, v22, v28
	v_fmac_f32_e32 v31, v27, v50
	v_mul_f32_e32 v22, v34, v49
	v_add_f32_e32 v26, v23, v26
	v_fma_f32 v23, v34, v48, -v30
	v_mul_f32_e32 v27, v35, v51
	v_add_f32_e32 v30, v24, v31
	v_fmac_f32_e32 v22, v35, v48
	v_mul_f32_e32 v31, v34, v51
	v_add_f32_e32 v32, v25, v23
	v_fma_f32 v23, v34, v50, -v27
	s_waitcnt lgkmcnt(0)
	v_mul_f32_e32 v24, v37, v19
	v_add_f32_e32 v27, v29, v22
	v_fmac_f32_e32 v31, v35, v50
	v_mul_f32_e32 v29, v36, v19
	v_add_f32_e32 v16, v16, v23
	v_fma_f32 v33, v36, v18, -v24
	v_mul_f32_e32 v34, v37, v21
	ds_read2_b64 v[22:25], v7 offset0:96 offset1:112
	v_fmac_f32_e32 v29, v37, v18
	v_add_f32_e32 v31, v17, v31
	v_add_f32_e32 v2, v2, v33
	v_mul_f32_e32 v17, v36, v21
	v_fma_f32 v33, v36, v20, -v34
	v_add_f32_e32 v28, v28, v29
	v_mul_f32_e32 v29, v53, v19
	v_mul_f32_e32 v19, v52, v19
	v_fmac_f32_e32 v17, v37, v20
	v_add_f32_e32 v26, v26, v33
	v_mul_f32_e32 v33, v53, v21
	v_mul_f32_e32 v21, v52, v21
	v_fmac_f32_e32 v19, v53, v18
	v_add_f32_e32 v30, v30, v17
	v_fma_f32 v29, v52, v18, -v29
	v_fma_f32 v17, v52, v20, -v33
	v_fmac_f32_e32 v21, v53, v20
	v_add_f32_e32 v33, v27, v19
	s_waitcnt lgkmcnt(0)
	v_mul_f32_e32 v20, v39, v23
	v_add_f32_e32 v34, v16, v17
	ds_read2_b64 v[16:19], v7 offset0:128 offset1:144
	v_add_f32_e32 v32, v32, v29
	v_mul_f32_e32 v27, v38, v23
	v_mul_f32_e32 v29, v39, v25
	v_fma_f32 v20, v38, v22, -v20
	v_add_f32_e32 v31, v31, v21
	v_mul_f32_e32 v21, v38, v25
	v_fmac_f32_e32 v27, v39, v22
	v_fma_f32 v29, v38, v24, -v29
	v_add_f32_e32 v2, v2, v20
	v_mul_f32_e32 v20, v55, v23
	v_fmac_f32_e32 v21, v39, v24
	v_add_f32_e32 v35, v28, v27
	v_add_f32_e32 v36, v26, v29
	v_mul_f32_e32 v23, v54, v23
	v_fma_f32 v20, v54, v22, -v20
	v_mul_f32_e32 v37, v55, v25
	ds_read_b128 v[26:29], v8 offset:1056
	v_add_f32_e32 v38, v30, v21
	v_fmac_f32_e32 v23, v55, v22
	v_mul_f32_e32 v25, v54, v25
	v_fma_f32 v21, v54, v24, -v37
	v_add_f32_e32 v37, v32, v20
	s_waitcnt lgkmcnt(1)
	v_mul_f32_e32 v20, v41, v17
	v_add_f32_e32 v39, v33, v23
	v_fmac_f32_e32 v25, v55, v24
	v_add_f32_e32 v24, v34, v21
	v_mul_f32_e32 v32, v41, v19
	v_fma_f32 v30, v40, v16, -v20
	ds_read2_b64 v[20:23], v7 offset0:160 offset1:176
	v_mul_f32_e32 v34, v40, v17
	v_add_f32_e32 v25, v31, v25
	v_fma_f32 v48, v40, v18, -v32
	v_mul_f32_e32 v40, v40, v19
	v_add_f32_e32 v2, v2, v30
	v_fmac_f32_e32 v34, v41, v16
	ds_read_b128 v[30:33], v8 offset:1072
	s_waitcnt lgkmcnt(2)
	v_mul_f32_e32 v49, v27, v17
	v_mul_f32_e32 v17, v26, v17
	v_fmac_f32_e32 v40, v41, v18
	v_mul_f32_e32 v41, v27, v19
	v_add_f32_e32 v34, v35, v34
	v_add_f32_e32 v35, v36, v48
	v_fma_f32 v36, v26, v16, -v49
	v_fmac_f32_e32 v17, v27, v16
	v_add_f32_e32 v38, v38, v40
	v_mul_f32_e32 v40, v26, v19
	v_fma_f32 v16, v26, v18, -v41
	v_add_f32_e32 v36, v37, v36
	v_add_f32_e32 v26, v39, v17
	s_waitcnt lgkmcnt(1)
	v_mul_f32_e32 v37, v43, v21
	v_fmac_f32_e32 v40, v27, v18
	v_add_f32_e32 v24, v24, v16
	ds_read2_b64 v[16:19], v7 offset0:192 offset1:208
	v_mul_f32_e32 v27, v42, v21
	v_fma_f32 v37, v42, v20, -v37
	v_mul_f32_e32 v39, v43, v23
	v_add_f32_e32 v40, v25, v40
	v_mul_f32_e32 v25, v42, v23
	v_fmac_f32_e32 v27, v43, v20
	v_add_f32_e32 v2, v2, v37
	v_fma_f32 v37, v42, v22, -v39
	v_fmac_f32_e32 v25, v43, v22
	v_add_f32_e32 v34, v34, v27
	v_mul_f32_e32 v27, v29, v21
	v_mul_f32_e32 v21, v28, v21
	v_add_f32_e32 v35, v35, v37
	v_mul_f32_e32 v37, v29, v23
	v_add_f32_e32 v38, v38, v25
	v_fma_f32 v27, v28, v20, -v27
	v_fmac_f32_e32 v21, v29, v20
	v_mul_f32_e32 v20, v28, v23
	v_fma_f32 v23, v28, v22, -v37
	s_waitcnt lgkmcnt(0)
	v_mul_f32_e32 v25, v45, v17
	v_add_f32_e32 v28, v36, v27
	v_add_f32_e32 v21, v26, v21
	v_fmac_f32_e32 v20, v29, v22
	v_add_f32_e32 v22, v24, v23
	v_fma_f32 v29, v44, v16, -v25
	ds_read2_b64 v[24:27], v7 offset0:224 offset1:240
	v_mul_f32_e32 v23, v44, v17
	v_mul_f32_e32 v37, v31, v17
	;; [unrolled: 1-line block ×4, first 2 shown]
	v_add_f32_e32 v2, v2, v29
	v_fmac_f32_e32 v23, v45, v16
	v_mul_f32_e32 v29, v44, v19
	v_fmac_f32_e32 v17, v31, v16
	v_fma_f32 v36, v44, v18, -v36
	v_add_f32_e32 v20, v40, v20
	v_add_f32_e32 v34, v34, v23
	v_fma_f32 v23, v30, v16, -v37
	v_mul_f32_e32 v16, v31, v19
	v_mul_f32_e32 v19, v30, v19
	v_fmac_f32_e32 v29, v45, v18
	v_add_f32_e32 v17, v21, v17
	v_add_f32_e32 v35, v35, v36
	v_fma_f32 v16, v30, v18, -v16
	v_fmac_f32_e32 v19, v31, v18
	s_waitcnt lgkmcnt(0)
	v_mul_f32_e32 v21, v47, v25
	v_mul_f32_e32 v18, v47, v27
	v_add_f32_e32 v28, v28, v23
	v_mul_f32_e32 v30, v46, v25
	v_mul_f32_e32 v31, v46, v27
	v_fma_f32 v21, v46, v24, -v21
	v_fma_f32 v18, v46, v26, -v18
	v_add_f32_e32 v36, v20, v19
	v_mul_f32_e32 v19, v32, v25
	v_add_f32_e32 v29, v38, v29
	v_add_f32_e32 v23, v2, v21
	;; [unrolled: 1-line block ×3, first 2 shown]
	v_mul_f32_e32 v2, v33, v25
	v_mul_f32_e32 v18, v33, v27
	;; [unrolled: 1-line block ×3, first 2 shown]
	v_add_f32_e32 v16, v22, v16
	v_fmac_f32_e32 v30, v47, v24
	v_fmac_f32_e32 v31, v47, v26
	v_fma_f32 v2, v32, v24, -v2
	v_fmac_f32_e32 v19, v33, v24
	v_fma_f32 v24, v32, v26, -v18
	v_fmac_f32_e32 v25, v33, v26
	v_add_f32_e32 v22, v34, v30
	v_add_f32_e32 v21, v29, v31
	;; [unrolled: 1-line block ×6, first 2 shown]
	s_barrier
	buffer_gl0_inv
	s_cbranch_vccz .LBB506_18
.LBB506_8:                              ; =>This Inner Loop Header: Depth=1
	s_mov_b32 s21, s16
	s_mov_b32 s17, 0
	s_and_saveexec_b32 s20, s0
	s_cbranch_execnz .LBB506_16
; %bb.9:                                ;   in Loop: Header=BB506_8 Depth=1
	s_or_b32 exec_lo, exec_lo, s20
	s_and_saveexec_b32 s20, s21
	s_xor_b32 s20, exec_lo, s20
	s_cbranch_execnz .LBB506_17
.LBB506_10:                             ;   in Loop: Header=BB506_8 Depth=1
	s_or_b32 exec_lo, exec_lo, s20
	s_and_saveexec_b32 s20, s17
	s_cbranch_execz .LBB506_12
.LBB506_11:                             ;   in Loop: Header=BB506_8 Depth=1
	v_mul_lo_u32 v2, s19, v4
	v_mul_lo_u32 v26, s18, v5
	v_mad_u64_u32 v[24:25], null, s18, v4, 0
	v_add3_u32 v25, v25, v26, v2
	v_lshlrev_b64 v[24:25], 3, v[24:25]
	v_add_co_u32 v24, vcc_lo, v14, v24
	v_add_co_ci_u32_e64 v25, null, v15, v25, vcc_lo
	flat_load_dwordx2 v[24:25], v[24:25]
	s_waitcnt vmcnt(0) lgkmcnt(0)
	ds_write_b64 v10, v[24:25]
.LBB506_12:                             ;   in Loop: Header=BB506_8 Depth=1
	s_or_b32 exec_lo, exec_lo, s20
	v_add_nc_u32_e32 v2, s6, v6
	v_cmp_le_u64_e32 vcc_lo, s[12:13], v[2:3]
	s_or_b32 s17, vcc_lo, s1
	s_and_saveexec_b32 s20, s17
	s_xor_b32 s17, exec_lo, s20
; %bb.13:                               ;   in Loop: Header=BB506_8 Depth=1
	ds_write_b32 v11, v3
; %bb.14:                               ;   in Loop: Header=BB506_8 Depth=1
	s_or_saveexec_b32 s17, s17
	v_mov_b32_e32 v24, 0
	s_xor_b32 exec_lo, exec_lo, s17
	s_cbranch_execz .LBB506_7
; %bb.15:                               ;   in Loop: Header=BB506_8 Depth=1
	v_mad_u64_u32 v[24:25], null, s24, v2, 0
	v_mad_u64_u32 v[25:26], null, s25, v2, v[25:26]
	v_lshlrev_b64 v[24:25], 3, v[24:25]
	v_add_co_u32 v24, vcc_lo, v12, v24
	v_add_co_ci_u32_e64 v25, null, v13, v25, vcc_lo
	flat_load_dwordx2 v[25:26], v[24:25]
	s_waitcnt vmcnt(0) lgkmcnt(0)
	v_xor_b32_e32 v24, 0x80000000, v26
	ds_write_b32 v11, v25
	s_branch .LBB506_7
.LBB506_16:                             ;   in Loop: Header=BB506_8 Depth=1
	v_add_nc_u32_e32 v2, s6, v9
	v_mov_b32_e32 v5, v3
	s_andn2_b32 s21, s16, exec_lo
	s_mov_b32 s17, exec_lo
	v_cmp_le_u64_e32 vcc_lo, s[12:13], v[2:3]
	v_mov_b32_e32 v4, v2
	s_and_b32 s22, vcc_lo, exec_lo
	s_or_b32 s21, s21, s22
	s_or_b32 exec_lo, exec_lo, s20
	s_and_saveexec_b32 s20, s21
	s_xor_b32 s20, exec_lo, s20
	s_cbranch_execz .LBB506_10
.LBB506_17:                             ;   in Loop: Header=BB506_8 Depth=1
	v_mov_b32_e32 v2, v3
	s_andn2_b32 s17, s17, exec_lo
	ds_write_b64 v10, v[2:3]
	s_or_b32 exec_lo, exec_lo, s20
	s_and_saveexec_b32 s20, s17
	s_cbranch_execnz .LBB506_11
	s_branch .LBB506_12
.LBB506_18:
	v_add_nc_u32_e32 v9, s9, v1
	s_lshl_b64 s[0:1], s[42:43], 3
	v_add_nc_u32_e32 v0, s8, v0
	v_cmp_neq_f32_e64 s6, s2, 0
	s_waitcnt lgkmcnt(0)
	s_add_u32 s4, s4, s0
	v_ashrrev_i32_e32 v3, 31, v9
	v_mul_lo_u32 v4, s41, v9
	v_mad_u64_u32 v[1:2], null, s40, v9, 0
	s_addc_u32 s5, s5, s1
	v_mul_lo_u32 v3, s40, v3
	s_xor_b32 s7, s15, -1
	v_cmp_gt_i32_e64 s0, s14, v9
	v_cmp_le_i32_e32 vcc_lo, v0, v9
	s_or_b32 s6, s6, s7
	v_cndmask_b32_e64 v8, 0, 1, s6
	s_and_b32 s7, s0, vcc_lo
	v_add3_u32 v2, v2, v3, v4
	v_lshlrev_b64 v[2:3], 3, v[1:2]
	v_ashrrev_i32_e32 v1, 31, v0
	v_add_co_u32 v6, s1, s4, v2
	v_add_co_ci_u32_e64 v7, null, s5, v3, s1
	s_and_saveexec_b32 s1, s7
	s_cbranch_execz .LBB506_22
; %bb.19:
	v_lshlrev_b64 v[4:5], 3, v[0:1]
	v_mul_f32_e32 v2, s11, v22
	v_mul_f32_e32 v3, s10, v22
	v_fma_f32 v2, v23, s10, -v2
	v_add_co_u32 v4, vcc_lo, v6, v4
	v_fmac_f32_e32 v3, s11, v23
	v_add_co_ci_u32_e64 v5, null, v7, v5, vcc_lo
	s_andn2_b32 vcc_lo, exec_lo, s6
	s_cbranch_vccnz .LBB506_21
; %bb.20:
	flat_load_dwordx2 v[10:11], v[4:5]
	s_waitcnt vmcnt(0) lgkmcnt(0)
	v_mul_f32_e32 v12, s3, v11
	v_mul_f32_e32 v11, s2, v11
	v_fma_f32 v12, v10, s2, -v12
	v_fmac_f32_e32 v11, s3, v10
	v_add_f32_e32 v2, v2, v12
	v_add_f32_e32 v3, v3, v11
.LBB506_21:
	flat_store_dwordx2 v[4:5], v[2:3]
.LBB506_22:
	s_or_b32 exec_lo, exec_lo, s1
	v_add_nc_u32_e32 v2, 16, v0
	v_cmp_le_i32_e32 vcc_lo, v2, v9
	v_ashrrev_i32_e32 v3, 31, v2
	s_and_b32 s0, s0, vcc_lo
	s_and_saveexec_b32 s1, s0
	s_cbranch_execz .LBB506_26
; %bb.23:
	v_lshlrev_b64 v[10:11], 3, v[2:3]
	v_mul_f32_e32 v4, s11, v21
	v_mul_f32_e32 v5, s10, v21
	v_cmp_ne_u32_e32 vcc_lo, 1, v8
	v_fma_f32 v4, v20, s10, -v4
	v_add_co_u32 v6, s0, v6, v10
	v_fmac_f32_e32 v5, s11, v20
	v_add_co_ci_u32_e64 v7, null, v7, v11, s0
	s_cbranch_vccnz .LBB506_25
; %bb.24:
	flat_load_dwordx2 v[10:11], v[6:7]
	s_waitcnt vmcnt(0) lgkmcnt(0)
	v_mul_f32_e32 v12, s3, v11
	v_mul_f32_e32 v11, s2, v11
	v_fma_f32 v12, v10, s2, -v12
	v_fmac_f32_e32 v11, s3, v10
	v_add_f32_e32 v4, v4, v12
	v_add_f32_e32 v5, v5, v11
.LBB506_25:
	flat_store_dwordx2 v[6:7], v[4:5]
.LBB506_26:
	s_or_b32 exec_lo, exec_lo, s1
	v_add_nc_u32_e32 v9, 16, v9
	v_ashrrev_i32_e32 v6, 31, v9
	v_mul_lo_u32 v7, s41, v9
	v_mad_u64_u32 v[4:5], null, s40, v9, 0
	v_cmp_gt_i32_e64 s0, s14, v9
	v_mul_lo_u32 v6, s40, v6
	v_cmp_le_i32_e32 vcc_lo, v0, v9
	v_add3_u32 v5, v5, v6, v7
	v_lshlrev_b64 v[4:5], 3, v[4:5]
	v_add_co_u32 v6, s1, s4, v4
	v_add_co_ci_u32_e64 v7, null, s5, v5, s1
	s_and_b32 s1, s0, vcc_lo
	s_and_saveexec_b32 s4, s1
	s_cbranch_execz .LBB506_30
; %bb.27:
	v_lshlrev_b64 v[0:1], 3, v[0:1]
	v_mul_f32_e32 v4, s11, v19
	v_mul_f32_e32 v5, s10, v19
	v_cmp_ne_u32_e32 vcc_lo, 1, v8
	v_fma_f32 v4, v18, s10, -v4
	v_add_co_u32 v0, s1, v6, v0
	v_fmac_f32_e32 v5, s11, v18
	v_add_co_ci_u32_e64 v1, null, v7, v1, s1
	s_cbranch_vccnz .LBB506_29
; %bb.28:
	flat_load_dwordx2 v[10:11], v[0:1]
	s_waitcnt vmcnt(0) lgkmcnt(0)
	v_mul_f32_e32 v12, s3, v11
	v_mul_f32_e32 v11, s2, v11
	v_fma_f32 v12, v10, s2, -v12
	v_fmac_f32_e32 v11, s3, v10
	v_add_f32_e32 v4, v4, v12
	v_add_f32_e32 v5, v5, v11
.LBB506_29:
	flat_store_dwordx2 v[0:1], v[4:5]
.LBB506_30:
	s_or_b32 exec_lo, exec_lo, s4
	v_cmp_le_i32_e32 vcc_lo, v2, v9
	s_and_b32 s0, s0, vcc_lo
	s_and_saveexec_b32 s1, s0
	s_cbranch_execz .LBB506_34
; %bb.31:
	v_lshlrev_b64 v[2:3], 3, v[2:3]
	v_mul_f32_e32 v0, s11, v17
	v_mul_f32_e32 v1, s10, v17
	v_cmp_ne_u32_e32 vcc_lo, 1, v8
	v_fma_f32 v0, v16, s10, -v0
	v_add_co_u32 v2, s0, v6, v2
	v_fmac_f32_e32 v1, s11, v16
	v_add_co_ci_u32_e64 v3, null, v7, v3, s0
	s_cbranch_vccnz .LBB506_33
; %bb.32:
	flat_load_dwordx2 v[4:5], v[2:3]
	s_waitcnt vmcnt(0) lgkmcnt(0)
	v_mul_f32_e32 v6, s3, v5
	v_mul_f32_e32 v5, s2, v5
	v_fma_f32 v6, v4, s2, -v6
	v_fmac_f32_e32 v5, s3, v4
	v_add_f32_e32 v0, v0, v6
	v_add_f32_e32 v1, v1, v5
.LBB506_33:
	flat_store_dwordx2 v[2:3], v[0:1]
.LBB506_34:
	s_endpgm
	.section	.rodata,"a",@progbits
	.p2align	6, 0x0
	.amdhsa_kernel _ZL29rocblas_internal_gemmt_kernelIlLi16ELi32ELi8ELc78ELc67ELc85ELb0ELb1E19rocblas_complex_numIfEPKS1_PKS3_PKPS1_EviT_T9_T10_S9_lSB_S9_lSA_T11_S9_li
		.amdhsa_group_segment_fixed_size 4096
		.amdhsa_private_segment_fixed_size 0
		.amdhsa_kernarg_size 108
		.amdhsa_user_sgpr_count 6
		.amdhsa_user_sgpr_private_segment_buffer 1
		.amdhsa_user_sgpr_dispatch_ptr 0
		.amdhsa_user_sgpr_queue_ptr 0
		.amdhsa_user_sgpr_kernarg_segment_ptr 1
		.amdhsa_user_sgpr_dispatch_id 0
		.amdhsa_user_sgpr_flat_scratch_init 0
		.amdhsa_user_sgpr_private_segment_size 0
		.amdhsa_wavefront_size32 1
		.amdhsa_uses_dynamic_stack 0
		.amdhsa_system_sgpr_private_segment_wavefront_offset 0
		.amdhsa_system_sgpr_workgroup_id_x 1
		.amdhsa_system_sgpr_workgroup_id_y 1
		.amdhsa_system_sgpr_workgroup_id_z 1
		.amdhsa_system_sgpr_workgroup_info 0
		.amdhsa_system_vgpr_workitem_id 1
		.amdhsa_next_free_vgpr 61
		.amdhsa_next_free_sgpr 44
		.amdhsa_reserve_vcc 1
		.amdhsa_reserve_flat_scratch 0
		.amdhsa_float_round_mode_32 0
		.amdhsa_float_round_mode_16_64 0
		.amdhsa_float_denorm_mode_32 3
		.amdhsa_float_denorm_mode_16_64 3
		.amdhsa_dx10_clamp 1
		.amdhsa_ieee_mode 1
		.amdhsa_fp16_overflow 0
		.amdhsa_workgroup_processor_mode 1
		.amdhsa_memory_ordered 1
		.amdhsa_forward_progress 1
		.amdhsa_shared_vgpr_count 0
		.amdhsa_exception_fp_ieee_invalid_op 0
		.amdhsa_exception_fp_denorm_src 0
		.amdhsa_exception_fp_ieee_div_zero 0
		.amdhsa_exception_fp_ieee_overflow 0
		.amdhsa_exception_fp_ieee_underflow 0
		.amdhsa_exception_fp_ieee_inexact 0
		.amdhsa_exception_int_div_zero 0
	.end_amdhsa_kernel
	.section	.text._ZL29rocblas_internal_gemmt_kernelIlLi16ELi32ELi8ELc78ELc67ELc85ELb0ELb1E19rocblas_complex_numIfEPKS1_PKS3_PKPS1_EviT_T9_T10_S9_lSB_S9_lSA_T11_S9_li,"axG",@progbits,_ZL29rocblas_internal_gemmt_kernelIlLi16ELi32ELi8ELc78ELc67ELc85ELb0ELb1E19rocblas_complex_numIfEPKS1_PKS3_PKPS1_EviT_T9_T10_S9_lSB_S9_lSA_T11_S9_li,comdat
.Lfunc_end506:
	.size	_ZL29rocblas_internal_gemmt_kernelIlLi16ELi32ELi8ELc78ELc67ELc85ELb0ELb1E19rocblas_complex_numIfEPKS1_PKS3_PKPS1_EviT_T9_T10_S9_lSB_S9_lSA_T11_S9_li, .Lfunc_end506-_ZL29rocblas_internal_gemmt_kernelIlLi16ELi32ELi8ELc78ELc67ELc85ELb0ELb1E19rocblas_complex_numIfEPKS1_PKS3_PKPS1_EviT_T9_T10_S9_lSB_S9_lSA_T11_S9_li
                                        ; -- End function
	.set _ZL29rocblas_internal_gemmt_kernelIlLi16ELi32ELi8ELc78ELc67ELc85ELb0ELb1E19rocblas_complex_numIfEPKS1_PKS3_PKPS1_EviT_T9_T10_S9_lSB_S9_lSA_T11_S9_li.num_vgpr, 61
	.set _ZL29rocblas_internal_gemmt_kernelIlLi16ELi32ELi8ELc78ELc67ELc85ELb0ELb1E19rocblas_complex_numIfEPKS1_PKS3_PKPS1_EviT_T9_T10_S9_lSB_S9_lSA_T11_S9_li.num_agpr, 0
	.set _ZL29rocblas_internal_gemmt_kernelIlLi16ELi32ELi8ELc78ELc67ELc85ELb0ELb1E19rocblas_complex_numIfEPKS1_PKS3_PKPS1_EviT_T9_T10_S9_lSB_S9_lSA_T11_S9_li.numbered_sgpr, 44
	.set _ZL29rocblas_internal_gemmt_kernelIlLi16ELi32ELi8ELc78ELc67ELc85ELb0ELb1E19rocblas_complex_numIfEPKS1_PKS3_PKPS1_EviT_T9_T10_S9_lSB_S9_lSA_T11_S9_li.num_named_barrier, 0
	.set _ZL29rocblas_internal_gemmt_kernelIlLi16ELi32ELi8ELc78ELc67ELc85ELb0ELb1E19rocblas_complex_numIfEPKS1_PKS3_PKPS1_EviT_T9_T10_S9_lSB_S9_lSA_T11_S9_li.private_seg_size, 0
	.set _ZL29rocblas_internal_gemmt_kernelIlLi16ELi32ELi8ELc78ELc67ELc85ELb0ELb1E19rocblas_complex_numIfEPKS1_PKS3_PKPS1_EviT_T9_T10_S9_lSB_S9_lSA_T11_S9_li.uses_vcc, 1
	.set _ZL29rocblas_internal_gemmt_kernelIlLi16ELi32ELi8ELc78ELc67ELc85ELb0ELb1E19rocblas_complex_numIfEPKS1_PKS3_PKPS1_EviT_T9_T10_S9_lSB_S9_lSA_T11_S9_li.uses_flat_scratch, 0
	.set _ZL29rocblas_internal_gemmt_kernelIlLi16ELi32ELi8ELc78ELc67ELc85ELb0ELb1E19rocblas_complex_numIfEPKS1_PKS3_PKPS1_EviT_T9_T10_S9_lSB_S9_lSA_T11_S9_li.has_dyn_sized_stack, 0
	.set _ZL29rocblas_internal_gemmt_kernelIlLi16ELi32ELi8ELc78ELc67ELc85ELb0ELb1E19rocblas_complex_numIfEPKS1_PKS3_PKPS1_EviT_T9_T10_S9_lSB_S9_lSA_T11_S9_li.has_recursion, 0
	.set _ZL29rocblas_internal_gemmt_kernelIlLi16ELi32ELi8ELc78ELc67ELc85ELb0ELb1E19rocblas_complex_numIfEPKS1_PKS3_PKPS1_EviT_T9_T10_S9_lSB_S9_lSA_T11_S9_li.has_indirect_call, 0
	.section	.AMDGPU.csdata,"",@progbits
; Kernel info:
; codeLenInByte = 2636
; TotalNumSgprs: 46
; NumVgprs: 61
; ScratchSize: 0
; MemoryBound: 0
; FloatMode: 240
; IeeeMode: 1
; LDSByteSize: 4096 bytes/workgroup (compile time only)
; SGPRBlocks: 0
; VGPRBlocks: 7
; NumSGPRsForWavesPerEU: 46
; NumVGPRsForWavesPerEU: 61
; Occupancy: 16
; WaveLimiterHint : 1
; COMPUTE_PGM_RSRC2:SCRATCH_EN: 0
; COMPUTE_PGM_RSRC2:USER_SGPR: 6
; COMPUTE_PGM_RSRC2:TRAP_HANDLER: 0
; COMPUTE_PGM_RSRC2:TGID_X_EN: 1
; COMPUTE_PGM_RSRC2:TGID_Y_EN: 1
; COMPUTE_PGM_RSRC2:TGID_Z_EN: 1
; COMPUTE_PGM_RSRC2:TIDIG_COMP_CNT: 1
	.section	.text._ZL29rocblas_internal_gemmt_kernelIlLi16ELi32ELi8ELc84ELc78ELc85ELb0ELb0E19rocblas_complex_numIfEPKS1_PKS3_PKPS1_EviT_T9_T10_S9_lSB_S9_lSA_T11_S9_li,"axG",@progbits,_ZL29rocblas_internal_gemmt_kernelIlLi16ELi32ELi8ELc84ELc78ELc85ELb0ELb0E19rocblas_complex_numIfEPKS1_PKS3_PKPS1_EviT_T9_T10_S9_lSB_S9_lSA_T11_S9_li,comdat
	.globl	_ZL29rocblas_internal_gemmt_kernelIlLi16ELi32ELi8ELc84ELc78ELc85ELb0ELb0E19rocblas_complex_numIfEPKS1_PKS3_PKPS1_EviT_T9_T10_S9_lSB_S9_lSA_T11_S9_li ; -- Begin function _ZL29rocblas_internal_gemmt_kernelIlLi16ELi32ELi8ELc84ELc78ELc85ELb0ELb0E19rocblas_complex_numIfEPKS1_PKS3_PKPS1_EviT_T9_T10_S9_lSB_S9_lSA_T11_S9_li
	.p2align	8
	.type	_ZL29rocblas_internal_gemmt_kernelIlLi16ELi32ELi8ELc84ELc78ELc85ELb0ELb0E19rocblas_complex_numIfEPKS1_PKS3_PKPS1_EviT_T9_T10_S9_lSB_S9_lSA_T11_S9_li,@function
_ZL29rocblas_internal_gemmt_kernelIlLi16ELi32ELi8ELc84ELc78ELc85ELb0ELb0E19rocblas_complex_numIfEPKS1_PKS3_PKPS1_EviT_T9_T10_S9_lSB_S9_lSA_T11_S9_li: ; @_ZL29rocblas_internal_gemmt_kernelIlLi16ELi32ELi8ELc84ELc78ELc85ELb0ELb0E19rocblas_complex_numIfEPKS1_PKS3_PKPS1_EviT_T9_T10_S9_lSB_S9_lSA_T11_S9_li
; %bb.0:
	s_clause 0x1
	s_load_dwordx8 s[36:43], s[4:5], 0x48
	s_load_dwordx16 s[12:27], s[4:5], 0x8
	s_waitcnt lgkmcnt(0)
	s_load_dwordx2 s[2:3], s[36:37], 0x0
	s_load_dwordx2 s[10:11], s[14:15], 0x0
	s_waitcnt lgkmcnt(0)
	s_and_b32 s0, s3, 0x7fffffff
	v_cmp_eq_f32_e64 s1, s2, 1.0
	s_cmp_eq_u32 s0, 0
	s_mov_b32 s0, 0
	s_cselect_b32 s15, -1, 0
	s_and_b32 s1, s1, s15
	s_andn2_b32 vcc_lo, exec_lo, s1
	s_mov_b32 s1, -1
	s_cbranch_vccnz .LBB507_4
; %bb.1:
	s_cmp_lg_u64 s[12:13], 0
	s_cbranch_scc0 .LBB507_3
; %bb.2:
	v_cmp_neq_f32_e64 s0, s10, 0
	v_cmp_neq_f32_e64 s1, s11, 0
	s_or_b32 s0, s0, s1
.LBB507_3:
	s_mov_b32 s1, s0
.LBB507_4:
	s_and_b32 vcc_lo, exec_lo, s1
	s_cbranch_vccz .LBB507_34
; %bb.5:
	s_mov_b32 s9, 0
	s_load_dword s14, s[4:5], 0x0
	s_lshl_b64 s[0:1], s[8:9], 3
	v_cmp_eq_f32_e64 s8, s10, 0
	s_add_u32 s4, s38, s0
	s_addc_u32 s5, s39, s1
	v_cmp_eq_f32_e64 s9, s11, 0
	s_load_dwordx2 s[4:5], s[4:5], 0x0
	v_cmp_lt_i64_e64 s28, s[12:13], 1
	v_mov_b32_e32 v23, 0
	v_mov_b32_e32 v22, 0
	s_and_b32 s9, s8, s9
	v_mov_b32_e32 v20, 0
	v_mov_b32_e32 v21, 0
	;; [unrolled: 1-line block ×6, first 2 shown]
	s_lshl_b32 s8, s6, 5
	s_or_b32 s6, s9, s28
	s_lshl_b32 s9, s7, 5
	s_and_b32 vcc_lo, exec_lo, s6
	s_cbranch_vccnz .LBB507_18
; %bb.6:
	s_add_u32 s6, s22, s0
	s_addc_u32 s7, s23, s1
	s_lshl_b64 s[22:23], s[26:27], 3
	s_load_dwordx2 s[6:7], s[6:7], 0x0
	v_lshl_add_u32 v2, v1, 4, v0
	v_and_b32_e32 v6, 7, v0
	v_lshlrev_b32_e32 v7, 3, v0
	v_lshl_add_u32 v8, v1, 6, 0x800
	v_mov_b32_e32 v3, 0
	v_lshrrev_b32_e32 v10, 3, v2
	v_and_b32_e32 v12, 31, v2
	v_lshlrev_b32_e32 v13, 3, v6
	v_mov_b32_e32 v17, 0
	v_mov_b32_e32 v16, 0
	v_add_nc_u32_e32 v11, s9, v10
	v_or_b32_e32 v14, s8, v12
	v_lshl_or_b32 v24, v10, 6, v13
	v_mov_b32_e32 v19, 0
	v_mov_b32_e32 v18, 0
	v_ashrrev_i32_e32 v9, 31, v11
	v_mul_lo_u32 v15, s25, v11
	v_mad_u64_u32 v[4:5], null, s24, v11, 0
	s_waitcnt lgkmcnt(0)
	s_add_u32 s22, s6, s22
	s_addc_u32 s23, s7, s23
	s_add_u32 s0, s16, s0
	s_addc_u32 s1, s17, s1
	v_mul_lo_u32 v23, s24, v9
	s_load_dwordx2 s[0:1], s[0:1], 0x0
	v_lshrrev_b32_e32 v9, 5, v2
	v_lshlrev_b32_e32 v2, 3, v12
	v_mul_lo_u32 v10, s19, v14
	v_mad_u64_u32 v[12:13], null, s18, v14, 0
	s_lshl_b64 s[6:7], s[20:21], 3
	v_add3_u32 v5, v5, v23, v15
	v_cmp_le_i32_e64 s16, s14, v14
	v_cmp_gt_i32_e32 vcc_lo, s14, v11
	v_mov_b32_e32 v21, 0
	v_mov_b32_e32 v20, 0
	v_lshlrev_b64 v[4:5], 3, v[4:5]
	v_mov_b32_e32 v22, 0
	v_add_nc_u32_e32 v11, 0x800, v24
	v_mov_b32_e32 v23, 0
	s_waitcnt lgkmcnt(0)
	s_add_u32 s6, s0, s6
	s_addc_u32 s7, s1, s7
	s_ashr_i32 s1, s8, 31
	v_cmp_gt_i32_e64 s0, s14, v14
	s_mul_i32 s1, s18, s1
	v_add3_u32 v13, v13, s1, v10
	v_lshl_or_b32 v10, v9, 8, v2
	v_lshlrev_b64 v[14:15], 3, v[12:13]
	v_add_co_u32 v12, s1, s22, v4
	v_add_co_ci_u32_e64 v13, null, s23, v5, s1
                                        ; implicit-def: $vgpr4_vgpr5
	v_add_co_u32 v14, s1, s6, v14
	v_add_co_ci_u32_e64 v15, null, s7, v15, s1
	s_mov_b64 s[6:7], 0
	s_xor_b32 s1, vcc_lo, -1
	s_branch .LBB507_8
.LBB507_7:                              ;   in Loop: Header=BB507_8 Depth=1
	s_or_b32 exec_lo, exec_lo, s17
	s_waitcnt lgkmcnt(0)
	s_barrier
	buffer_gl0_inv
	ds_read_b128 v[24:27], v8
	ds_read2_b64 v[28:31], v7 offset1:16
	ds_read_b128 v[32:35], v8 offset:1024
	ds_read_b128 v[36:39], v8 offset:16
	;; [unrolled: 1-line block ×4, first 2 shown]
	ds_read2_b64 v[48:51], v7 offset0:32 offset1:48
	ds_read_b128 v[52:55], v8 offset:1040
	s_add_u32 s6, s6, 8
	s_addc_u32 s7, s7, 0
	v_cmp_gt_i64_e64 s17, s[12:13], s[6:7]
	s_and_b32 vcc_lo, exec_lo, s17
	s_waitcnt lgkmcnt(6)
	v_mul_f32_e32 v2, v25, v29
	v_mul_f32_e32 v56, v24, v29
	;; [unrolled: 1-line block ×4, first 2 shown]
	s_waitcnt lgkmcnt(5)
	v_mul_f32_e32 v59, v33, v29
	v_mul_f32_e32 v29, v32, v29
	v_mul_f32_e32 v60, v33, v31
	v_fma_f32 v2, v24, v28, -v2
	v_fmac_f32_e32 v56, v25, v28
	v_fma_f32 v24, v24, v30, -v57
	v_fmac_f32_e32 v58, v25, v30
	;; [unrolled: 2-line block ×3, first 2 shown]
	v_mul_f32_e32 v31, v32, v31
	v_fma_f32 v28, v32, v30, -v60
	v_add_f32_e32 v2, v23, v2
	v_add_f32_e32 v23, v20, v24
	;; [unrolled: 1-line block ×5, first 2 shown]
	s_waitcnt lgkmcnt(1)
	v_mul_f32_e32 v32, v27, v49
	ds_read2_b64 v[18:21], v7 offset0:64 offset1:80
	v_fmac_f32_e32 v31, v33, v30
	v_add_f32_e32 v16, v16, v28
	v_mul_f32_e32 v28, v26, v49
	v_fma_f32 v30, v26, v48, -v32
	v_mul_f32_e32 v32, v27, v51
	v_add_f32_e32 v22, v22, v56
	v_add_f32_e32 v17, v17, v31
	v_fmac_f32_e32 v28, v27, v48
	v_mul_f32_e32 v31, v26, v51
	v_add_f32_e32 v2, v2, v30
	v_fma_f32 v26, v26, v50, -v32
	v_mul_f32_e32 v30, v35, v49
	v_add_f32_e32 v28, v22, v28
	v_fmac_f32_e32 v31, v27, v50
	v_mul_f32_e32 v22, v34, v49
	v_add_f32_e32 v26, v23, v26
	v_fma_f32 v23, v34, v48, -v30
	v_mul_f32_e32 v27, v35, v51
	v_add_f32_e32 v30, v24, v31
	v_fmac_f32_e32 v22, v35, v48
	v_mul_f32_e32 v31, v34, v51
	v_add_f32_e32 v32, v25, v23
	v_fma_f32 v23, v34, v50, -v27
	s_waitcnt lgkmcnt(0)
	v_mul_f32_e32 v24, v37, v19
	v_add_f32_e32 v27, v29, v22
	v_fmac_f32_e32 v31, v35, v50
	v_mul_f32_e32 v29, v36, v19
	v_add_f32_e32 v16, v16, v23
	v_fma_f32 v33, v36, v18, -v24
	v_mul_f32_e32 v34, v37, v21
	ds_read2_b64 v[22:25], v7 offset0:96 offset1:112
	v_fmac_f32_e32 v29, v37, v18
	v_add_f32_e32 v31, v17, v31
	v_add_f32_e32 v2, v2, v33
	v_mul_f32_e32 v17, v36, v21
	v_fma_f32 v33, v36, v20, -v34
	v_add_f32_e32 v28, v28, v29
	v_mul_f32_e32 v29, v53, v19
	v_mul_f32_e32 v19, v52, v19
	v_fmac_f32_e32 v17, v37, v20
	v_add_f32_e32 v26, v26, v33
	v_mul_f32_e32 v33, v53, v21
	v_mul_f32_e32 v21, v52, v21
	v_fmac_f32_e32 v19, v53, v18
	v_add_f32_e32 v30, v30, v17
	v_fma_f32 v29, v52, v18, -v29
	v_fma_f32 v17, v52, v20, -v33
	v_fmac_f32_e32 v21, v53, v20
	v_add_f32_e32 v33, v27, v19
	s_waitcnt lgkmcnt(0)
	v_mul_f32_e32 v20, v39, v23
	v_add_f32_e32 v34, v16, v17
	ds_read2_b64 v[16:19], v7 offset0:128 offset1:144
	v_add_f32_e32 v32, v32, v29
	v_mul_f32_e32 v27, v38, v23
	v_mul_f32_e32 v29, v39, v25
	v_fma_f32 v20, v38, v22, -v20
	v_add_f32_e32 v31, v31, v21
	v_mul_f32_e32 v21, v38, v25
	v_fmac_f32_e32 v27, v39, v22
	v_fma_f32 v29, v38, v24, -v29
	v_add_f32_e32 v2, v2, v20
	v_mul_f32_e32 v20, v55, v23
	v_fmac_f32_e32 v21, v39, v24
	v_add_f32_e32 v35, v28, v27
	v_add_f32_e32 v36, v26, v29
	v_mul_f32_e32 v23, v54, v23
	v_fma_f32 v20, v54, v22, -v20
	v_mul_f32_e32 v37, v55, v25
	ds_read_b128 v[26:29], v8 offset:1056
	v_add_f32_e32 v38, v30, v21
	v_fmac_f32_e32 v23, v55, v22
	v_mul_f32_e32 v25, v54, v25
	v_fma_f32 v21, v54, v24, -v37
	v_add_f32_e32 v37, v32, v20
	s_waitcnt lgkmcnt(1)
	v_mul_f32_e32 v20, v41, v17
	v_add_f32_e32 v39, v33, v23
	v_fmac_f32_e32 v25, v55, v24
	v_add_f32_e32 v24, v34, v21
	v_mul_f32_e32 v32, v41, v19
	v_fma_f32 v30, v40, v16, -v20
	ds_read2_b64 v[20:23], v7 offset0:160 offset1:176
	v_mul_f32_e32 v34, v40, v17
	v_add_f32_e32 v25, v31, v25
	v_fma_f32 v48, v40, v18, -v32
	v_mul_f32_e32 v40, v40, v19
	v_add_f32_e32 v2, v2, v30
	v_fmac_f32_e32 v34, v41, v16
	ds_read_b128 v[30:33], v8 offset:1072
	s_waitcnt lgkmcnt(2)
	v_mul_f32_e32 v49, v27, v17
	v_mul_f32_e32 v17, v26, v17
	v_fmac_f32_e32 v40, v41, v18
	v_mul_f32_e32 v41, v27, v19
	v_add_f32_e32 v34, v35, v34
	v_add_f32_e32 v35, v36, v48
	v_fma_f32 v36, v26, v16, -v49
	v_fmac_f32_e32 v17, v27, v16
	v_add_f32_e32 v38, v38, v40
	v_mul_f32_e32 v40, v26, v19
	v_fma_f32 v16, v26, v18, -v41
	v_add_f32_e32 v36, v37, v36
	v_add_f32_e32 v26, v39, v17
	s_waitcnt lgkmcnt(1)
	v_mul_f32_e32 v37, v43, v21
	v_fmac_f32_e32 v40, v27, v18
	v_add_f32_e32 v24, v24, v16
	ds_read2_b64 v[16:19], v7 offset0:192 offset1:208
	v_mul_f32_e32 v27, v42, v21
	v_fma_f32 v37, v42, v20, -v37
	v_mul_f32_e32 v39, v43, v23
	v_add_f32_e32 v40, v25, v40
	v_mul_f32_e32 v25, v42, v23
	v_fmac_f32_e32 v27, v43, v20
	v_add_f32_e32 v2, v2, v37
	v_fma_f32 v37, v42, v22, -v39
	v_fmac_f32_e32 v25, v43, v22
	v_add_f32_e32 v34, v34, v27
	v_mul_f32_e32 v27, v29, v21
	v_mul_f32_e32 v21, v28, v21
	v_add_f32_e32 v35, v35, v37
	v_mul_f32_e32 v37, v29, v23
	v_add_f32_e32 v38, v38, v25
	v_fma_f32 v27, v28, v20, -v27
	v_fmac_f32_e32 v21, v29, v20
	v_mul_f32_e32 v20, v28, v23
	v_fma_f32 v23, v28, v22, -v37
	s_waitcnt lgkmcnt(0)
	v_mul_f32_e32 v25, v45, v17
	v_add_f32_e32 v28, v36, v27
	v_add_f32_e32 v21, v26, v21
	v_fmac_f32_e32 v20, v29, v22
	v_add_f32_e32 v22, v24, v23
	v_fma_f32 v29, v44, v16, -v25
	ds_read2_b64 v[24:27], v7 offset0:224 offset1:240
	v_mul_f32_e32 v23, v44, v17
	v_mul_f32_e32 v37, v31, v17
	;; [unrolled: 1-line block ×4, first 2 shown]
	v_add_f32_e32 v2, v2, v29
	v_fmac_f32_e32 v23, v45, v16
	v_mul_f32_e32 v29, v44, v19
	v_fmac_f32_e32 v17, v31, v16
	v_fma_f32 v36, v44, v18, -v36
	v_add_f32_e32 v20, v40, v20
	v_add_f32_e32 v34, v34, v23
	v_fma_f32 v23, v30, v16, -v37
	v_mul_f32_e32 v16, v31, v19
	v_mul_f32_e32 v19, v30, v19
	v_fmac_f32_e32 v29, v45, v18
	v_add_f32_e32 v17, v21, v17
	v_add_f32_e32 v35, v35, v36
	v_fma_f32 v16, v30, v18, -v16
	v_fmac_f32_e32 v19, v31, v18
	s_waitcnt lgkmcnt(0)
	v_mul_f32_e32 v21, v47, v25
	v_mul_f32_e32 v18, v47, v27
	v_add_f32_e32 v28, v28, v23
	v_mul_f32_e32 v30, v46, v25
	v_mul_f32_e32 v31, v46, v27
	v_fma_f32 v21, v46, v24, -v21
	v_fma_f32 v18, v46, v26, -v18
	v_add_f32_e32 v36, v20, v19
	v_mul_f32_e32 v19, v32, v25
	v_add_f32_e32 v29, v38, v29
	v_add_f32_e32 v23, v2, v21
	;; [unrolled: 1-line block ×3, first 2 shown]
	v_mul_f32_e32 v2, v33, v25
	v_mul_f32_e32 v18, v33, v27
	;; [unrolled: 1-line block ×3, first 2 shown]
	v_add_f32_e32 v16, v22, v16
	v_fmac_f32_e32 v30, v47, v24
	v_fmac_f32_e32 v31, v47, v26
	v_fma_f32 v2, v32, v24, -v2
	v_fmac_f32_e32 v19, v33, v24
	v_fma_f32 v24, v32, v26, -v18
	v_fmac_f32_e32 v25, v33, v26
	v_add_f32_e32 v22, v34, v30
	v_add_f32_e32 v21, v29, v31
	;; [unrolled: 1-line block ×6, first 2 shown]
	s_barrier
	buffer_gl0_inv
	s_cbranch_vccz .LBB507_18
.LBB507_8:                              ; =>This Inner Loop Header: Depth=1
	s_mov_b32 s19, s16
	s_mov_b32 s17, 0
	s_and_saveexec_b32 s18, s0
	s_cbranch_execnz .LBB507_16
; %bb.9:                                ;   in Loop: Header=BB507_8 Depth=1
	s_or_b32 exec_lo, exec_lo, s18
	s_and_saveexec_b32 s18, s19
	s_xor_b32 s18, exec_lo, s18
	s_cbranch_execnz .LBB507_17
.LBB507_10:                             ;   in Loop: Header=BB507_8 Depth=1
	s_or_b32 exec_lo, exec_lo, s18
	s_and_saveexec_b32 s18, s17
	s_cbranch_execz .LBB507_12
.LBB507_11:                             ;   in Loop: Header=BB507_8 Depth=1
	v_lshlrev_b64 v[24:25], 3, v[4:5]
	v_add_co_u32 v24, vcc_lo, v14, v24
	v_add_co_ci_u32_e64 v25, null, v15, v25, vcc_lo
	flat_load_dwordx2 v[24:25], v[24:25]
	s_waitcnt vmcnt(0) lgkmcnt(0)
	ds_write_b64 v10, v[24:25]
.LBB507_12:                             ;   in Loop: Header=BB507_8 Depth=1
	s_or_b32 exec_lo, exec_lo, s18
	v_add_nc_u32_e32 v2, s6, v6
	v_cmp_le_u64_e32 vcc_lo, s[12:13], v[2:3]
	s_or_b32 s17, vcc_lo, s1
	s_and_saveexec_b32 s18, s17
	s_xor_b32 s17, exec_lo, s18
; %bb.13:                               ;   in Loop: Header=BB507_8 Depth=1
	v_mov_b32_e32 v2, v3
	ds_write_b64 v11, v[2:3]
; %bb.14:                               ;   in Loop: Header=BB507_8 Depth=1
	s_andn2_saveexec_b32 s17, s17
	s_cbranch_execz .LBB507_7
; %bb.15:                               ;   in Loop: Header=BB507_8 Depth=1
	v_lshlrev_b64 v[24:25], 3, v[2:3]
	v_add_co_u32 v24, vcc_lo, v12, v24
	v_add_co_ci_u32_e64 v25, null, v13, v25, vcc_lo
	flat_load_dwordx2 v[24:25], v[24:25]
	s_waitcnt vmcnt(0) lgkmcnt(0)
	ds_write_b64 v11, v[24:25]
	s_branch .LBB507_7
.LBB507_16:                             ;   in Loop: Header=BB507_8 Depth=1
	v_add_nc_u32_e32 v2, s6, v9
	v_mov_b32_e32 v5, v3
	s_andn2_b32 s19, s16, exec_lo
	s_mov_b32 s17, exec_lo
	v_cmp_le_u64_e32 vcc_lo, s[12:13], v[2:3]
	v_mov_b32_e32 v4, v2
	s_and_b32 s20, vcc_lo, exec_lo
	s_or_b32 s19, s19, s20
	s_or_b32 exec_lo, exec_lo, s18
	s_and_saveexec_b32 s18, s19
	s_xor_b32 s18, exec_lo, s18
	s_cbranch_execz .LBB507_10
.LBB507_17:                             ;   in Loop: Header=BB507_8 Depth=1
	v_mov_b32_e32 v2, v3
	s_andn2_b32 s17, s17, exec_lo
	ds_write_b64 v10, v[2:3]
	s_or_b32 exec_lo, exec_lo, s18
	s_and_saveexec_b32 s18, s17
	s_cbranch_execnz .LBB507_11
	s_branch .LBB507_12
.LBB507_18:
	v_add_nc_u32_e32 v9, s9, v1
	s_lshl_b64 s[0:1], s[42:43], 3
	v_add_nc_u32_e32 v0, s8, v0
	v_cmp_neq_f32_e64 s6, s2, 0
	s_waitcnt lgkmcnt(0)
	s_add_u32 s4, s4, s0
	v_ashrrev_i32_e32 v3, 31, v9
	v_mul_lo_u32 v4, s41, v9
	v_mad_u64_u32 v[1:2], null, s40, v9, 0
	s_addc_u32 s5, s5, s1
	v_mul_lo_u32 v3, s40, v3
	s_xor_b32 s7, s15, -1
	v_cmp_gt_i32_e64 s0, s14, v9
	v_cmp_le_i32_e32 vcc_lo, v0, v9
	s_or_b32 s6, s6, s7
	v_cndmask_b32_e64 v8, 0, 1, s6
	s_and_b32 s7, s0, vcc_lo
	v_add3_u32 v2, v2, v3, v4
	v_lshlrev_b64 v[2:3], 3, v[1:2]
	v_ashrrev_i32_e32 v1, 31, v0
	v_add_co_u32 v6, s1, s4, v2
	v_add_co_ci_u32_e64 v7, null, s5, v3, s1
	s_and_saveexec_b32 s1, s7
	s_cbranch_execz .LBB507_22
; %bb.19:
	v_lshlrev_b64 v[4:5], 3, v[0:1]
	v_mul_f32_e32 v2, s11, v22
	v_mul_f32_e32 v3, s10, v22
	v_fma_f32 v2, v23, s10, -v2
	v_add_co_u32 v4, vcc_lo, v6, v4
	v_fmac_f32_e32 v3, s11, v23
	v_add_co_ci_u32_e64 v5, null, v7, v5, vcc_lo
	s_andn2_b32 vcc_lo, exec_lo, s6
	s_cbranch_vccnz .LBB507_21
; %bb.20:
	flat_load_dwordx2 v[10:11], v[4:5]
	s_waitcnt vmcnt(0) lgkmcnt(0)
	v_mul_f32_e32 v12, s3, v11
	v_mul_f32_e32 v11, s2, v11
	v_fma_f32 v12, v10, s2, -v12
	v_fmac_f32_e32 v11, s3, v10
	v_add_f32_e32 v2, v2, v12
	v_add_f32_e32 v3, v3, v11
.LBB507_21:
	flat_store_dwordx2 v[4:5], v[2:3]
.LBB507_22:
	s_or_b32 exec_lo, exec_lo, s1
	v_add_nc_u32_e32 v2, 16, v0
	v_cmp_le_i32_e32 vcc_lo, v2, v9
	v_ashrrev_i32_e32 v3, 31, v2
	s_and_b32 s0, s0, vcc_lo
	s_and_saveexec_b32 s1, s0
	s_cbranch_execz .LBB507_26
; %bb.23:
	v_lshlrev_b64 v[10:11], 3, v[2:3]
	v_mul_f32_e32 v4, s11, v21
	v_mul_f32_e32 v5, s10, v21
	v_cmp_ne_u32_e32 vcc_lo, 1, v8
	v_fma_f32 v4, v20, s10, -v4
	v_add_co_u32 v6, s0, v6, v10
	v_fmac_f32_e32 v5, s11, v20
	v_add_co_ci_u32_e64 v7, null, v7, v11, s0
	s_cbranch_vccnz .LBB507_25
; %bb.24:
	flat_load_dwordx2 v[10:11], v[6:7]
	s_waitcnt vmcnt(0) lgkmcnt(0)
	v_mul_f32_e32 v12, s3, v11
	v_mul_f32_e32 v11, s2, v11
	v_fma_f32 v12, v10, s2, -v12
	v_fmac_f32_e32 v11, s3, v10
	v_add_f32_e32 v4, v4, v12
	v_add_f32_e32 v5, v5, v11
.LBB507_25:
	flat_store_dwordx2 v[6:7], v[4:5]
.LBB507_26:
	s_or_b32 exec_lo, exec_lo, s1
	v_add_nc_u32_e32 v9, 16, v9
	v_ashrrev_i32_e32 v6, 31, v9
	v_mul_lo_u32 v7, s41, v9
	v_mad_u64_u32 v[4:5], null, s40, v9, 0
	v_cmp_gt_i32_e64 s0, s14, v9
	v_mul_lo_u32 v6, s40, v6
	v_cmp_le_i32_e32 vcc_lo, v0, v9
	v_add3_u32 v5, v5, v6, v7
	v_lshlrev_b64 v[4:5], 3, v[4:5]
	v_add_co_u32 v6, s1, s4, v4
	v_add_co_ci_u32_e64 v7, null, s5, v5, s1
	s_and_b32 s1, s0, vcc_lo
	s_and_saveexec_b32 s4, s1
	s_cbranch_execz .LBB507_30
; %bb.27:
	v_lshlrev_b64 v[0:1], 3, v[0:1]
	v_mul_f32_e32 v4, s11, v19
	v_mul_f32_e32 v5, s10, v19
	v_cmp_ne_u32_e32 vcc_lo, 1, v8
	v_fma_f32 v4, v18, s10, -v4
	v_add_co_u32 v0, s1, v6, v0
	v_fmac_f32_e32 v5, s11, v18
	v_add_co_ci_u32_e64 v1, null, v7, v1, s1
	s_cbranch_vccnz .LBB507_29
; %bb.28:
	flat_load_dwordx2 v[10:11], v[0:1]
	s_waitcnt vmcnt(0) lgkmcnt(0)
	v_mul_f32_e32 v12, s3, v11
	v_mul_f32_e32 v11, s2, v11
	v_fma_f32 v12, v10, s2, -v12
	v_fmac_f32_e32 v11, s3, v10
	v_add_f32_e32 v4, v4, v12
	v_add_f32_e32 v5, v5, v11
.LBB507_29:
	flat_store_dwordx2 v[0:1], v[4:5]
.LBB507_30:
	s_or_b32 exec_lo, exec_lo, s4
	v_cmp_le_i32_e32 vcc_lo, v2, v9
	s_and_b32 s0, s0, vcc_lo
	s_and_saveexec_b32 s1, s0
	s_cbranch_execz .LBB507_34
; %bb.31:
	v_lshlrev_b64 v[2:3], 3, v[2:3]
	v_mul_f32_e32 v0, s11, v17
	v_mul_f32_e32 v1, s10, v17
	v_cmp_ne_u32_e32 vcc_lo, 1, v8
	v_fma_f32 v0, v16, s10, -v0
	v_add_co_u32 v2, s0, v6, v2
	v_fmac_f32_e32 v1, s11, v16
	v_add_co_ci_u32_e64 v3, null, v7, v3, s0
	s_cbranch_vccnz .LBB507_33
; %bb.32:
	flat_load_dwordx2 v[4:5], v[2:3]
	s_waitcnt vmcnt(0) lgkmcnt(0)
	v_mul_f32_e32 v6, s3, v5
	v_mul_f32_e32 v5, s2, v5
	v_fma_f32 v6, v4, s2, -v6
	v_fmac_f32_e32 v5, s3, v4
	v_add_f32_e32 v0, v0, v6
	v_add_f32_e32 v1, v1, v5
.LBB507_33:
	flat_store_dwordx2 v[2:3], v[0:1]
.LBB507_34:
	s_endpgm
	.section	.rodata,"a",@progbits
	.p2align	6, 0x0
	.amdhsa_kernel _ZL29rocblas_internal_gemmt_kernelIlLi16ELi32ELi8ELc84ELc78ELc85ELb0ELb0E19rocblas_complex_numIfEPKS1_PKS3_PKPS1_EviT_T9_T10_S9_lSB_S9_lSA_T11_S9_li
		.amdhsa_group_segment_fixed_size 4096
		.amdhsa_private_segment_fixed_size 0
		.amdhsa_kernarg_size 108
		.amdhsa_user_sgpr_count 6
		.amdhsa_user_sgpr_private_segment_buffer 1
		.amdhsa_user_sgpr_dispatch_ptr 0
		.amdhsa_user_sgpr_queue_ptr 0
		.amdhsa_user_sgpr_kernarg_segment_ptr 1
		.amdhsa_user_sgpr_dispatch_id 0
		.amdhsa_user_sgpr_flat_scratch_init 0
		.amdhsa_user_sgpr_private_segment_size 0
		.amdhsa_wavefront_size32 1
		.amdhsa_uses_dynamic_stack 0
		.amdhsa_system_sgpr_private_segment_wavefront_offset 0
		.amdhsa_system_sgpr_workgroup_id_x 1
		.amdhsa_system_sgpr_workgroup_id_y 1
		.amdhsa_system_sgpr_workgroup_id_z 1
		.amdhsa_system_sgpr_workgroup_info 0
		.amdhsa_system_vgpr_workitem_id 1
		.amdhsa_next_free_vgpr 61
		.amdhsa_next_free_sgpr 44
		.amdhsa_reserve_vcc 1
		.amdhsa_reserve_flat_scratch 0
		.amdhsa_float_round_mode_32 0
		.amdhsa_float_round_mode_16_64 0
		.amdhsa_float_denorm_mode_32 3
		.amdhsa_float_denorm_mode_16_64 3
		.amdhsa_dx10_clamp 1
		.amdhsa_ieee_mode 1
		.amdhsa_fp16_overflow 0
		.amdhsa_workgroup_processor_mode 1
		.amdhsa_memory_ordered 1
		.amdhsa_forward_progress 1
		.amdhsa_shared_vgpr_count 0
		.amdhsa_exception_fp_ieee_invalid_op 0
		.amdhsa_exception_fp_denorm_src 0
		.amdhsa_exception_fp_ieee_div_zero 0
		.amdhsa_exception_fp_ieee_overflow 0
		.amdhsa_exception_fp_ieee_underflow 0
		.amdhsa_exception_fp_ieee_inexact 0
		.amdhsa_exception_int_div_zero 0
	.end_amdhsa_kernel
	.section	.text._ZL29rocblas_internal_gemmt_kernelIlLi16ELi32ELi8ELc84ELc78ELc85ELb0ELb0E19rocblas_complex_numIfEPKS1_PKS3_PKPS1_EviT_T9_T10_S9_lSB_S9_lSA_T11_S9_li,"axG",@progbits,_ZL29rocblas_internal_gemmt_kernelIlLi16ELi32ELi8ELc84ELc78ELc85ELb0ELb0E19rocblas_complex_numIfEPKS1_PKS3_PKPS1_EviT_T9_T10_S9_lSB_S9_lSA_T11_S9_li,comdat
.Lfunc_end507:
	.size	_ZL29rocblas_internal_gemmt_kernelIlLi16ELi32ELi8ELc84ELc78ELc85ELb0ELb0E19rocblas_complex_numIfEPKS1_PKS3_PKPS1_EviT_T9_T10_S9_lSB_S9_lSA_T11_S9_li, .Lfunc_end507-_ZL29rocblas_internal_gemmt_kernelIlLi16ELi32ELi8ELc84ELc78ELc85ELb0ELb0E19rocblas_complex_numIfEPKS1_PKS3_PKPS1_EviT_T9_T10_S9_lSB_S9_lSA_T11_S9_li
                                        ; -- End function
	.set _ZL29rocblas_internal_gemmt_kernelIlLi16ELi32ELi8ELc84ELc78ELc85ELb0ELb0E19rocblas_complex_numIfEPKS1_PKS3_PKPS1_EviT_T9_T10_S9_lSB_S9_lSA_T11_S9_li.num_vgpr, 61
	.set _ZL29rocblas_internal_gemmt_kernelIlLi16ELi32ELi8ELc84ELc78ELc85ELb0ELb0E19rocblas_complex_numIfEPKS1_PKS3_PKPS1_EviT_T9_T10_S9_lSB_S9_lSA_T11_S9_li.num_agpr, 0
	.set _ZL29rocblas_internal_gemmt_kernelIlLi16ELi32ELi8ELc84ELc78ELc85ELb0ELb0E19rocblas_complex_numIfEPKS1_PKS3_PKPS1_EviT_T9_T10_S9_lSB_S9_lSA_T11_S9_li.numbered_sgpr, 44
	.set _ZL29rocblas_internal_gemmt_kernelIlLi16ELi32ELi8ELc84ELc78ELc85ELb0ELb0E19rocblas_complex_numIfEPKS1_PKS3_PKPS1_EviT_T9_T10_S9_lSB_S9_lSA_T11_S9_li.num_named_barrier, 0
	.set _ZL29rocblas_internal_gemmt_kernelIlLi16ELi32ELi8ELc84ELc78ELc85ELb0ELb0E19rocblas_complex_numIfEPKS1_PKS3_PKPS1_EviT_T9_T10_S9_lSB_S9_lSA_T11_S9_li.private_seg_size, 0
	.set _ZL29rocblas_internal_gemmt_kernelIlLi16ELi32ELi8ELc84ELc78ELc85ELb0ELb0E19rocblas_complex_numIfEPKS1_PKS3_PKPS1_EviT_T9_T10_S9_lSB_S9_lSA_T11_S9_li.uses_vcc, 1
	.set _ZL29rocblas_internal_gemmt_kernelIlLi16ELi32ELi8ELc84ELc78ELc85ELb0ELb0E19rocblas_complex_numIfEPKS1_PKS3_PKPS1_EviT_T9_T10_S9_lSB_S9_lSA_T11_S9_li.uses_flat_scratch, 0
	.set _ZL29rocblas_internal_gemmt_kernelIlLi16ELi32ELi8ELc84ELc78ELc85ELb0ELb0E19rocblas_complex_numIfEPKS1_PKS3_PKPS1_EviT_T9_T10_S9_lSB_S9_lSA_T11_S9_li.has_dyn_sized_stack, 0
	.set _ZL29rocblas_internal_gemmt_kernelIlLi16ELi32ELi8ELc84ELc78ELc85ELb0ELb0E19rocblas_complex_numIfEPKS1_PKS3_PKPS1_EviT_T9_T10_S9_lSB_S9_lSA_T11_S9_li.has_recursion, 0
	.set _ZL29rocblas_internal_gemmt_kernelIlLi16ELi32ELi8ELc84ELc78ELc85ELb0ELb0E19rocblas_complex_numIfEPKS1_PKS3_PKPS1_EviT_T9_T10_S9_lSB_S9_lSA_T11_S9_li.has_indirect_call, 0
	.section	.AMDGPU.csdata,"",@progbits
; Kernel info:
; codeLenInByte = 2628
; TotalNumSgprs: 46
; NumVgprs: 61
; ScratchSize: 0
; MemoryBound: 0
; FloatMode: 240
; IeeeMode: 1
; LDSByteSize: 4096 bytes/workgroup (compile time only)
; SGPRBlocks: 0
; VGPRBlocks: 7
; NumSGPRsForWavesPerEU: 46
; NumVGPRsForWavesPerEU: 61
; Occupancy: 16
; WaveLimiterHint : 1
; COMPUTE_PGM_RSRC2:SCRATCH_EN: 0
; COMPUTE_PGM_RSRC2:USER_SGPR: 6
; COMPUTE_PGM_RSRC2:TRAP_HANDLER: 0
; COMPUTE_PGM_RSRC2:TGID_X_EN: 1
; COMPUTE_PGM_RSRC2:TGID_Y_EN: 1
; COMPUTE_PGM_RSRC2:TGID_Z_EN: 1
; COMPUTE_PGM_RSRC2:TIDIG_COMP_CNT: 1
	.section	.text._ZL29rocblas_internal_gemmt_kernelIlLi16ELi32ELi8ELc84ELc84ELc85ELb0ELb0E19rocblas_complex_numIfEPKS1_PKS3_PKPS1_EviT_T9_T10_S9_lSB_S9_lSA_T11_S9_li,"axG",@progbits,_ZL29rocblas_internal_gemmt_kernelIlLi16ELi32ELi8ELc84ELc84ELc85ELb0ELb0E19rocblas_complex_numIfEPKS1_PKS3_PKPS1_EviT_T9_T10_S9_lSB_S9_lSA_T11_S9_li,comdat
	.globl	_ZL29rocblas_internal_gemmt_kernelIlLi16ELi32ELi8ELc84ELc84ELc85ELb0ELb0E19rocblas_complex_numIfEPKS1_PKS3_PKPS1_EviT_T9_T10_S9_lSB_S9_lSA_T11_S9_li ; -- Begin function _ZL29rocblas_internal_gemmt_kernelIlLi16ELi32ELi8ELc84ELc84ELc85ELb0ELb0E19rocblas_complex_numIfEPKS1_PKS3_PKPS1_EviT_T9_T10_S9_lSB_S9_lSA_T11_S9_li
	.p2align	8
	.type	_ZL29rocblas_internal_gemmt_kernelIlLi16ELi32ELi8ELc84ELc84ELc85ELb0ELb0E19rocblas_complex_numIfEPKS1_PKS3_PKPS1_EviT_T9_T10_S9_lSB_S9_lSA_T11_S9_li,@function
_ZL29rocblas_internal_gemmt_kernelIlLi16ELi32ELi8ELc84ELc84ELc85ELb0ELb0E19rocblas_complex_numIfEPKS1_PKS3_PKPS1_EviT_T9_T10_S9_lSB_S9_lSA_T11_S9_li: ; @_ZL29rocblas_internal_gemmt_kernelIlLi16ELi32ELi8ELc84ELc84ELc85ELb0ELb0E19rocblas_complex_numIfEPKS1_PKS3_PKPS1_EviT_T9_T10_S9_lSB_S9_lSA_T11_S9_li
; %bb.0:
	s_clause 0x1
	s_load_dwordx8 s[36:43], s[4:5], 0x48
	s_load_dwordx16 s[12:27], s[4:5], 0x8
	s_waitcnt lgkmcnt(0)
	s_load_dwordx2 s[2:3], s[36:37], 0x0
	s_load_dwordx2 s[10:11], s[14:15], 0x0
	s_waitcnt lgkmcnt(0)
	s_and_b32 s0, s3, 0x7fffffff
	v_cmp_eq_f32_e64 s1, s2, 1.0
	s_cmp_eq_u32 s0, 0
	s_mov_b32 s0, 0
	s_cselect_b32 s15, -1, 0
	s_and_b32 s1, s1, s15
	s_andn2_b32 vcc_lo, exec_lo, s1
	s_mov_b32 s1, -1
	s_cbranch_vccnz .LBB508_4
; %bb.1:
	s_cmp_lg_u64 s[12:13], 0
	s_cbranch_scc0 .LBB508_3
; %bb.2:
	v_cmp_neq_f32_e64 s0, s10, 0
	v_cmp_neq_f32_e64 s1, s11, 0
	s_or_b32 s0, s0, s1
.LBB508_3:
	s_mov_b32 s1, s0
.LBB508_4:
	s_and_b32 vcc_lo, exec_lo, s1
	s_cbranch_vccz .LBB508_34
; %bb.5:
	s_mov_b32 s9, 0
	s_load_dword s14, s[4:5], 0x0
	s_lshl_b64 s[0:1], s[8:9], 3
	v_cmp_eq_f32_e64 s8, s10, 0
	s_add_u32 s4, s38, s0
	s_addc_u32 s5, s39, s1
	v_cmp_eq_f32_e64 s9, s11, 0
	s_load_dwordx2 s[4:5], s[4:5], 0x0
	v_cmp_lt_i64_e64 s28, s[12:13], 1
	v_mov_b32_e32 v23, 0
	v_mov_b32_e32 v22, 0
	s_and_b32 s9, s8, s9
	v_mov_b32_e32 v20, 0
	v_mov_b32_e32 v21, 0
	v_mov_b32_e32 v18, 0
	v_mov_b32_e32 v19, 0
	v_mov_b32_e32 v16, 0
	v_mov_b32_e32 v17, 0
	s_lshl_b32 s8, s6, 5
	s_or_b32 s6, s9, s28
	s_lshl_b32 s9, s7, 5
	s_and_b32 vcc_lo, exec_lo, s6
	s_cbranch_vccnz .LBB508_18
; %bb.6:
	s_add_u32 s6, s22, s0
	s_addc_u32 s7, s23, s1
	s_lshl_b64 s[22:23], s[26:27], 3
	s_load_dwordx2 s[6:7], s[6:7], 0x0
	v_lshl_add_u32 v2, v1, 4, v0
	v_and_b32_e32 v6, 7, v0
	v_lshlrev_b32_e32 v7, 3, v0
	v_lshl_add_u32 v8, v1, 6, 0x800
	v_mov_b32_e32 v3, 0
	v_and_b32_e32 v5, 31, v2
	v_lshrrev_b32_e32 v10, 3, v2
	v_lshlrev_b32_e32 v11, 3, v6
	v_lshrrev_b32_e32 v9, 5, v2
	v_mov_b32_e32 v17, 0
	v_or_b32_e32 v14, s8, v5
	v_add_nc_u32_e32 v4, s9, v10
	v_lshl_or_b32 v11, v10, 6, v11
	v_lshlrev_b32_e32 v2, 3, v5
	v_mov_b32_e32 v16, 0
	v_mul_lo_u32 v10, s19, v14
	v_mad_u64_u32 v[12:13], null, s18, v14, 0
	v_ashrrev_i32_e32 v5, 31, v4
	s_waitcnt lgkmcnt(0)
	s_add_u32 s22, s6, s22
	s_addc_u32 s23, s7, s23
	s_add_u32 s0, s16, s0
	s_addc_u32 s1, s17, s1
	s_lshl_b64 s[6:7], s[20:21], 3
	s_load_dwordx2 s[0:1], s[0:1], 0x0
	v_cmp_le_i32_e64 s16, s14, v14
	v_cmp_gt_i32_e32 vcc_lo, s14, v4
	v_mov_b32_e32 v19, 0
	v_mov_b32_e32 v18, 0
	;; [unrolled: 1-line block ×5, first 2 shown]
	v_add_nc_u32_e32 v11, 0x800, v11
	v_mov_b32_e32 v23, 0
	s_waitcnt lgkmcnt(0)
	s_add_u32 s6, s0, s6
	s_addc_u32 s7, s1, s7
	s_ashr_i32 s1, s8, 31
	v_cmp_gt_i32_e64 s0, s14, v14
	s_mul_i32 s1, s18, s1
	v_lshlrev_b64 v[14:15], 3, v[4:5]
	v_add3_u32 v13, v13, s1, v10
	v_lshl_or_b32 v10, v9, 8, v2
	v_lshlrev_b64 v[4:5], 3, v[12:13]
	v_add_co_u32 v12, s1, s22, v14
	v_add_co_ci_u32_e64 v13, null, s23, v15, s1
	v_add_co_u32 v14, s1, s6, v4
	v_add_co_ci_u32_e64 v15, null, s7, v5, s1
	s_mov_b64 s[6:7], 0
	s_xor_b32 s1, vcc_lo, -1
                                        ; implicit-def: $vgpr4_vgpr5
	s_branch .LBB508_8
.LBB508_7:                              ;   in Loop: Header=BB508_8 Depth=1
	s_or_b32 exec_lo, exec_lo, s17
	s_waitcnt lgkmcnt(0)
	s_barrier
	buffer_gl0_inv
	ds_read_b128 v[24:27], v8
	ds_read2_b64 v[28:31], v7 offset1:16
	ds_read_b128 v[32:35], v8 offset:1024
	ds_read_b128 v[36:39], v8 offset:16
	ds_read_b128 v[40:43], v8 offset:32
	ds_read_b128 v[44:47], v8 offset:48
	ds_read2_b64 v[48:51], v7 offset0:32 offset1:48
	ds_read_b128 v[52:55], v8 offset:1040
	s_add_u32 s6, s6, 8
	s_addc_u32 s7, s7, 0
	v_cmp_gt_i64_e64 s17, s[12:13], s[6:7]
	s_and_b32 vcc_lo, exec_lo, s17
	s_waitcnt lgkmcnt(6)
	v_mul_f32_e32 v2, v25, v29
	v_mul_f32_e32 v56, v24, v29
	;; [unrolled: 1-line block ×4, first 2 shown]
	s_waitcnt lgkmcnt(5)
	v_mul_f32_e32 v59, v33, v29
	v_mul_f32_e32 v29, v32, v29
	;; [unrolled: 1-line block ×3, first 2 shown]
	v_fma_f32 v2, v24, v28, -v2
	v_fmac_f32_e32 v56, v25, v28
	v_fma_f32 v24, v24, v30, -v57
	v_fmac_f32_e32 v58, v25, v30
	v_fma_f32 v25, v32, v28, -v59
	v_fmac_f32_e32 v29, v33, v28
	v_mul_f32_e32 v31, v32, v31
	v_fma_f32 v28, v32, v30, -v60
	v_add_f32_e32 v2, v23, v2
	v_add_f32_e32 v23, v20, v24
	;; [unrolled: 1-line block ×5, first 2 shown]
	s_waitcnt lgkmcnt(1)
	v_mul_f32_e32 v32, v27, v49
	ds_read2_b64 v[18:21], v7 offset0:64 offset1:80
	v_fmac_f32_e32 v31, v33, v30
	v_add_f32_e32 v16, v16, v28
	v_mul_f32_e32 v28, v26, v49
	v_fma_f32 v30, v26, v48, -v32
	v_mul_f32_e32 v32, v27, v51
	v_add_f32_e32 v22, v22, v56
	v_add_f32_e32 v17, v17, v31
	v_fmac_f32_e32 v28, v27, v48
	v_mul_f32_e32 v31, v26, v51
	v_add_f32_e32 v2, v2, v30
	v_fma_f32 v26, v26, v50, -v32
	v_mul_f32_e32 v30, v35, v49
	v_add_f32_e32 v28, v22, v28
	v_fmac_f32_e32 v31, v27, v50
	v_mul_f32_e32 v22, v34, v49
	v_add_f32_e32 v26, v23, v26
	v_fma_f32 v23, v34, v48, -v30
	v_mul_f32_e32 v27, v35, v51
	v_add_f32_e32 v30, v24, v31
	v_fmac_f32_e32 v22, v35, v48
	v_mul_f32_e32 v31, v34, v51
	v_add_f32_e32 v32, v25, v23
	v_fma_f32 v23, v34, v50, -v27
	s_waitcnt lgkmcnt(0)
	v_mul_f32_e32 v24, v37, v19
	v_add_f32_e32 v27, v29, v22
	v_fmac_f32_e32 v31, v35, v50
	v_mul_f32_e32 v29, v36, v19
	v_add_f32_e32 v16, v16, v23
	v_fma_f32 v33, v36, v18, -v24
	v_mul_f32_e32 v34, v37, v21
	ds_read2_b64 v[22:25], v7 offset0:96 offset1:112
	v_fmac_f32_e32 v29, v37, v18
	v_add_f32_e32 v31, v17, v31
	v_add_f32_e32 v2, v2, v33
	v_mul_f32_e32 v17, v36, v21
	v_fma_f32 v33, v36, v20, -v34
	v_add_f32_e32 v28, v28, v29
	v_mul_f32_e32 v29, v53, v19
	v_mul_f32_e32 v19, v52, v19
	v_fmac_f32_e32 v17, v37, v20
	v_add_f32_e32 v26, v26, v33
	v_mul_f32_e32 v33, v53, v21
	v_mul_f32_e32 v21, v52, v21
	v_fmac_f32_e32 v19, v53, v18
	v_add_f32_e32 v30, v30, v17
	v_fma_f32 v29, v52, v18, -v29
	v_fma_f32 v17, v52, v20, -v33
	v_fmac_f32_e32 v21, v53, v20
	v_add_f32_e32 v33, v27, v19
	s_waitcnt lgkmcnt(0)
	v_mul_f32_e32 v20, v39, v23
	v_add_f32_e32 v34, v16, v17
	ds_read2_b64 v[16:19], v7 offset0:128 offset1:144
	v_add_f32_e32 v32, v32, v29
	v_mul_f32_e32 v27, v38, v23
	v_mul_f32_e32 v29, v39, v25
	v_fma_f32 v20, v38, v22, -v20
	v_add_f32_e32 v31, v31, v21
	v_mul_f32_e32 v21, v38, v25
	v_fmac_f32_e32 v27, v39, v22
	v_fma_f32 v29, v38, v24, -v29
	v_add_f32_e32 v2, v2, v20
	v_mul_f32_e32 v20, v55, v23
	v_fmac_f32_e32 v21, v39, v24
	v_add_f32_e32 v35, v28, v27
	v_add_f32_e32 v36, v26, v29
	v_mul_f32_e32 v23, v54, v23
	v_fma_f32 v20, v54, v22, -v20
	v_mul_f32_e32 v37, v55, v25
	ds_read_b128 v[26:29], v8 offset:1056
	v_add_f32_e32 v38, v30, v21
	v_fmac_f32_e32 v23, v55, v22
	v_mul_f32_e32 v25, v54, v25
	v_fma_f32 v21, v54, v24, -v37
	v_add_f32_e32 v37, v32, v20
	s_waitcnt lgkmcnt(1)
	v_mul_f32_e32 v20, v41, v17
	v_add_f32_e32 v39, v33, v23
	v_fmac_f32_e32 v25, v55, v24
	v_add_f32_e32 v24, v34, v21
	v_mul_f32_e32 v32, v41, v19
	v_fma_f32 v30, v40, v16, -v20
	ds_read2_b64 v[20:23], v7 offset0:160 offset1:176
	v_mul_f32_e32 v34, v40, v17
	v_add_f32_e32 v25, v31, v25
	v_fma_f32 v48, v40, v18, -v32
	v_mul_f32_e32 v40, v40, v19
	v_add_f32_e32 v2, v2, v30
	v_fmac_f32_e32 v34, v41, v16
	ds_read_b128 v[30:33], v8 offset:1072
	s_waitcnt lgkmcnt(2)
	v_mul_f32_e32 v49, v27, v17
	v_mul_f32_e32 v17, v26, v17
	v_fmac_f32_e32 v40, v41, v18
	v_mul_f32_e32 v41, v27, v19
	v_add_f32_e32 v34, v35, v34
	v_add_f32_e32 v35, v36, v48
	v_fma_f32 v36, v26, v16, -v49
	v_fmac_f32_e32 v17, v27, v16
	v_add_f32_e32 v38, v38, v40
	v_mul_f32_e32 v40, v26, v19
	v_fma_f32 v16, v26, v18, -v41
	v_add_f32_e32 v36, v37, v36
	v_add_f32_e32 v26, v39, v17
	s_waitcnt lgkmcnt(1)
	v_mul_f32_e32 v37, v43, v21
	v_fmac_f32_e32 v40, v27, v18
	v_add_f32_e32 v24, v24, v16
	ds_read2_b64 v[16:19], v7 offset0:192 offset1:208
	v_mul_f32_e32 v27, v42, v21
	v_fma_f32 v37, v42, v20, -v37
	v_mul_f32_e32 v39, v43, v23
	v_add_f32_e32 v40, v25, v40
	v_mul_f32_e32 v25, v42, v23
	v_fmac_f32_e32 v27, v43, v20
	v_add_f32_e32 v2, v2, v37
	v_fma_f32 v37, v42, v22, -v39
	v_fmac_f32_e32 v25, v43, v22
	v_add_f32_e32 v34, v34, v27
	v_mul_f32_e32 v27, v29, v21
	v_mul_f32_e32 v21, v28, v21
	v_add_f32_e32 v35, v35, v37
	v_mul_f32_e32 v37, v29, v23
	v_add_f32_e32 v38, v38, v25
	v_fma_f32 v27, v28, v20, -v27
	v_fmac_f32_e32 v21, v29, v20
	v_mul_f32_e32 v20, v28, v23
	v_fma_f32 v23, v28, v22, -v37
	s_waitcnt lgkmcnt(0)
	v_mul_f32_e32 v25, v45, v17
	v_add_f32_e32 v28, v36, v27
	v_add_f32_e32 v21, v26, v21
	v_fmac_f32_e32 v20, v29, v22
	v_add_f32_e32 v22, v24, v23
	v_fma_f32 v29, v44, v16, -v25
	ds_read2_b64 v[24:27], v7 offset0:224 offset1:240
	v_mul_f32_e32 v23, v44, v17
	v_mul_f32_e32 v37, v31, v17
	;; [unrolled: 1-line block ×4, first 2 shown]
	v_add_f32_e32 v2, v2, v29
	v_fmac_f32_e32 v23, v45, v16
	v_mul_f32_e32 v29, v44, v19
	v_fmac_f32_e32 v17, v31, v16
	v_fma_f32 v36, v44, v18, -v36
	v_add_f32_e32 v20, v40, v20
	v_add_f32_e32 v34, v34, v23
	v_fma_f32 v23, v30, v16, -v37
	v_mul_f32_e32 v16, v31, v19
	v_mul_f32_e32 v19, v30, v19
	v_fmac_f32_e32 v29, v45, v18
	v_add_f32_e32 v17, v21, v17
	v_add_f32_e32 v35, v35, v36
	v_fma_f32 v16, v30, v18, -v16
	v_fmac_f32_e32 v19, v31, v18
	s_waitcnt lgkmcnt(0)
	v_mul_f32_e32 v21, v47, v25
	v_mul_f32_e32 v18, v47, v27
	v_add_f32_e32 v28, v28, v23
	v_mul_f32_e32 v30, v46, v25
	v_mul_f32_e32 v31, v46, v27
	v_fma_f32 v21, v46, v24, -v21
	v_fma_f32 v18, v46, v26, -v18
	v_add_f32_e32 v36, v20, v19
	v_mul_f32_e32 v19, v32, v25
	v_add_f32_e32 v29, v38, v29
	v_add_f32_e32 v23, v2, v21
	;; [unrolled: 1-line block ×3, first 2 shown]
	v_mul_f32_e32 v2, v33, v25
	v_mul_f32_e32 v18, v33, v27
	;; [unrolled: 1-line block ×3, first 2 shown]
	v_add_f32_e32 v16, v22, v16
	v_fmac_f32_e32 v30, v47, v24
	v_fmac_f32_e32 v31, v47, v26
	v_fma_f32 v2, v32, v24, -v2
	v_fmac_f32_e32 v19, v33, v24
	v_fma_f32 v24, v32, v26, -v18
	v_fmac_f32_e32 v25, v33, v26
	v_add_f32_e32 v22, v34, v30
	v_add_f32_e32 v21, v29, v31
	;; [unrolled: 1-line block ×6, first 2 shown]
	s_barrier
	buffer_gl0_inv
	s_cbranch_vccz .LBB508_18
.LBB508_8:                              ; =>This Inner Loop Header: Depth=1
	s_mov_b32 s19, s16
	s_mov_b32 s17, 0
	s_and_saveexec_b32 s18, s0
	s_cbranch_execnz .LBB508_16
; %bb.9:                                ;   in Loop: Header=BB508_8 Depth=1
	s_or_b32 exec_lo, exec_lo, s18
	s_and_saveexec_b32 s18, s19
	s_xor_b32 s18, exec_lo, s18
	s_cbranch_execnz .LBB508_17
.LBB508_10:                             ;   in Loop: Header=BB508_8 Depth=1
	s_or_b32 exec_lo, exec_lo, s18
	s_and_saveexec_b32 s18, s17
	s_cbranch_execz .LBB508_12
.LBB508_11:                             ;   in Loop: Header=BB508_8 Depth=1
	v_lshlrev_b64 v[24:25], 3, v[4:5]
	v_add_co_u32 v24, vcc_lo, v14, v24
	v_add_co_ci_u32_e64 v25, null, v15, v25, vcc_lo
	flat_load_dwordx2 v[24:25], v[24:25]
	s_waitcnt vmcnt(0) lgkmcnt(0)
	ds_write_b64 v10, v[24:25]
.LBB508_12:                             ;   in Loop: Header=BB508_8 Depth=1
	s_or_b32 exec_lo, exec_lo, s18
	v_add_nc_u32_e32 v2, s6, v6
	v_cmp_le_u64_e32 vcc_lo, s[12:13], v[2:3]
	s_or_b32 s17, vcc_lo, s1
	s_and_saveexec_b32 s18, s17
	s_xor_b32 s17, exec_lo, s18
; %bb.13:                               ;   in Loop: Header=BB508_8 Depth=1
	v_mov_b32_e32 v2, v3
	ds_write_b64 v11, v[2:3]
; %bb.14:                               ;   in Loop: Header=BB508_8 Depth=1
	s_andn2_saveexec_b32 s17, s17
	s_cbranch_execz .LBB508_7
; %bb.15:                               ;   in Loop: Header=BB508_8 Depth=1
	v_mad_u64_u32 v[24:25], null, s24, v2, 0
	v_mad_u64_u32 v[25:26], null, s25, v2, v[25:26]
	v_lshlrev_b64 v[24:25], 3, v[24:25]
	v_add_co_u32 v24, vcc_lo, v12, v24
	v_add_co_ci_u32_e64 v25, null, v13, v25, vcc_lo
	flat_load_dwordx2 v[24:25], v[24:25]
	s_waitcnt vmcnt(0) lgkmcnt(0)
	ds_write_b64 v11, v[24:25]
	s_branch .LBB508_7
.LBB508_16:                             ;   in Loop: Header=BB508_8 Depth=1
	v_add_nc_u32_e32 v2, s6, v9
	v_mov_b32_e32 v5, v3
	s_andn2_b32 s19, s16, exec_lo
	s_mov_b32 s17, exec_lo
	v_cmp_le_u64_e32 vcc_lo, s[12:13], v[2:3]
	v_mov_b32_e32 v4, v2
	s_and_b32 s20, vcc_lo, exec_lo
	s_or_b32 s19, s19, s20
	s_or_b32 exec_lo, exec_lo, s18
	s_and_saveexec_b32 s18, s19
	s_xor_b32 s18, exec_lo, s18
	s_cbranch_execz .LBB508_10
.LBB508_17:                             ;   in Loop: Header=BB508_8 Depth=1
	v_mov_b32_e32 v2, v3
	s_andn2_b32 s17, s17, exec_lo
	ds_write_b64 v10, v[2:3]
	s_or_b32 exec_lo, exec_lo, s18
	s_and_saveexec_b32 s18, s17
	s_cbranch_execnz .LBB508_11
	s_branch .LBB508_12
.LBB508_18:
	v_add_nc_u32_e32 v9, s9, v1
	s_lshl_b64 s[0:1], s[42:43], 3
	v_add_nc_u32_e32 v0, s8, v0
	v_cmp_neq_f32_e64 s6, s2, 0
	s_waitcnt lgkmcnt(0)
	s_add_u32 s4, s4, s0
	v_ashrrev_i32_e32 v3, 31, v9
	v_mul_lo_u32 v4, s41, v9
	v_mad_u64_u32 v[1:2], null, s40, v9, 0
	s_addc_u32 s5, s5, s1
	v_mul_lo_u32 v3, s40, v3
	s_xor_b32 s7, s15, -1
	v_cmp_gt_i32_e64 s0, s14, v9
	v_cmp_le_i32_e32 vcc_lo, v0, v9
	s_or_b32 s6, s6, s7
	v_cndmask_b32_e64 v8, 0, 1, s6
	s_and_b32 s7, s0, vcc_lo
	v_add3_u32 v2, v2, v3, v4
	v_lshlrev_b64 v[2:3], 3, v[1:2]
	v_ashrrev_i32_e32 v1, 31, v0
	v_add_co_u32 v6, s1, s4, v2
	v_add_co_ci_u32_e64 v7, null, s5, v3, s1
	s_and_saveexec_b32 s1, s7
	s_cbranch_execz .LBB508_22
; %bb.19:
	v_lshlrev_b64 v[4:5], 3, v[0:1]
	v_mul_f32_e32 v2, s11, v22
	v_mul_f32_e32 v3, s10, v22
	v_fma_f32 v2, v23, s10, -v2
	v_add_co_u32 v4, vcc_lo, v6, v4
	v_fmac_f32_e32 v3, s11, v23
	v_add_co_ci_u32_e64 v5, null, v7, v5, vcc_lo
	s_andn2_b32 vcc_lo, exec_lo, s6
	s_cbranch_vccnz .LBB508_21
; %bb.20:
	flat_load_dwordx2 v[10:11], v[4:5]
	s_waitcnt vmcnt(0) lgkmcnt(0)
	v_mul_f32_e32 v12, s3, v11
	v_mul_f32_e32 v11, s2, v11
	v_fma_f32 v12, v10, s2, -v12
	v_fmac_f32_e32 v11, s3, v10
	v_add_f32_e32 v2, v2, v12
	v_add_f32_e32 v3, v3, v11
.LBB508_21:
	flat_store_dwordx2 v[4:5], v[2:3]
.LBB508_22:
	s_or_b32 exec_lo, exec_lo, s1
	v_add_nc_u32_e32 v2, 16, v0
	v_cmp_le_i32_e32 vcc_lo, v2, v9
	v_ashrrev_i32_e32 v3, 31, v2
	s_and_b32 s0, s0, vcc_lo
	s_and_saveexec_b32 s1, s0
	s_cbranch_execz .LBB508_26
; %bb.23:
	v_lshlrev_b64 v[10:11], 3, v[2:3]
	v_mul_f32_e32 v4, s11, v21
	v_mul_f32_e32 v5, s10, v21
	v_cmp_ne_u32_e32 vcc_lo, 1, v8
	v_fma_f32 v4, v20, s10, -v4
	v_add_co_u32 v6, s0, v6, v10
	v_fmac_f32_e32 v5, s11, v20
	v_add_co_ci_u32_e64 v7, null, v7, v11, s0
	s_cbranch_vccnz .LBB508_25
; %bb.24:
	flat_load_dwordx2 v[10:11], v[6:7]
	s_waitcnt vmcnt(0) lgkmcnt(0)
	v_mul_f32_e32 v12, s3, v11
	v_mul_f32_e32 v11, s2, v11
	v_fma_f32 v12, v10, s2, -v12
	v_fmac_f32_e32 v11, s3, v10
	v_add_f32_e32 v4, v4, v12
	v_add_f32_e32 v5, v5, v11
.LBB508_25:
	flat_store_dwordx2 v[6:7], v[4:5]
.LBB508_26:
	s_or_b32 exec_lo, exec_lo, s1
	v_add_nc_u32_e32 v9, 16, v9
	v_ashrrev_i32_e32 v6, 31, v9
	v_mul_lo_u32 v7, s41, v9
	v_mad_u64_u32 v[4:5], null, s40, v9, 0
	v_cmp_gt_i32_e64 s0, s14, v9
	v_mul_lo_u32 v6, s40, v6
	v_cmp_le_i32_e32 vcc_lo, v0, v9
	v_add3_u32 v5, v5, v6, v7
	v_lshlrev_b64 v[4:5], 3, v[4:5]
	v_add_co_u32 v6, s1, s4, v4
	v_add_co_ci_u32_e64 v7, null, s5, v5, s1
	s_and_b32 s1, s0, vcc_lo
	s_and_saveexec_b32 s4, s1
	s_cbranch_execz .LBB508_30
; %bb.27:
	v_lshlrev_b64 v[0:1], 3, v[0:1]
	v_mul_f32_e32 v4, s11, v19
	v_mul_f32_e32 v5, s10, v19
	v_cmp_ne_u32_e32 vcc_lo, 1, v8
	v_fma_f32 v4, v18, s10, -v4
	v_add_co_u32 v0, s1, v6, v0
	v_fmac_f32_e32 v5, s11, v18
	v_add_co_ci_u32_e64 v1, null, v7, v1, s1
	s_cbranch_vccnz .LBB508_29
; %bb.28:
	flat_load_dwordx2 v[10:11], v[0:1]
	s_waitcnt vmcnt(0) lgkmcnt(0)
	v_mul_f32_e32 v12, s3, v11
	v_mul_f32_e32 v11, s2, v11
	v_fma_f32 v12, v10, s2, -v12
	v_fmac_f32_e32 v11, s3, v10
	v_add_f32_e32 v4, v4, v12
	v_add_f32_e32 v5, v5, v11
.LBB508_29:
	flat_store_dwordx2 v[0:1], v[4:5]
.LBB508_30:
	s_or_b32 exec_lo, exec_lo, s4
	v_cmp_le_i32_e32 vcc_lo, v2, v9
	s_and_b32 s0, s0, vcc_lo
	s_and_saveexec_b32 s1, s0
	s_cbranch_execz .LBB508_34
; %bb.31:
	v_lshlrev_b64 v[2:3], 3, v[2:3]
	v_mul_f32_e32 v0, s11, v17
	v_mul_f32_e32 v1, s10, v17
	v_cmp_ne_u32_e32 vcc_lo, 1, v8
	v_fma_f32 v0, v16, s10, -v0
	v_add_co_u32 v2, s0, v6, v2
	v_fmac_f32_e32 v1, s11, v16
	v_add_co_ci_u32_e64 v3, null, v7, v3, s0
	s_cbranch_vccnz .LBB508_33
; %bb.32:
	flat_load_dwordx2 v[4:5], v[2:3]
	s_waitcnt vmcnt(0) lgkmcnt(0)
	v_mul_f32_e32 v6, s3, v5
	v_mul_f32_e32 v5, s2, v5
	v_fma_f32 v6, v4, s2, -v6
	v_fmac_f32_e32 v5, s3, v4
	v_add_f32_e32 v0, v0, v6
	v_add_f32_e32 v1, v1, v5
.LBB508_33:
	flat_store_dwordx2 v[2:3], v[0:1]
.LBB508_34:
	s_endpgm
	.section	.rodata,"a",@progbits
	.p2align	6, 0x0
	.amdhsa_kernel _ZL29rocblas_internal_gemmt_kernelIlLi16ELi32ELi8ELc84ELc84ELc85ELb0ELb0E19rocblas_complex_numIfEPKS1_PKS3_PKPS1_EviT_T9_T10_S9_lSB_S9_lSA_T11_S9_li
		.amdhsa_group_segment_fixed_size 4096
		.amdhsa_private_segment_fixed_size 0
		.amdhsa_kernarg_size 108
		.amdhsa_user_sgpr_count 6
		.amdhsa_user_sgpr_private_segment_buffer 1
		.amdhsa_user_sgpr_dispatch_ptr 0
		.amdhsa_user_sgpr_queue_ptr 0
		.amdhsa_user_sgpr_kernarg_segment_ptr 1
		.amdhsa_user_sgpr_dispatch_id 0
		.amdhsa_user_sgpr_flat_scratch_init 0
		.amdhsa_user_sgpr_private_segment_size 0
		.amdhsa_wavefront_size32 1
		.amdhsa_uses_dynamic_stack 0
		.amdhsa_system_sgpr_private_segment_wavefront_offset 0
		.amdhsa_system_sgpr_workgroup_id_x 1
		.amdhsa_system_sgpr_workgroup_id_y 1
		.amdhsa_system_sgpr_workgroup_id_z 1
		.amdhsa_system_sgpr_workgroup_info 0
		.amdhsa_system_vgpr_workitem_id 1
		.amdhsa_next_free_vgpr 61
		.amdhsa_next_free_sgpr 44
		.amdhsa_reserve_vcc 1
		.amdhsa_reserve_flat_scratch 0
		.amdhsa_float_round_mode_32 0
		.amdhsa_float_round_mode_16_64 0
		.amdhsa_float_denorm_mode_32 3
		.amdhsa_float_denorm_mode_16_64 3
		.amdhsa_dx10_clamp 1
		.amdhsa_ieee_mode 1
		.amdhsa_fp16_overflow 0
		.amdhsa_workgroup_processor_mode 1
		.amdhsa_memory_ordered 1
		.amdhsa_forward_progress 1
		.amdhsa_shared_vgpr_count 0
		.amdhsa_exception_fp_ieee_invalid_op 0
		.amdhsa_exception_fp_denorm_src 0
		.amdhsa_exception_fp_ieee_div_zero 0
		.amdhsa_exception_fp_ieee_overflow 0
		.amdhsa_exception_fp_ieee_underflow 0
		.amdhsa_exception_fp_ieee_inexact 0
		.amdhsa_exception_int_div_zero 0
	.end_amdhsa_kernel
	.section	.text._ZL29rocblas_internal_gemmt_kernelIlLi16ELi32ELi8ELc84ELc84ELc85ELb0ELb0E19rocblas_complex_numIfEPKS1_PKS3_PKPS1_EviT_T9_T10_S9_lSB_S9_lSA_T11_S9_li,"axG",@progbits,_ZL29rocblas_internal_gemmt_kernelIlLi16ELi32ELi8ELc84ELc84ELc85ELb0ELb0E19rocblas_complex_numIfEPKS1_PKS3_PKPS1_EviT_T9_T10_S9_lSB_S9_lSA_T11_S9_li,comdat
.Lfunc_end508:
	.size	_ZL29rocblas_internal_gemmt_kernelIlLi16ELi32ELi8ELc84ELc84ELc85ELb0ELb0E19rocblas_complex_numIfEPKS1_PKS3_PKPS1_EviT_T9_T10_S9_lSB_S9_lSA_T11_S9_li, .Lfunc_end508-_ZL29rocblas_internal_gemmt_kernelIlLi16ELi32ELi8ELc84ELc84ELc85ELb0ELb0E19rocblas_complex_numIfEPKS1_PKS3_PKPS1_EviT_T9_T10_S9_lSB_S9_lSA_T11_S9_li
                                        ; -- End function
	.set _ZL29rocblas_internal_gemmt_kernelIlLi16ELi32ELi8ELc84ELc84ELc85ELb0ELb0E19rocblas_complex_numIfEPKS1_PKS3_PKPS1_EviT_T9_T10_S9_lSB_S9_lSA_T11_S9_li.num_vgpr, 61
	.set _ZL29rocblas_internal_gemmt_kernelIlLi16ELi32ELi8ELc84ELc84ELc85ELb0ELb0E19rocblas_complex_numIfEPKS1_PKS3_PKPS1_EviT_T9_T10_S9_lSB_S9_lSA_T11_S9_li.num_agpr, 0
	.set _ZL29rocblas_internal_gemmt_kernelIlLi16ELi32ELi8ELc84ELc84ELc85ELb0ELb0E19rocblas_complex_numIfEPKS1_PKS3_PKPS1_EviT_T9_T10_S9_lSB_S9_lSA_T11_S9_li.numbered_sgpr, 44
	.set _ZL29rocblas_internal_gemmt_kernelIlLi16ELi32ELi8ELc84ELc84ELc85ELb0ELb0E19rocblas_complex_numIfEPKS1_PKS3_PKPS1_EviT_T9_T10_S9_lSB_S9_lSA_T11_S9_li.num_named_barrier, 0
	.set _ZL29rocblas_internal_gemmt_kernelIlLi16ELi32ELi8ELc84ELc84ELc85ELb0ELb0E19rocblas_complex_numIfEPKS1_PKS3_PKPS1_EviT_T9_T10_S9_lSB_S9_lSA_T11_S9_li.private_seg_size, 0
	.set _ZL29rocblas_internal_gemmt_kernelIlLi16ELi32ELi8ELc84ELc84ELc85ELb0ELb0E19rocblas_complex_numIfEPKS1_PKS3_PKPS1_EviT_T9_T10_S9_lSB_S9_lSA_T11_S9_li.uses_vcc, 1
	.set _ZL29rocblas_internal_gemmt_kernelIlLi16ELi32ELi8ELc84ELc84ELc85ELb0ELb0E19rocblas_complex_numIfEPKS1_PKS3_PKPS1_EviT_T9_T10_S9_lSB_S9_lSA_T11_S9_li.uses_flat_scratch, 0
	.set _ZL29rocblas_internal_gemmt_kernelIlLi16ELi32ELi8ELc84ELc84ELc85ELb0ELb0E19rocblas_complex_numIfEPKS1_PKS3_PKPS1_EviT_T9_T10_S9_lSB_S9_lSA_T11_S9_li.has_dyn_sized_stack, 0
	.set _ZL29rocblas_internal_gemmt_kernelIlLi16ELi32ELi8ELc84ELc84ELc85ELb0ELb0E19rocblas_complex_numIfEPKS1_PKS3_PKPS1_EviT_T9_T10_S9_lSB_S9_lSA_T11_S9_li.has_recursion, 0
	.set _ZL29rocblas_internal_gemmt_kernelIlLi16ELi32ELi8ELc84ELc84ELc85ELb0ELb0E19rocblas_complex_numIfEPKS1_PKS3_PKPS1_EviT_T9_T10_S9_lSB_S9_lSA_T11_S9_li.has_indirect_call, 0
	.section	.AMDGPU.csdata,"",@progbits
; Kernel info:
; codeLenInByte = 2612
; TotalNumSgprs: 46
; NumVgprs: 61
; ScratchSize: 0
; MemoryBound: 0
; FloatMode: 240
; IeeeMode: 1
; LDSByteSize: 4096 bytes/workgroup (compile time only)
; SGPRBlocks: 0
; VGPRBlocks: 7
; NumSGPRsForWavesPerEU: 46
; NumVGPRsForWavesPerEU: 61
; Occupancy: 16
; WaveLimiterHint : 1
; COMPUTE_PGM_RSRC2:SCRATCH_EN: 0
; COMPUTE_PGM_RSRC2:USER_SGPR: 6
; COMPUTE_PGM_RSRC2:TRAP_HANDLER: 0
; COMPUTE_PGM_RSRC2:TGID_X_EN: 1
; COMPUTE_PGM_RSRC2:TGID_Y_EN: 1
; COMPUTE_PGM_RSRC2:TGID_Z_EN: 1
; COMPUTE_PGM_RSRC2:TIDIG_COMP_CNT: 1
	.section	.text._ZL29rocblas_internal_gemmt_kernelIlLi16ELi32ELi8ELc84ELc67ELc85ELb0ELb1E19rocblas_complex_numIfEPKS1_PKS3_PKPS1_EviT_T9_T10_S9_lSB_S9_lSA_T11_S9_li,"axG",@progbits,_ZL29rocblas_internal_gemmt_kernelIlLi16ELi32ELi8ELc84ELc67ELc85ELb0ELb1E19rocblas_complex_numIfEPKS1_PKS3_PKPS1_EviT_T9_T10_S9_lSB_S9_lSA_T11_S9_li,comdat
	.globl	_ZL29rocblas_internal_gemmt_kernelIlLi16ELi32ELi8ELc84ELc67ELc85ELb0ELb1E19rocblas_complex_numIfEPKS1_PKS3_PKPS1_EviT_T9_T10_S9_lSB_S9_lSA_T11_S9_li ; -- Begin function _ZL29rocblas_internal_gemmt_kernelIlLi16ELi32ELi8ELc84ELc67ELc85ELb0ELb1E19rocblas_complex_numIfEPKS1_PKS3_PKPS1_EviT_T9_T10_S9_lSB_S9_lSA_T11_S9_li
	.p2align	8
	.type	_ZL29rocblas_internal_gemmt_kernelIlLi16ELi32ELi8ELc84ELc67ELc85ELb0ELb1E19rocblas_complex_numIfEPKS1_PKS3_PKPS1_EviT_T9_T10_S9_lSB_S9_lSA_T11_S9_li,@function
_ZL29rocblas_internal_gemmt_kernelIlLi16ELi32ELi8ELc84ELc67ELc85ELb0ELb1E19rocblas_complex_numIfEPKS1_PKS3_PKPS1_EviT_T9_T10_S9_lSB_S9_lSA_T11_S9_li: ; @_ZL29rocblas_internal_gemmt_kernelIlLi16ELi32ELi8ELc84ELc67ELc85ELb0ELb1E19rocblas_complex_numIfEPKS1_PKS3_PKPS1_EviT_T9_T10_S9_lSB_S9_lSA_T11_S9_li
; %bb.0:
	s_clause 0x1
	s_load_dwordx8 s[36:43], s[4:5], 0x48
	s_load_dwordx16 s[12:27], s[4:5], 0x8
	s_waitcnt lgkmcnt(0)
	s_load_dwordx2 s[2:3], s[36:37], 0x0
	s_load_dwordx2 s[10:11], s[14:15], 0x0
	s_waitcnt lgkmcnt(0)
	s_and_b32 s0, s3, 0x7fffffff
	v_cmp_eq_f32_e64 s1, s2, 1.0
	s_cmp_eq_u32 s0, 0
	s_mov_b32 s0, 0
	s_cselect_b32 s15, -1, 0
	s_and_b32 s1, s1, s15
	s_andn2_b32 vcc_lo, exec_lo, s1
	s_mov_b32 s1, -1
	s_cbranch_vccnz .LBB509_4
; %bb.1:
	s_cmp_lg_u64 s[12:13], 0
	s_cbranch_scc0 .LBB509_3
; %bb.2:
	v_cmp_neq_f32_e64 s0, s10, 0
	v_cmp_neq_f32_e64 s1, s11, 0
	s_or_b32 s0, s0, s1
.LBB509_3:
	s_mov_b32 s1, s0
.LBB509_4:
	s_and_b32 vcc_lo, exec_lo, s1
	s_cbranch_vccz .LBB509_34
; %bb.5:
	s_mov_b32 s9, 0
	s_load_dword s14, s[4:5], 0x0
	s_lshl_b64 s[0:1], s[8:9], 3
	v_cmp_eq_f32_e64 s8, s10, 0
	s_add_u32 s4, s38, s0
	s_addc_u32 s5, s39, s1
	v_cmp_eq_f32_e64 s9, s11, 0
	s_load_dwordx2 s[4:5], s[4:5], 0x0
	v_cmp_lt_i64_e64 s28, s[12:13], 1
	v_mov_b32_e32 v23, 0
	v_mov_b32_e32 v22, 0
	s_and_b32 s9, s8, s9
	v_mov_b32_e32 v20, 0
	v_mov_b32_e32 v21, 0
	v_mov_b32_e32 v18, 0
	v_mov_b32_e32 v19, 0
	v_mov_b32_e32 v16, 0
	v_mov_b32_e32 v17, 0
	s_lshl_b32 s8, s6, 5
	s_or_b32 s6, s9, s28
	s_lshl_b32 s9, s7, 5
	s_and_b32 vcc_lo, exec_lo, s6
	s_cbranch_vccnz .LBB509_18
; %bb.6:
	s_add_u32 s6, s22, s0
	s_addc_u32 s7, s23, s1
	s_lshl_b64 s[22:23], s[26:27], 3
	s_load_dwordx2 s[6:7], s[6:7], 0x0
	v_lshl_add_u32 v2, v1, 4, v0
	v_and_b32_e32 v6, 7, v0
	v_lshlrev_b32_e32 v7, 3, v0
	v_lshl_add_u32 v8, v1, 6, 0x800
	v_mov_b32_e32 v3, 0
	v_and_b32_e32 v5, 31, v2
	v_lshrrev_b32_e32 v10, 3, v2
	v_lshlrev_b32_e32 v11, 3, v6
	v_lshrrev_b32_e32 v9, 5, v2
	v_mov_b32_e32 v17, 0
	v_or_b32_e32 v14, s8, v5
	v_add_nc_u32_e32 v4, s9, v10
	v_lshl_or_b32 v11, v10, 6, v11
	v_lshlrev_b32_e32 v2, 3, v5
	v_mov_b32_e32 v16, 0
	v_mul_lo_u32 v10, s19, v14
	v_mad_u64_u32 v[12:13], null, s18, v14, 0
	v_ashrrev_i32_e32 v5, 31, v4
	s_waitcnt lgkmcnt(0)
	s_add_u32 s22, s6, s22
	s_addc_u32 s23, s7, s23
	s_add_u32 s0, s16, s0
	s_addc_u32 s1, s17, s1
	s_lshl_b64 s[6:7], s[20:21], 3
	s_load_dwordx2 s[0:1], s[0:1], 0x0
	v_cmp_le_i32_e64 s16, s14, v14
	v_cmp_gt_i32_e32 vcc_lo, s14, v4
	v_mov_b32_e32 v19, 0
	v_mov_b32_e32 v18, 0
	;; [unrolled: 1-line block ×5, first 2 shown]
	v_add_nc_u32_e32 v11, 0x800, v11
	v_mov_b32_e32 v23, 0
	s_waitcnt lgkmcnt(0)
	s_add_u32 s6, s0, s6
	s_addc_u32 s7, s1, s7
	s_ashr_i32 s1, s8, 31
	v_cmp_gt_i32_e64 s0, s14, v14
	s_mul_i32 s1, s18, s1
	v_lshlrev_b64 v[14:15], 3, v[4:5]
	v_add3_u32 v13, v13, s1, v10
	v_lshl_or_b32 v10, v9, 8, v2
	v_lshlrev_b64 v[4:5], 3, v[12:13]
	v_add_co_u32 v12, s1, s22, v14
	v_add_co_ci_u32_e64 v13, null, s23, v15, s1
	v_add_co_u32 v14, s1, s6, v4
	v_add_co_ci_u32_e64 v15, null, s7, v5, s1
	s_mov_b64 s[6:7], 0
	s_xor_b32 s1, vcc_lo, -1
                                        ; implicit-def: $vgpr4_vgpr5
	s_branch .LBB509_8
.LBB509_7:                              ;   in Loop: Header=BB509_8 Depth=1
	s_or_b32 exec_lo, exec_lo, s17
	ds_write_b32 v11, v24 offset:4
	s_waitcnt lgkmcnt(0)
	s_barrier
	buffer_gl0_inv
	ds_read_b128 v[24:27], v8
	ds_read2_b64 v[28:31], v7 offset1:16
	ds_read_b128 v[32:35], v8 offset:1024
	ds_read_b128 v[36:39], v8 offset:16
	;; [unrolled: 1-line block ×4, first 2 shown]
	ds_read2_b64 v[48:51], v7 offset0:32 offset1:48
	ds_read_b128 v[52:55], v8 offset:1040
	s_add_u32 s6, s6, 8
	s_addc_u32 s7, s7, 0
	v_cmp_gt_i64_e64 s17, s[12:13], s[6:7]
	s_and_b32 vcc_lo, exec_lo, s17
	s_waitcnt lgkmcnt(6)
	v_mul_f32_e32 v2, v25, v29
	v_mul_f32_e32 v56, v24, v29
	;; [unrolled: 1-line block ×4, first 2 shown]
	s_waitcnt lgkmcnt(5)
	v_mul_f32_e32 v59, v33, v29
	v_mul_f32_e32 v29, v32, v29
	;; [unrolled: 1-line block ×3, first 2 shown]
	v_fma_f32 v2, v24, v28, -v2
	v_fmac_f32_e32 v56, v25, v28
	v_fma_f32 v24, v24, v30, -v57
	v_fmac_f32_e32 v58, v25, v30
	;; [unrolled: 2-line block ×3, first 2 shown]
	v_mul_f32_e32 v31, v32, v31
	v_fma_f32 v28, v32, v30, -v60
	v_add_f32_e32 v2, v23, v2
	v_add_f32_e32 v23, v20, v24
	;; [unrolled: 1-line block ×5, first 2 shown]
	s_waitcnt lgkmcnt(1)
	v_mul_f32_e32 v32, v27, v49
	ds_read2_b64 v[18:21], v7 offset0:64 offset1:80
	v_fmac_f32_e32 v31, v33, v30
	v_add_f32_e32 v16, v16, v28
	v_mul_f32_e32 v28, v26, v49
	v_fma_f32 v30, v26, v48, -v32
	v_mul_f32_e32 v32, v27, v51
	v_add_f32_e32 v22, v22, v56
	v_add_f32_e32 v17, v17, v31
	v_fmac_f32_e32 v28, v27, v48
	v_mul_f32_e32 v31, v26, v51
	v_add_f32_e32 v2, v2, v30
	v_fma_f32 v26, v26, v50, -v32
	v_mul_f32_e32 v30, v35, v49
	v_add_f32_e32 v28, v22, v28
	v_fmac_f32_e32 v31, v27, v50
	v_mul_f32_e32 v22, v34, v49
	v_add_f32_e32 v26, v23, v26
	v_fma_f32 v23, v34, v48, -v30
	v_mul_f32_e32 v27, v35, v51
	v_add_f32_e32 v30, v24, v31
	v_fmac_f32_e32 v22, v35, v48
	v_mul_f32_e32 v31, v34, v51
	v_add_f32_e32 v32, v25, v23
	v_fma_f32 v23, v34, v50, -v27
	s_waitcnt lgkmcnt(0)
	v_mul_f32_e32 v24, v37, v19
	v_add_f32_e32 v27, v29, v22
	v_fmac_f32_e32 v31, v35, v50
	v_mul_f32_e32 v29, v36, v19
	v_add_f32_e32 v16, v16, v23
	v_fma_f32 v33, v36, v18, -v24
	v_mul_f32_e32 v34, v37, v21
	ds_read2_b64 v[22:25], v7 offset0:96 offset1:112
	v_fmac_f32_e32 v29, v37, v18
	v_add_f32_e32 v31, v17, v31
	v_add_f32_e32 v2, v2, v33
	v_mul_f32_e32 v17, v36, v21
	v_fma_f32 v33, v36, v20, -v34
	v_add_f32_e32 v28, v28, v29
	v_mul_f32_e32 v29, v53, v19
	v_mul_f32_e32 v19, v52, v19
	v_fmac_f32_e32 v17, v37, v20
	v_add_f32_e32 v26, v26, v33
	v_mul_f32_e32 v33, v53, v21
	v_mul_f32_e32 v21, v52, v21
	v_fmac_f32_e32 v19, v53, v18
	v_add_f32_e32 v30, v30, v17
	v_fma_f32 v29, v52, v18, -v29
	v_fma_f32 v17, v52, v20, -v33
	v_fmac_f32_e32 v21, v53, v20
	v_add_f32_e32 v33, v27, v19
	s_waitcnt lgkmcnt(0)
	v_mul_f32_e32 v20, v39, v23
	v_add_f32_e32 v34, v16, v17
	ds_read2_b64 v[16:19], v7 offset0:128 offset1:144
	v_add_f32_e32 v32, v32, v29
	v_mul_f32_e32 v27, v38, v23
	v_mul_f32_e32 v29, v39, v25
	v_fma_f32 v20, v38, v22, -v20
	v_add_f32_e32 v31, v31, v21
	v_mul_f32_e32 v21, v38, v25
	v_fmac_f32_e32 v27, v39, v22
	v_fma_f32 v29, v38, v24, -v29
	v_add_f32_e32 v2, v2, v20
	v_mul_f32_e32 v20, v55, v23
	v_fmac_f32_e32 v21, v39, v24
	v_add_f32_e32 v35, v28, v27
	v_add_f32_e32 v36, v26, v29
	v_mul_f32_e32 v23, v54, v23
	v_fma_f32 v20, v54, v22, -v20
	v_mul_f32_e32 v37, v55, v25
	ds_read_b128 v[26:29], v8 offset:1056
	v_add_f32_e32 v38, v30, v21
	v_fmac_f32_e32 v23, v55, v22
	v_mul_f32_e32 v25, v54, v25
	v_fma_f32 v21, v54, v24, -v37
	v_add_f32_e32 v37, v32, v20
	s_waitcnt lgkmcnt(1)
	v_mul_f32_e32 v20, v41, v17
	v_add_f32_e32 v39, v33, v23
	v_fmac_f32_e32 v25, v55, v24
	v_add_f32_e32 v24, v34, v21
	v_mul_f32_e32 v32, v41, v19
	v_fma_f32 v30, v40, v16, -v20
	ds_read2_b64 v[20:23], v7 offset0:160 offset1:176
	v_mul_f32_e32 v34, v40, v17
	v_add_f32_e32 v25, v31, v25
	v_fma_f32 v48, v40, v18, -v32
	v_mul_f32_e32 v40, v40, v19
	v_add_f32_e32 v2, v2, v30
	v_fmac_f32_e32 v34, v41, v16
	ds_read_b128 v[30:33], v8 offset:1072
	s_waitcnt lgkmcnt(2)
	v_mul_f32_e32 v49, v27, v17
	v_mul_f32_e32 v17, v26, v17
	v_fmac_f32_e32 v40, v41, v18
	v_mul_f32_e32 v41, v27, v19
	v_add_f32_e32 v34, v35, v34
	v_add_f32_e32 v35, v36, v48
	v_fma_f32 v36, v26, v16, -v49
	v_fmac_f32_e32 v17, v27, v16
	v_add_f32_e32 v38, v38, v40
	v_mul_f32_e32 v40, v26, v19
	v_fma_f32 v16, v26, v18, -v41
	v_add_f32_e32 v36, v37, v36
	v_add_f32_e32 v26, v39, v17
	s_waitcnt lgkmcnt(1)
	v_mul_f32_e32 v37, v43, v21
	v_fmac_f32_e32 v40, v27, v18
	v_add_f32_e32 v24, v24, v16
	ds_read2_b64 v[16:19], v7 offset0:192 offset1:208
	v_mul_f32_e32 v27, v42, v21
	v_fma_f32 v37, v42, v20, -v37
	v_mul_f32_e32 v39, v43, v23
	v_add_f32_e32 v40, v25, v40
	v_mul_f32_e32 v25, v42, v23
	v_fmac_f32_e32 v27, v43, v20
	v_add_f32_e32 v2, v2, v37
	v_fma_f32 v37, v42, v22, -v39
	v_fmac_f32_e32 v25, v43, v22
	v_add_f32_e32 v34, v34, v27
	v_mul_f32_e32 v27, v29, v21
	v_mul_f32_e32 v21, v28, v21
	v_add_f32_e32 v35, v35, v37
	v_mul_f32_e32 v37, v29, v23
	v_add_f32_e32 v38, v38, v25
	v_fma_f32 v27, v28, v20, -v27
	v_fmac_f32_e32 v21, v29, v20
	v_mul_f32_e32 v20, v28, v23
	v_fma_f32 v23, v28, v22, -v37
	s_waitcnt lgkmcnt(0)
	v_mul_f32_e32 v25, v45, v17
	v_add_f32_e32 v28, v36, v27
	v_add_f32_e32 v21, v26, v21
	v_fmac_f32_e32 v20, v29, v22
	v_add_f32_e32 v22, v24, v23
	v_fma_f32 v29, v44, v16, -v25
	ds_read2_b64 v[24:27], v7 offset0:224 offset1:240
	v_mul_f32_e32 v23, v44, v17
	v_mul_f32_e32 v37, v31, v17
	;; [unrolled: 1-line block ×4, first 2 shown]
	v_add_f32_e32 v2, v2, v29
	v_fmac_f32_e32 v23, v45, v16
	v_mul_f32_e32 v29, v44, v19
	v_fmac_f32_e32 v17, v31, v16
	v_fma_f32 v36, v44, v18, -v36
	v_add_f32_e32 v20, v40, v20
	v_add_f32_e32 v34, v34, v23
	v_fma_f32 v23, v30, v16, -v37
	v_mul_f32_e32 v16, v31, v19
	v_mul_f32_e32 v19, v30, v19
	v_fmac_f32_e32 v29, v45, v18
	v_add_f32_e32 v17, v21, v17
	v_add_f32_e32 v35, v35, v36
	v_fma_f32 v16, v30, v18, -v16
	v_fmac_f32_e32 v19, v31, v18
	s_waitcnt lgkmcnt(0)
	v_mul_f32_e32 v21, v47, v25
	v_mul_f32_e32 v18, v47, v27
	v_add_f32_e32 v28, v28, v23
	v_mul_f32_e32 v30, v46, v25
	v_mul_f32_e32 v31, v46, v27
	v_fma_f32 v21, v46, v24, -v21
	v_fma_f32 v18, v46, v26, -v18
	v_add_f32_e32 v36, v20, v19
	v_mul_f32_e32 v19, v32, v25
	v_add_f32_e32 v29, v38, v29
	v_add_f32_e32 v23, v2, v21
	;; [unrolled: 1-line block ×3, first 2 shown]
	v_mul_f32_e32 v2, v33, v25
	v_mul_f32_e32 v18, v33, v27
	;; [unrolled: 1-line block ×3, first 2 shown]
	v_add_f32_e32 v16, v22, v16
	v_fmac_f32_e32 v30, v47, v24
	v_fmac_f32_e32 v31, v47, v26
	v_fma_f32 v2, v32, v24, -v2
	v_fmac_f32_e32 v19, v33, v24
	v_fma_f32 v24, v32, v26, -v18
	v_fmac_f32_e32 v25, v33, v26
	v_add_f32_e32 v22, v34, v30
	v_add_f32_e32 v21, v29, v31
	;; [unrolled: 1-line block ×6, first 2 shown]
	s_barrier
	buffer_gl0_inv
	s_cbranch_vccz .LBB509_18
.LBB509_8:                              ; =>This Inner Loop Header: Depth=1
	s_mov_b32 s19, s16
	s_mov_b32 s17, 0
	s_and_saveexec_b32 s18, s0
	s_cbranch_execnz .LBB509_16
; %bb.9:                                ;   in Loop: Header=BB509_8 Depth=1
	s_or_b32 exec_lo, exec_lo, s18
	s_and_saveexec_b32 s18, s19
	s_xor_b32 s18, exec_lo, s18
	s_cbranch_execnz .LBB509_17
.LBB509_10:                             ;   in Loop: Header=BB509_8 Depth=1
	s_or_b32 exec_lo, exec_lo, s18
	s_and_saveexec_b32 s18, s17
	s_cbranch_execz .LBB509_12
.LBB509_11:                             ;   in Loop: Header=BB509_8 Depth=1
	v_lshlrev_b64 v[24:25], 3, v[4:5]
	v_add_co_u32 v24, vcc_lo, v14, v24
	v_add_co_ci_u32_e64 v25, null, v15, v25, vcc_lo
	flat_load_dwordx2 v[24:25], v[24:25]
	s_waitcnt vmcnt(0) lgkmcnt(0)
	ds_write_b64 v10, v[24:25]
.LBB509_12:                             ;   in Loop: Header=BB509_8 Depth=1
	s_or_b32 exec_lo, exec_lo, s18
	v_add_nc_u32_e32 v2, s6, v6
	v_cmp_le_u64_e32 vcc_lo, s[12:13], v[2:3]
	s_or_b32 s17, vcc_lo, s1
	s_and_saveexec_b32 s18, s17
	s_xor_b32 s17, exec_lo, s18
; %bb.13:                               ;   in Loop: Header=BB509_8 Depth=1
	ds_write_b32 v11, v3
; %bb.14:                               ;   in Loop: Header=BB509_8 Depth=1
	s_or_saveexec_b32 s17, s17
	v_mov_b32_e32 v24, 0
	s_xor_b32 exec_lo, exec_lo, s17
	s_cbranch_execz .LBB509_7
; %bb.15:                               ;   in Loop: Header=BB509_8 Depth=1
	v_mad_u64_u32 v[24:25], null, s24, v2, 0
	v_mad_u64_u32 v[25:26], null, s25, v2, v[25:26]
	v_lshlrev_b64 v[24:25], 3, v[24:25]
	v_add_co_u32 v24, vcc_lo, v12, v24
	v_add_co_ci_u32_e64 v25, null, v13, v25, vcc_lo
	flat_load_dwordx2 v[25:26], v[24:25]
	s_waitcnt vmcnt(0) lgkmcnt(0)
	v_xor_b32_e32 v24, 0x80000000, v26
	ds_write_b32 v11, v25
	s_branch .LBB509_7
.LBB509_16:                             ;   in Loop: Header=BB509_8 Depth=1
	v_add_nc_u32_e32 v2, s6, v9
	v_mov_b32_e32 v5, v3
	s_andn2_b32 s19, s16, exec_lo
	s_mov_b32 s17, exec_lo
	v_cmp_le_u64_e32 vcc_lo, s[12:13], v[2:3]
	v_mov_b32_e32 v4, v2
	s_and_b32 s20, vcc_lo, exec_lo
	s_or_b32 s19, s19, s20
	s_or_b32 exec_lo, exec_lo, s18
	s_and_saveexec_b32 s18, s19
	s_xor_b32 s18, exec_lo, s18
	s_cbranch_execz .LBB509_10
.LBB509_17:                             ;   in Loop: Header=BB509_8 Depth=1
	v_mov_b32_e32 v2, v3
	s_andn2_b32 s17, s17, exec_lo
	ds_write_b64 v10, v[2:3]
	s_or_b32 exec_lo, exec_lo, s18
	s_and_saveexec_b32 s18, s17
	s_cbranch_execnz .LBB509_11
	s_branch .LBB509_12
.LBB509_18:
	v_add_nc_u32_e32 v9, s9, v1
	s_lshl_b64 s[0:1], s[42:43], 3
	v_add_nc_u32_e32 v0, s8, v0
	v_cmp_neq_f32_e64 s6, s2, 0
	s_waitcnt lgkmcnt(0)
	s_add_u32 s4, s4, s0
	v_ashrrev_i32_e32 v3, 31, v9
	v_mul_lo_u32 v4, s41, v9
	v_mad_u64_u32 v[1:2], null, s40, v9, 0
	s_addc_u32 s5, s5, s1
	v_mul_lo_u32 v3, s40, v3
	s_xor_b32 s7, s15, -1
	v_cmp_gt_i32_e64 s0, s14, v9
	v_cmp_le_i32_e32 vcc_lo, v0, v9
	s_or_b32 s6, s6, s7
	v_cndmask_b32_e64 v8, 0, 1, s6
	s_and_b32 s7, s0, vcc_lo
	v_add3_u32 v2, v2, v3, v4
	v_lshlrev_b64 v[2:3], 3, v[1:2]
	v_ashrrev_i32_e32 v1, 31, v0
	v_add_co_u32 v6, s1, s4, v2
	v_add_co_ci_u32_e64 v7, null, s5, v3, s1
	s_and_saveexec_b32 s1, s7
	s_cbranch_execz .LBB509_22
; %bb.19:
	v_lshlrev_b64 v[4:5], 3, v[0:1]
	v_mul_f32_e32 v2, s11, v22
	v_mul_f32_e32 v3, s10, v22
	v_fma_f32 v2, v23, s10, -v2
	v_add_co_u32 v4, vcc_lo, v6, v4
	v_fmac_f32_e32 v3, s11, v23
	v_add_co_ci_u32_e64 v5, null, v7, v5, vcc_lo
	s_andn2_b32 vcc_lo, exec_lo, s6
	s_cbranch_vccnz .LBB509_21
; %bb.20:
	flat_load_dwordx2 v[10:11], v[4:5]
	s_waitcnt vmcnt(0) lgkmcnt(0)
	v_mul_f32_e32 v12, s3, v11
	v_mul_f32_e32 v11, s2, v11
	v_fma_f32 v12, v10, s2, -v12
	v_fmac_f32_e32 v11, s3, v10
	v_add_f32_e32 v2, v2, v12
	v_add_f32_e32 v3, v3, v11
.LBB509_21:
	flat_store_dwordx2 v[4:5], v[2:3]
.LBB509_22:
	s_or_b32 exec_lo, exec_lo, s1
	v_add_nc_u32_e32 v2, 16, v0
	v_cmp_le_i32_e32 vcc_lo, v2, v9
	v_ashrrev_i32_e32 v3, 31, v2
	s_and_b32 s0, s0, vcc_lo
	s_and_saveexec_b32 s1, s0
	s_cbranch_execz .LBB509_26
; %bb.23:
	v_lshlrev_b64 v[10:11], 3, v[2:3]
	v_mul_f32_e32 v4, s11, v21
	v_mul_f32_e32 v5, s10, v21
	v_cmp_ne_u32_e32 vcc_lo, 1, v8
	v_fma_f32 v4, v20, s10, -v4
	v_add_co_u32 v6, s0, v6, v10
	v_fmac_f32_e32 v5, s11, v20
	v_add_co_ci_u32_e64 v7, null, v7, v11, s0
	s_cbranch_vccnz .LBB509_25
; %bb.24:
	flat_load_dwordx2 v[10:11], v[6:7]
	s_waitcnt vmcnt(0) lgkmcnt(0)
	v_mul_f32_e32 v12, s3, v11
	v_mul_f32_e32 v11, s2, v11
	v_fma_f32 v12, v10, s2, -v12
	v_fmac_f32_e32 v11, s3, v10
	v_add_f32_e32 v4, v4, v12
	v_add_f32_e32 v5, v5, v11
.LBB509_25:
	flat_store_dwordx2 v[6:7], v[4:5]
.LBB509_26:
	s_or_b32 exec_lo, exec_lo, s1
	v_add_nc_u32_e32 v9, 16, v9
	v_ashrrev_i32_e32 v6, 31, v9
	v_mul_lo_u32 v7, s41, v9
	v_mad_u64_u32 v[4:5], null, s40, v9, 0
	v_cmp_gt_i32_e64 s0, s14, v9
	v_mul_lo_u32 v6, s40, v6
	v_cmp_le_i32_e32 vcc_lo, v0, v9
	v_add3_u32 v5, v5, v6, v7
	v_lshlrev_b64 v[4:5], 3, v[4:5]
	v_add_co_u32 v6, s1, s4, v4
	v_add_co_ci_u32_e64 v7, null, s5, v5, s1
	s_and_b32 s1, s0, vcc_lo
	s_and_saveexec_b32 s4, s1
	s_cbranch_execz .LBB509_30
; %bb.27:
	v_lshlrev_b64 v[0:1], 3, v[0:1]
	v_mul_f32_e32 v4, s11, v19
	v_mul_f32_e32 v5, s10, v19
	v_cmp_ne_u32_e32 vcc_lo, 1, v8
	v_fma_f32 v4, v18, s10, -v4
	v_add_co_u32 v0, s1, v6, v0
	v_fmac_f32_e32 v5, s11, v18
	v_add_co_ci_u32_e64 v1, null, v7, v1, s1
	s_cbranch_vccnz .LBB509_29
; %bb.28:
	flat_load_dwordx2 v[10:11], v[0:1]
	s_waitcnt vmcnt(0) lgkmcnt(0)
	v_mul_f32_e32 v12, s3, v11
	v_mul_f32_e32 v11, s2, v11
	v_fma_f32 v12, v10, s2, -v12
	v_fmac_f32_e32 v11, s3, v10
	v_add_f32_e32 v4, v4, v12
	v_add_f32_e32 v5, v5, v11
.LBB509_29:
	flat_store_dwordx2 v[0:1], v[4:5]
.LBB509_30:
	s_or_b32 exec_lo, exec_lo, s4
	v_cmp_le_i32_e32 vcc_lo, v2, v9
	s_and_b32 s0, s0, vcc_lo
	s_and_saveexec_b32 s1, s0
	s_cbranch_execz .LBB509_34
; %bb.31:
	v_lshlrev_b64 v[2:3], 3, v[2:3]
	v_mul_f32_e32 v0, s11, v17
	v_mul_f32_e32 v1, s10, v17
	v_cmp_ne_u32_e32 vcc_lo, 1, v8
	v_fma_f32 v0, v16, s10, -v0
	v_add_co_u32 v2, s0, v6, v2
	v_fmac_f32_e32 v1, s11, v16
	v_add_co_ci_u32_e64 v3, null, v7, v3, s0
	s_cbranch_vccnz .LBB509_33
; %bb.32:
	flat_load_dwordx2 v[4:5], v[2:3]
	s_waitcnt vmcnt(0) lgkmcnt(0)
	v_mul_f32_e32 v6, s3, v5
	v_mul_f32_e32 v5, s2, v5
	v_fma_f32 v6, v4, s2, -v6
	v_fmac_f32_e32 v5, s3, v4
	v_add_f32_e32 v0, v0, v6
	v_add_f32_e32 v1, v1, v5
.LBB509_33:
	flat_store_dwordx2 v[2:3], v[0:1]
.LBB509_34:
	s_endpgm
	.section	.rodata,"a",@progbits
	.p2align	6, 0x0
	.amdhsa_kernel _ZL29rocblas_internal_gemmt_kernelIlLi16ELi32ELi8ELc84ELc67ELc85ELb0ELb1E19rocblas_complex_numIfEPKS1_PKS3_PKPS1_EviT_T9_T10_S9_lSB_S9_lSA_T11_S9_li
		.amdhsa_group_segment_fixed_size 4096
		.amdhsa_private_segment_fixed_size 0
		.amdhsa_kernarg_size 108
		.amdhsa_user_sgpr_count 6
		.amdhsa_user_sgpr_private_segment_buffer 1
		.amdhsa_user_sgpr_dispatch_ptr 0
		.amdhsa_user_sgpr_queue_ptr 0
		.amdhsa_user_sgpr_kernarg_segment_ptr 1
		.amdhsa_user_sgpr_dispatch_id 0
		.amdhsa_user_sgpr_flat_scratch_init 0
		.amdhsa_user_sgpr_private_segment_size 0
		.amdhsa_wavefront_size32 1
		.amdhsa_uses_dynamic_stack 0
		.amdhsa_system_sgpr_private_segment_wavefront_offset 0
		.amdhsa_system_sgpr_workgroup_id_x 1
		.amdhsa_system_sgpr_workgroup_id_y 1
		.amdhsa_system_sgpr_workgroup_id_z 1
		.amdhsa_system_sgpr_workgroup_info 0
		.amdhsa_system_vgpr_workitem_id 1
		.amdhsa_next_free_vgpr 61
		.amdhsa_next_free_sgpr 44
		.amdhsa_reserve_vcc 1
		.amdhsa_reserve_flat_scratch 0
		.amdhsa_float_round_mode_32 0
		.amdhsa_float_round_mode_16_64 0
		.amdhsa_float_denorm_mode_32 3
		.amdhsa_float_denorm_mode_16_64 3
		.amdhsa_dx10_clamp 1
		.amdhsa_ieee_mode 1
		.amdhsa_fp16_overflow 0
		.amdhsa_workgroup_processor_mode 1
		.amdhsa_memory_ordered 1
		.amdhsa_forward_progress 1
		.amdhsa_shared_vgpr_count 0
		.amdhsa_exception_fp_ieee_invalid_op 0
		.amdhsa_exception_fp_denorm_src 0
		.amdhsa_exception_fp_ieee_div_zero 0
		.amdhsa_exception_fp_ieee_overflow 0
		.amdhsa_exception_fp_ieee_underflow 0
		.amdhsa_exception_fp_ieee_inexact 0
		.amdhsa_exception_int_div_zero 0
	.end_amdhsa_kernel
	.section	.text._ZL29rocblas_internal_gemmt_kernelIlLi16ELi32ELi8ELc84ELc67ELc85ELb0ELb1E19rocblas_complex_numIfEPKS1_PKS3_PKPS1_EviT_T9_T10_S9_lSB_S9_lSA_T11_S9_li,"axG",@progbits,_ZL29rocblas_internal_gemmt_kernelIlLi16ELi32ELi8ELc84ELc67ELc85ELb0ELb1E19rocblas_complex_numIfEPKS1_PKS3_PKPS1_EviT_T9_T10_S9_lSB_S9_lSA_T11_S9_li,comdat
.Lfunc_end509:
	.size	_ZL29rocblas_internal_gemmt_kernelIlLi16ELi32ELi8ELc84ELc67ELc85ELb0ELb1E19rocblas_complex_numIfEPKS1_PKS3_PKPS1_EviT_T9_T10_S9_lSB_S9_lSA_T11_S9_li, .Lfunc_end509-_ZL29rocblas_internal_gemmt_kernelIlLi16ELi32ELi8ELc84ELc67ELc85ELb0ELb1E19rocblas_complex_numIfEPKS1_PKS3_PKPS1_EviT_T9_T10_S9_lSB_S9_lSA_T11_S9_li
                                        ; -- End function
	.set _ZL29rocblas_internal_gemmt_kernelIlLi16ELi32ELi8ELc84ELc67ELc85ELb0ELb1E19rocblas_complex_numIfEPKS1_PKS3_PKPS1_EviT_T9_T10_S9_lSB_S9_lSA_T11_S9_li.num_vgpr, 61
	.set _ZL29rocblas_internal_gemmt_kernelIlLi16ELi32ELi8ELc84ELc67ELc85ELb0ELb1E19rocblas_complex_numIfEPKS1_PKS3_PKPS1_EviT_T9_T10_S9_lSB_S9_lSA_T11_S9_li.num_agpr, 0
	.set _ZL29rocblas_internal_gemmt_kernelIlLi16ELi32ELi8ELc84ELc67ELc85ELb0ELb1E19rocblas_complex_numIfEPKS1_PKS3_PKPS1_EviT_T9_T10_S9_lSB_S9_lSA_T11_S9_li.numbered_sgpr, 44
	.set _ZL29rocblas_internal_gemmt_kernelIlLi16ELi32ELi8ELc84ELc67ELc85ELb0ELb1E19rocblas_complex_numIfEPKS1_PKS3_PKPS1_EviT_T9_T10_S9_lSB_S9_lSA_T11_S9_li.num_named_barrier, 0
	.set _ZL29rocblas_internal_gemmt_kernelIlLi16ELi32ELi8ELc84ELc67ELc85ELb0ELb1E19rocblas_complex_numIfEPKS1_PKS3_PKPS1_EviT_T9_T10_S9_lSB_S9_lSA_T11_S9_li.private_seg_size, 0
	.set _ZL29rocblas_internal_gemmt_kernelIlLi16ELi32ELi8ELc84ELc67ELc85ELb0ELb1E19rocblas_complex_numIfEPKS1_PKS3_PKPS1_EviT_T9_T10_S9_lSB_S9_lSA_T11_S9_li.uses_vcc, 1
	.set _ZL29rocblas_internal_gemmt_kernelIlLi16ELi32ELi8ELc84ELc67ELc85ELb0ELb1E19rocblas_complex_numIfEPKS1_PKS3_PKPS1_EviT_T9_T10_S9_lSB_S9_lSA_T11_S9_li.uses_flat_scratch, 0
	.set _ZL29rocblas_internal_gemmt_kernelIlLi16ELi32ELi8ELc84ELc67ELc85ELb0ELb1E19rocblas_complex_numIfEPKS1_PKS3_PKPS1_EviT_T9_T10_S9_lSB_S9_lSA_T11_S9_li.has_dyn_sized_stack, 0
	.set _ZL29rocblas_internal_gemmt_kernelIlLi16ELi32ELi8ELc84ELc67ELc85ELb0ELb1E19rocblas_complex_numIfEPKS1_PKS3_PKPS1_EviT_T9_T10_S9_lSB_S9_lSA_T11_S9_li.has_recursion, 0
	.set _ZL29rocblas_internal_gemmt_kernelIlLi16ELi32ELi8ELc84ELc67ELc85ELb0ELb1E19rocblas_complex_numIfEPKS1_PKS3_PKPS1_EviT_T9_T10_S9_lSB_S9_lSA_T11_S9_li.has_indirect_call, 0
	.section	.AMDGPU.csdata,"",@progbits
; Kernel info:
; codeLenInByte = 2632
; TotalNumSgprs: 46
; NumVgprs: 61
; ScratchSize: 0
; MemoryBound: 0
; FloatMode: 240
; IeeeMode: 1
; LDSByteSize: 4096 bytes/workgroup (compile time only)
; SGPRBlocks: 0
; VGPRBlocks: 7
; NumSGPRsForWavesPerEU: 46
; NumVGPRsForWavesPerEU: 61
; Occupancy: 16
; WaveLimiterHint : 1
; COMPUTE_PGM_RSRC2:SCRATCH_EN: 0
; COMPUTE_PGM_RSRC2:USER_SGPR: 6
; COMPUTE_PGM_RSRC2:TRAP_HANDLER: 0
; COMPUTE_PGM_RSRC2:TGID_X_EN: 1
; COMPUTE_PGM_RSRC2:TGID_Y_EN: 1
; COMPUTE_PGM_RSRC2:TGID_Z_EN: 1
; COMPUTE_PGM_RSRC2:TIDIG_COMP_CNT: 1
	.section	.text._ZL29rocblas_internal_gemmt_kernelIlLi16ELi32ELi8ELc67ELc78ELc85ELb1ELb0E19rocblas_complex_numIfEPKS1_PKS3_PKPS1_EviT_T9_T10_S9_lSB_S9_lSA_T11_S9_li,"axG",@progbits,_ZL29rocblas_internal_gemmt_kernelIlLi16ELi32ELi8ELc67ELc78ELc85ELb1ELb0E19rocblas_complex_numIfEPKS1_PKS3_PKPS1_EviT_T9_T10_S9_lSB_S9_lSA_T11_S9_li,comdat
	.globl	_ZL29rocblas_internal_gemmt_kernelIlLi16ELi32ELi8ELc67ELc78ELc85ELb1ELb0E19rocblas_complex_numIfEPKS1_PKS3_PKPS1_EviT_T9_T10_S9_lSB_S9_lSA_T11_S9_li ; -- Begin function _ZL29rocblas_internal_gemmt_kernelIlLi16ELi32ELi8ELc67ELc78ELc85ELb1ELb0E19rocblas_complex_numIfEPKS1_PKS3_PKPS1_EviT_T9_T10_S9_lSB_S9_lSA_T11_S9_li
	.p2align	8
	.type	_ZL29rocblas_internal_gemmt_kernelIlLi16ELi32ELi8ELc67ELc78ELc85ELb1ELb0E19rocblas_complex_numIfEPKS1_PKS3_PKPS1_EviT_T9_T10_S9_lSB_S9_lSA_T11_S9_li,@function
_ZL29rocblas_internal_gemmt_kernelIlLi16ELi32ELi8ELc67ELc78ELc85ELb1ELb0E19rocblas_complex_numIfEPKS1_PKS3_PKPS1_EviT_T9_T10_S9_lSB_S9_lSA_T11_S9_li: ; @_ZL29rocblas_internal_gemmt_kernelIlLi16ELi32ELi8ELc67ELc78ELc85ELb1ELb0E19rocblas_complex_numIfEPKS1_PKS3_PKPS1_EviT_T9_T10_S9_lSB_S9_lSA_T11_S9_li
; %bb.0:
	s_clause 0x1
	s_load_dwordx8 s[36:43], s[4:5], 0x48
	s_load_dwordx16 s[12:27], s[4:5], 0x8
	s_waitcnt lgkmcnt(0)
	s_load_dwordx2 s[2:3], s[36:37], 0x0
	s_load_dwordx2 s[10:11], s[14:15], 0x0
	s_waitcnt lgkmcnt(0)
	s_and_b32 s0, s3, 0x7fffffff
	v_cmp_eq_f32_e64 s1, s2, 1.0
	s_cmp_eq_u32 s0, 0
	s_mov_b32 s0, 0
	s_cselect_b32 s15, -1, 0
	s_and_b32 s1, s1, s15
	s_andn2_b32 vcc_lo, exec_lo, s1
	s_mov_b32 s1, -1
	s_cbranch_vccnz .LBB510_4
; %bb.1:
	s_cmp_lg_u64 s[12:13], 0
	s_cbranch_scc0 .LBB510_3
; %bb.2:
	v_cmp_neq_f32_e64 s0, s10, 0
	v_cmp_neq_f32_e64 s1, s11, 0
	s_or_b32 s0, s0, s1
.LBB510_3:
	s_mov_b32 s1, s0
.LBB510_4:
	s_and_b32 vcc_lo, exec_lo, s1
	s_cbranch_vccz .LBB510_34
; %bb.5:
	s_mov_b32 s9, 0
	s_load_dword s14, s[4:5], 0x0
	s_lshl_b64 s[0:1], s[8:9], 3
	v_cmp_eq_f32_e64 s8, s10, 0
	s_add_u32 s4, s38, s0
	s_addc_u32 s5, s39, s1
	v_cmp_eq_f32_e64 s9, s11, 0
	s_load_dwordx2 s[4:5], s[4:5], 0x0
	v_cmp_lt_i64_e64 s28, s[12:13], 1
	v_mov_b32_e32 v23, 0
	v_mov_b32_e32 v22, 0
	s_and_b32 s9, s8, s9
	v_mov_b32_e32 v20, 0
	v_mov_b32_e32 v21, 0
	;; [unrolled: 1-line block ×6, first 2 shown]
	s_lshl_b32 s8, s6, 5
	s_or_b32 s6, s9, s28
	s_lshl_b32 s9, s7, 5
	s_and_b32 vcc_lo, exec_lo, s6
	s_cbranch_vccnz .LBB510_18
; %bb.6:
	s_add_u32 s6, s22, s0
	s_addc_u32 s7, s23, s1
	s_lshl_b64 s[22:23], s[26:27], 3
	s_load_dwordx2 s[6:7], s[6:7], 0x0
	v_lshl_add_u32 v2, v1, 4, v0
	v_and_b32_e32 v6, 7, v0
	v_lshlrev_b32_e32 v7, 3, v0
	v_lshl_add_u32 v8, v1, 6, 0x800
	v_mov_b32_e32 v3, 0
	v_lshrrev_b32_e32 v10, 3, v2
	v_and_b32_e32 v12, 31, v2
	v_lshlrev_b32_e32 v13, 3, v6
	v_mov_b32_e32 v17, 0
	v_mov_b32_e32 v16, 0
	v_add_nc_u32_e32 v11, s9, v10
	v_or_b32_e32 v14, s8, v12
	v_lshl_or_b32 v24, v10, 6, v13
	v_mov_b32_e32 v19, 0
	v_mov_b32_e32 v18, 0
	v_ashrrev_i32_e32 v9, 31, v11
	v_mul_lo_u32 v15, s25, v11
	v_mad_u64_u32 v[4:5], null, s24, v11, 0
	s_waitcnt lgkmcnt(0)
	s_add_u32 s22, s6, s22
	s_addc_u32 s23, s7, s23
	s_add_u32 s0, s16, s0
	s_addc_u32 s1, s17, s1
	v_mul_lo_u32 v23, s24, v9
	s_load_dwordx2 s[0:1], s[0:1], 0x0
	v_lshrrev_b32_e32 v9, 5, v2
	v_lshlrev_b32_e32 v2, 3, v12
	v_mul_lo_u32 v10, s19, v14
	v_mad_u64_u32 v[12:13], null, s18, v14, 0
	s_lshl_b64 s[6:7], s[20:21], 3
	v_add3_u32 v5, v5, v23, v15
	v_cmp_le_i32_e64 s16, s14, v14
	v_cmp_gt_i32_e32 vcc_lo, s14, v11
	v_mov_b32_e32 v21, 0
	v_mov_b32_e32 v20, 0
	v_lshlrev_b64 v[4:5], 3, v[4:5]
	v_mov_b32_e32 v22, 0
	v_add_nc_u32_e32 v11, 0x800, v24
	v_mov_b32_e32 v23, 0
	s_waitcnt lgkmcnt(0)
	s_add_u32 s6, s0, s6
	s_addc_u32 s7, s1, s7
	s_ashr_i32 s1, s8, 31
	v_cmp_gt_i32_e64 s0, s14, v14
	s_mul_i32 s1, s18, s1
	v_add3_u32 v13, v13, s1, v10
	v_lshl_or_b32 v10, v9, 8, v2
	v_lshlrev_b64 v[14:15], 3, v[12:13]
	v_add_co_u32 v12, s1, s22, v4
	v_add_co_ci_u32_e64 v13, null, s23, v5, s1
                                        ; implicit-def: $vgpr4_vgpr5
	v_add_co_u32 v14, s1, s6, v14
	v_add_co_ci_u32_e64 v15, null, s7, v15, s1
	s_mov_b64 s[6:7], 0
	s_xor_b32 s1, vcc_lo, -1
	s_branch .LBB510_8
.LBB510_7:                              ;   in Loop: Header=BB510_8 Depth=1
	s_or_b32 exec_lo, exec_lo, s17
	s_waitcnt lgkmcnt(0)
	s_barrier
	buffer_gl0_inv
	ds_read_b128 v[24:27], v8
	ds_read2_b64 v[28:31], v7 offset1:16
	ds_read_b128 v[32:35], v8 offset:1024
	ds_read_b128 v[36:39], v8 offset:16
	;; [unrolled: 1-line block ×4, first 2 shown]
	ds_read2_b64 v[48:51], v7 offset0:32 offset1:48
	ds_read_b128 v[52:55], v8 offset:1040
	s_add_u32 s6, s6, 8
	s_addc_u32 s7, s7, 0
	v_cmp_gt_i64_e64 s17, s[12:13], s[6:7]
	s_and_b32 vcc_lo, exec_lo, s17
	s_waitcnt lgkmcnt(6)
	v_mul_f32_e32 v2, v25, v29
	v_mul_f32_e32 v56, v24, v29
	;; [unrolled: 1-line block ×4, first 2 shown]
	s_waitcnt lgkmcnt(5)
	v_mul_f32_e32 v59, v33, v29
	v_mul_f32_e32 v29, v32, v29
	;; [unrolled: 1-line block ×3, first 2 shown]
	v_fma_f32 v2, v24, v28, -v2
	v_fmac_f32_e32 v56, v25, v28
	v_fma_f32 v24, v24, v30, -v57
	v_fmac_f32_e32 v58, v25, v30
	;; [unrolled: 2-line block ×3, first 2 shown]
	v_mul_f32_e32 v31, v32, v31
	v_fma_f32 v28, v32, v30, -v60
	v_add_f32_e32 v2, v23, v2
	v_add_f32_e32 v23, v20, v24
	;; [unrolled: 1-line block ×5, first 2 shown]
	s_waitcnt lgkmcnt(1)
	v_mul_f32_e32 v32, v27, v49
	ds_read2_b64 v[18:21], v7 offset0:64 offset1:80
	v_fmac_f32_e32 v31, v33, v30
	v_add_f32_e32 v16, v16, v28
	v_mul_f32_e32 v28, v26, v49
	v_fma_f32 v30, v26, v48, -v32
	v_mul_f32_e32 v32, v27, v51
	v_add_f32_e32 v22, v22, v56
	v_add_f32_e32 v17, v17, v31
	v_fmac_f32_e32 v28, v27, v48
	v_mul_f32_e32 v31, v26, v51
	v_add_f32_e32 v2, v2, v30
	v_fma_f32 v26, v26, v50, -v32
	v_mul_f32_e32 v30, v35, v49
	v_add_f32_e32 v28, v22, v28
	v_fmac_f32_e32 v31, v27, v50
	v_mul_f32_e32 v22, v34, v49
	v_add_f32_e32 v26, v23, v26
	v_fma_f32 v23, v34, v48, -v30
	v_mul_f32_e32 v27, v35, v51
	v_add_f32_e32 v30, v24, v31
	v_fmac_f32_e32 v22, v35, v48
	v_mul_f32_e32 v31, v34, v51
	v_add_f32_e32 v32, v25, v23
	v_fma_f32 v23, v34, v50, -v27
	s_waitcnt lgkmcnt(0)
	v_mul_f32_e32 v24, v37, v19
	v_add_f32_e32 v27, v29, v22
	v_fmac_f32_e32 v31, v35, v50
	v_mul_f32_e32 v29, v36, v19
	v_add_f32_e32 v16, v16, v23
	v_fma_f32 v33, v36, v18, -v24
	v_mul_f32_e32 v34, v37, v21
	ds_read2_b64 v[22:25], v7 offset0:96 offset1:112
	v_fmac_f32_e32 v29, v37, v18
	v_add_f32_e32 v31, v17, v31
	v_add_f32_e32 v2, v2, v33
	v_mul_f32_e32 v17, v36, v21
	v_fma_f32 v33, v36, v20, -v34
	v_add_f32_e32 v28, v28, v29
	v_mul_f32_e32 v29, v53, v19
	v_mul_f32_e32 v19, v52, v19
	v_fmac_f32_e32 v17, v37, v20
	v_add_f32_e32 v26, v26, v33
	v_mul_f32_e32 v33, v53, v21
	v_mul_f32_e32 v21, v52, v21
	v_fmac_f32_e32 v19, v53, v18
	v_add_f32_e32 v30, v30, v17
	v_fma_f32 v29, v52, v18, -v29
	v_fma_f32 v17, v52, v20, -v33
	v_fmac_f32_e32 v21, v53, v20
	v_add_f32_e32 v33, v27, v19
	s_waitcnt lgkmcnt(0)
	v_mul_f32_e32 v20, v39, v23
	v_add_f32_e32 v34, v16, v17
	ds_read2_b64 v[16:19], v7 offset0:128 offset1:144
	v_add_f32_e32 v32, v32, v29
	v_mul_f32_e32 v27, v38, v23
	v_mul_f32_e32 v29, v39, v25
	v_fma_f32 v20, v38, v22, -v20
	v_add_f32_e32 v31, v31, v21
	v_mul_f32_e32 v21, v38, v25
	v_fmac_f32_e32 v27, v39, v22
	v_fma_f32 v29, v38, v24, -v29
	v_add_f32_e32 v2, v2, v20
	v_mul_f32_e32 v20, v55, v23
	v_fmac_f32_e32 v21, v39, v24
	v_add_f32_e32 v35, v28, v27
	v_add_f32_e32 v36, v26, v29
	v_mul_f32_e32 v23, v54, v23
	v_fma_f32 v20, v54, v22, -v20
	v_mul_f32_e32 v37, v55, v25
	ds_read_b128 v[26:29], v8 offset:1056
	v_add_f32_e32 v38, v30, v21
	v_fmac_f32_e32 v23, v55, v22
	v_mul_f32_e32 v25, v54, v25
	v_fma_f32 v21, v54, v24, -v37
	v_add_f32_e32 v37, v32, v20
	s_waitcnt lgkmcnt(1)
	v_mul_f32_e32 v20, v41, v17
	v_add_f32_e32 v39, v33, v23
	v_fmac_f32_e32 v25, v55, v24
	v_add_f32_e32 v24, v34, v21
	v_mul_f32_e32 v32, v41, v19
	v_fma_f32 v30, v40, v16, -v20
	ds_read2_b64 v[20:23], v7 offset0:160 offset1:176
	v_mul_f32_e32 v34, v40, v17
	v_add_f32_e32 v25, v31, v25
	v_fma_f32 v48, v40, v18, -v32
	v_mul_f32_e32 v40, v40, v19
	v_add_f32_e32 v2, v2, v30
	v_fmac_f32_e32 v34, v41, v16
	ds_read_b128 v[30:33], v8 offset:1072
	s_waitcnt lgkmcnt(2)
	v_mul_f32_e32 v49, v27, v17
	v_mul_f32_e32 v17, v26, v17
	v_fmac_f32_e32 v40, v41, v18
	v_mul_f32_e32 v41, v27, v19
	v_add_f32_e32 v34, v35, v34
	v_add_f32_e32 v35, v36, v48
	v_fma_f32 v36, v26, v16, -v49
	v_fmac_f32_e32 v17, v27, v16
	v_add_f32_e32 v38, v38, v40
	v_mul_f32_e32 v40, v26, v19
	v_fma_f32 v16, v26, v18, -v41
	v_add_f32_e32 v36, v37, v36
	v_add_f32_e32 v26, v39, v17
	s_waitcnt lgkmcnt(1)
	v_mul_f32_e32 v37, v43, v21
	v_fmac_f32_e32 v40, v27, v18
	v_add_f32_e32 v24, v24, v16
	ds_read2_b64 v[16:19], v7 offset0:192 offset1:208
	v_mul_f32_e32 v27, v42, v21
	v_fma_f32 v37, v42, v20, -v37
	v_mul_f32_e32 v39, v43, v23
	v_add_f32_e32 v40, v25, v40
	v_mul_f32_e32 v25, v42, v23
	v_fmac_f32_e32 v27, v43, v20
	v_add_f32_e32 v2, v2, v37
	v_fma_f32 v37, v42, v22, -v39
	v_fmac_f32_e32 v25, v43, v22
	v_add_f32_e32 v34, v34, v27
	v_mul_f32_e32 v27, v29, v21
	v_mul_f32_e32 v21, v28, v21
	v_add_f32_e32 v35, v35, v37
	v_mul_f32_e32 v37, v29, v23
	v_add_f32_e32 v38, v38, v25
	v_fma_f32 v27, v28, v20, -v27
	v_fmac_f32_e32 v21, v29, v20
	v_mul_f32_e32 v20, v28, v23
	v_fma_f32 v23, v28, v22, -v37
	s_waitcnt lgkmcnt(0)
	v_mul_f32_e32 v25, v45, v17
	v_add_f32_e32 v28, v36, v27
	v_add_f32_e32 v21, v26, v21
	v_fmac_f32_e32 v20, v29, v22
	v_add_f32_e32 v22, v24, v23
	v_fma_f32 v29, v44, v16, -v25
	ds_read2_b64 v[24:27], v7 offset0:224 offset1:240
	v_mul_f32_e32 v23, v44, v17
	v_mul_f32_e32 v37, v31, v17
	;; [unrolled: 1-line block ×4, first 2 shown]
	v_add_f32_e32 v2, v2, v29
	v_fmac_f32_e32 v23, v45, v16
	v_mul_f32_e32 v29, v44, v19
	v_fmac_f32_e32 v17, v31, v16
	v_fma_f32 v36, v44, v18, -v36
	v_add_f32_e32 v20, v40, v20
	v_add_f32_e32 v34, v34, v23
	v_fma_f32 v23, v30, v16, -v37
	v_mul_f32_e32 v16, v31, v19
	v_mul_f32_e32 v19, v30, v19
	v_fmac_f32_e32 v29, v45, v18
	v_add_f32_e32 v17, v21, v17
	v_add_f32_e32 v35, v35, v36
	v_fma_f32 v16, v30, v18, -v16
	v_fmac_f32_e32 v19, v31, v18
	s_waitcnt lgkmcnt(0)
	v_mul_f32_e32 v21, v47, v25
	v_mul_f32_e32 v18, v47, v27
	v_add_f32_e32 v28, v28, v23
	v_mul_f32_e32 v30, v46, v25
	v_mul_f32_e32 v31, v46, v27
	v_fma_f32 v21, v46, v24, -v21
	v_fma_f32 v18, v46, v26, -v18
	v_add_f32_e32 v36, v20, v19
	v_mul_f32_e32 v19, v32, v25
	v_add_f32_e32 v29, v38, v29
	v_add_f32_e32 v23, v2, v21
	;; [unrolled: 1-line block ×3, first 2 shown]
	v_mul_f32_e32 v2, v33, v25
	v_mul_f32_e32 v18, v33, v27
	;; [unrolled: 1-line block ×3, first 2 shown]
	v_add_f32_e32 v16, v22, v16
	v_fmac_f32_e32 v30, v47, v24
	v_fmac_f32_e32 v31, v47, v26
	v_fma_f32 v2, v32, v24, -v2
	v_fmac_f32_e32 v19, v33, v24
	v_fma_f32 v24, v32, v26, -v18
	v_fmac_f32_e32 v25, v33, v26
	v_add_f32_e32 v22, v34, v30
	v_add_f32_e32 v21, v29, v31
	;; [unrolled: 1-line block ×6, first 2 shown]
	s_barrier
	buffer_gl0_inv
	s_cbranch_vccz .LBB510_18
.LBB510_8:                              ; =>This Inner Loop Header: Depth=1
	s_mov_b32 s19, s16
	s_mov_b32 s17, 0
	s_and_saveexec_b32 s18, s0
	s_cbranch_execnz .LBB510_16
; %bb.9:                                ;   in Loop: Header=BB510_8 Depth=1
	s_or_b32 exec_lo, exec_lo, s18
	s_and_saveexec_b32 s18, s19
	s_xor_b32 s18, exec_lo, s18
	s_cbranch_execnz .LBB510_17
.LBB510_10:                             ;   in Loop: Header=BB510_8 Depth=1
	s_or_b32 exec_lo, exec_lo, s18
	v_mov_b32_e32 v24, 0
	s_and_saveexec_b32 s18, s17
	s_cbranch_execz .LBB510_12
.LBB510_11:                             ;   in Loop: Header=BB510_8 Depth=1
	v_lshlrev_b64 v[24:25], 3, v[4:5]
	v_add_co_u32 v24, vcc_lo, v14, v24
	v_add_co_ci_u32_e64 v25, null, v15, v25, vcc_lo
	flat_load_dwordx2 v[25:26], v[24:25]
	s_waitcnt vmcnt(0) lgkmcnt(0)
	v_xor_b32_e32 v24, 0x80000000, v26
	ds_write_b32 v10, v25
.LBB510_12:                             ;   in Loop: Header=BB510_8 Depth=1
	s_or_b32 exec_lo, exec_lo, s18
	v_add_nc_u32_e32 v2, s6, v6
	ds_write_b32 v10, v24 offset:4
	v_cmp_le_u64_e32 vcc_lo, s[12:13], v[2:3]
	s_or_b32 s17, vcc_lo, s1
	s_and_saveexec_b32 s18, s17
	s_xor_b32 s17, exec_lo, s18
; %bb.13:                               ;   in Loop: Header=BB510_8 Depth=1
	v_mov_b32_e32 v2, v3
	ds_write_b64 v11, v[2:3]
; %bb.14:                               ;   in Loop: Header=BB510_8 Depth=1
	s_andn2_saveexec_b32 s17, s17
	s_cbranch_execz .LBB510_7
; %bb.15:                               ;   in Loop: Header=BB510_8 Depth=1
	v_lshlrev_b64 v[24:25], 3, v[2:3]
	v_add_co_u32 v24, vcc_lo, v12, v24
	v_add_co_ci_u32_e64 v25, null, v13, v25, vcc_lo
	flat_load_dwordx2 v[24:25], v[24:25]
	s_waitcnt vmcnt(0) lgkmcnt(0)
	ds_write_b64 v11, v[24:25]
	s_branch .LBB510_7
.LBB510_16:                             ;   in Loop: Header=BB510_8 Depth=1
	v_add_nc_u32_e32 v2, s6, v9
	v_mov_b32_e32 v5, v3
	s_andn2_b32 s19, s16, exec_lo
	s_mov_b32 s17, exec_lo
	v_cmp_le_u64_e32 vcc_lo, s[12:13], v[2:3]
	v_mov_b32_e32 v4, v2
	s_and_b32 s20, vcc_lo, exec_lo
	s_or_b32 s19, s19, s20
	s_or_b32 exec_lo, exec_lo, s18
	s_and_saveexec_b32 s18, s19
	s_xor_b32 s18, exec_lo, s18
	s_cbranch_execz .LBB510_10
.LBB510_17:                             ;   in Loop: Header=BB510_8 Depth=1
	s_andn2_b32 s17, s17, exec_lo
	ds_write_b32 v10, v3
	s_or_b32 exec_lo, exec_lo, s18
	v_mov_b32_e32 v24, 0
	s_and_saveexec_b32 s18, s17
	s_cbranch_execnz .LBB510_11
	s_branch .LBB510_12
.LBB510_18:
	v_add_nc_u32_e32 v9, s9, v1
	s_lshl_b64 s[0:1], s[42:43], 3
	v_add_nc_u32_e32 v0, s8, v0
	v_cmp_neq_f32_e64 s6, s2, 0
	s_waitcnt lgkmcnt(0)
	s_add_u32 s4, s4, s0
	v_ashrrev_i32_e32 v3, 31, v9
	v_mul_lo_u32 v4, s41, v9
	v_mad_u64_u32 v[1:2], null, s40, v9, 0
	s_addc_u32 s5, s5, s1
	v_mul_lo_u32 v3, s40, v3
	s_xor_b32 s7, s15, -1
	v_cmp_gt_i32_e64 s0, s14, v9
	v_cmp_le_i32_e32 vcc_lo, v0, v9
	s_or_b32 s6, s6, s7
	v_cndmask_b32_e64 v8, 0, 1, s6
	s_and_b32 s7, s0, vcc_lo
	v_add3_u32 v2, v2, v3, v4
	v_lshlrev_b64 v[2:3], 3, v[1:2]
	v_ashrrev_i32_e32 v1, 31, v0
	v_add_co_u32 v6, s1, s4, v2
	v_add_co_ci_u32_e64 v7, null, s5, v3, s1
	s_and_saveexec_b32 s1, s7
	s_cbranch_execz .LBB510_22
; %bb.19:
	v_lshlrev_b64 v[4:5], 3, v[0:1]
	v_mul_f32_e32 v2, s11, v22
	v_mul_f32_e32 v3, s10, v22
	v_fma_f32 v2, v23, s10, -v2
	v_add_co_u32 v4, vcc_lo, v6, v4
	v_fmac_f32_e32 v3, s11, v23
	v_add_co_ci_u32_e64 v5, null, v7, v5, vcc_lo
	s_andn2_b32 vcc_lo, exec_lo, s6
	s_cbranch_vccnz .LBB510_21
; %bb.20:
	flat_load_dwordx2 v[10:11], v[4:5]
	s_waitcnt vmcnt(0) lgkmcnt(0)
	v_mul_f32_e32 v12, s3, v11
	v_mul_f32_e32 v11, s2, v11
	v_fma_f32 v12, v10, s2, -v12
	v_fmac_f32_e32 v11, s3, v10
	v_add_f32_e32 v2, v2, v12
	v_add_f32_e32 v3, v3, v11
.LBB510_21:
	flat_store_dwordx2 v[4:5], v[2:3]
.LBB510_22:
	s_or_b32 exec_lo, exec_lo, s1
	v_add_nc_u32_e32 v2, 16, v0
	v_cmp_le_i32_e32 vcc_lo, v2, v9
	v_ashrrev_i32_e32 v3, 31, v2
	s_and_b32 s0, s0, vcc_lo
	s_and_saveexec_b32 s1, s0
	s_cbranch_execz .LBB510_26
; %bb.23:
	v_lshlrev_b64 v[10:11], 3, v[2:3]
	v_mul_f32_e32 v4, s11, v21
	v_mul_f32_e32 v5, s10, v21
	v_cmp_ne_u32_e32 vcc_lo, 1, v8
	v_fma_f32 v4, v20, s10, -v4
	v_add_co_u32 v6, s0, v6, v10
	v_fmac_f32_e32 v5, s11, v20
	v_add_co_ci_u32_e64 v7, null, v7, v11, s0
	s_cbranch_vccnz .LBB510_25
; %bb.24:
	flat_load_dwordx2 v[10:11], v[6:7]
	s_waitcnt vmcnt(0) lgkmcnt(0)
	v_mul_f32_e32 v12, s3, v11
	v_mul_f32_e32 v11, s2, v11
	v_fma_f32 v12, v10, s2, -v12
	v_fmac_f32_e32 v11, s3, v10
	v_add_f32_e32 v4, v4, v12
	v_add_f32_e32 v5, v5, v11
.LBB510_25:
	flat_store_dwordx2 v[6:7], v[4:5]
.LBB510_26:
	s_or_b32 exec_lo, exec_lo, s1
	v_add_nc_u32_e32 v9, 16, v9
	v_ashrrev_i32_e32 v6, 31, v9
	v_mul_lo_u32 v7, s41, v9
	v_mad_u64_u32 v[4:5], null, s40, v9, 0
	v_cmp_gt_i32_e64 s0, s14, v9
	v_mul_lo_u32 v6, s40, v6
	v_cmp_le_i32_e32 vcc_lo, v0, v9
	v_add3_u32 v5, v5, v6, v7
	v_lshlrev_b64 v[4:5], 3, v[4:5]
	v_add_co_u32 v6, s1, s4, v4
	v_add_co_ci_u32_e64 v7, null, s5, v5, s1
	s_and_b32 s1, s0, vcc_lo
	s_and_saveexec_b32 s4, s1
	s_cbranch_execz .LBB510_30
; %bb.27:
	v_lshlrev_b64 v[0:1], 3, v[0:1]
	v_mul_f32_e32 v4, s11, v19
	v_mul_f32_e32 v5, s10, v19
	v_cmp_ne_u32_e32 vcc_lo, 1, v8
	v_fma_f32 v4, v18, s10, -v4
	v_add_co_u32 v0, s1, v6, v0
	v_fmac_f32_e32 v5, s11, v18
	v_add_co_ci_u32_e64 v1, null, v7, v1, s1
	s_cbranch_vccnz .LBB510_29
; %bb.28:
	flat_load_dwordx2 v[10:11], v[0:1]
	s_waitcnt vmcnt(0) lgkmcnt(0)
	v_mul_f32_e32 v12, s3, v11
	v_mul_f32_e32 v11, s2, v11
	v_fma_f32 v12, v10, s2, -v12
	v_fmac_f32_e32 v11, s3, v10
	v_add_f32_e32 v4, v4, v12
	v_add_f32_e32 v5, v5, v11
.LBB510_29:
	flat_store_dwordx2 v[0:1], v[4:5]
.LBB510_30:
	s_or_b32 exec_lo, exec_lo, s4
	v_cmp_le_i32_e32 vcc_lo, v2, v9
	s_and_b32 s0, s0, vcc_lo
	s_and_saveexec_b32 s1, s0
	s_cbranch_execz .LBB510_34
; %bb.31:
	v_lshlrev_b64 v[2:3], 3, v[2:3]
	v_mul_f32_e32 v0, s11, v17
	v_mul_f32_e32 v1, s10, v17
	v_cmp_ne_u32_e32 vcc_lo, 1, v8
	v_fma_f32 v0, v16, s10, -v0
	v_add_co_u32 v2, s0, v6, v2
	v_fmac_f32_e32 v1, s11, v16
	v_add_co_ci_u32_e64 v3, null, v7, v3, s0
	s_cbranch_vccnz .LBB510_33
; %bb.32:
	flat_load_dwordx2 v[4:5], v[2:3]
	s_waitcnt vmcnt(0) lgkmcnt(0)
	v_mul_f32_e32 v6, s3, v5
	v_mul_f32_e32 v5, s2, v5
	v_fma_f32 v6, v4, s2, -v6
	v_fmac_f32_e32 v5, s3, v4
	v_add_f32_e32 v0, v0, v6
	v_add_f32_e32 v1, v1, v5
.LBB510_33:
	flat_store_dwordx2 v[2:3], v[0:1]
.LBB510_34:
	s_endpgm
	.section	.rodata,"a",@progbits
	.p2align	6, 0x0
	.amdhsa_kernel _ZL29rocblas_internal_gemmt_kernelIlLi16ELi32ELi8ELc67ELc78ELc85ELb1ELb0E19rocblas_complex_numIfEPKS1_PKS3_PKPS1_EviT_T9_T10_S9_lSB_S9_lSA_T11_S9_li
		.amdhsa_group_segment_fixed_size 4096
		.amdhsa_private_segment_fixed_size 0
		.amdhsa_kernarg_size 108
		.amdhsa_user_sgpr_count 6
		.amdhsa_user_sgpr_private_segment_buffer 1
		.amdhsa_user_sgpr_dispatch_ptr 0
		.amdhsa_user_sgpr_queue_ptr 0
		.amdhsa_user_sgpr_kernarg_segment_ptr 1
		.amdhsa_user_sgpr_dispatch_id 0
		.amdhsa_user_sgpr_flat_scratch_init 0
		.amdhsa_user_sgpr_private_segment_size 0
		.amdhsa_wavefront_size32 1
		.amdhsa_uses_dynamic_stack 0
		.amdhsa_system_sgpr_private_segment_wavefront_offset 0
		.amdhsa_system_sgpr_workgroup_id_x 1
		.amdhsa_system_sgpr_workgroup_id_y 1
		.amdhsa_system_sgpr_workgroup_id_z 1
		.amdhsa_system_sgpr_workgroup_info 0
		.amdhsa_system_vgpr_workitem_id 1
		.amdhsa_next_free_vgpr 61
		.amdhsa_next_free_sgpr 44
		.amdhsa_reserve_vcc 1
		.amdhsa_reserve_flat_scratch 0
		.amdhsa_float_round_mode_32 0
		.amdhsa_float_round_mode_16_64 0
		.amdhsa_float_denorm_mode_32 3
		.amdhsa_float_denorm_mode_16_64 3
		.amdhsa_dx10_clamp 1
		.amdhsa_ieee_mode 1
		.amdhsa_fp16_overflow 0
		.amdhsa_workgroup_processor_mode 1
		.amdhsa_memory_ordered 1
		.amdhsa_forward_progress 1
		.amdhsa_shared_vgpr_count 0
		.amdhsa_exception_fp_ieee_invalid_op 0
		.amdhsa_exception_fp_denorm_src 0
		.amdhsa_exception_fp_ieee_div_zero 0
		.amdhsa_exception_fp_ieee_overflow 0
		.amdhsa_exception_fp_ieee_underflow 0
		.amdhsa_exception_fp_ieee_inexact 0
		.amdhsa_exception_int_div_zero 0
	.end_amdhsa_kernel
	.section	.text._ZL29rocblas_internal_gemmt_kernelIlLi16ELi32ELi8ELc67ELc78ELc85ELb1ELb0E19rocblas_complex_numIfEPKS1_PKS3_PKPS1_EviT_T9_T10_S9_lSB_S9_lSA_T11_S9_li,"axG",@progbits,_ZL29rocblas_internal_gemmt_kernelIlLi16ELi32ELi8ELc67ELc78ELc85ELb1ELb0E19rocblas_complex_numIfEPKS1_PKS3_PKPS1_EviT_T9_T10_S9_lSB_S9_lSA_T11_S9_li,comdat
.Lfunc_end510:
	.size	_ZL29rocblas_internal_gemmt_kernelIlLi16ELi32ELi8ELc67ELc78ELc85ELb1ELb0E19rocblas_complex_numIfEPKS1_PKS3_PKPS1_EviT_T9_T10_S9_lSB_S9_lSA_T11_S9_li, .Lfunc_end510-_ZL29rocblas_internal_gemmt_kernelIlLi16ELi32ELi8ELc67ELc78ELc85ELb1ELb0E19rocblas_complex_numIfEPKS1_PKS3_PKPS1_EviT_T9_T10_S9_lSB_S9_lSA_T11_S9_li
                                        ; -- End function
	.set _ZL29rocblas_internal_gemmt_kernelIlLi16ELi32ELi8ELc67ELc78ELc85ELb1ELb0E19rocblas_complex_numIfEPKS1_PKS3_PKPS1_EviT_T9_T10_S9_lSB_S9_lSA_T11_S9_li.num_vgpr, 61
	.set _ZL29rocblas_internal_gemmt_kernelIlLi16ELi32ELi8ELc67ELc78ELc85ELb1ELb0E19rocblas_complex_numIfEPKS1_PKS3_PKPS1_EviT_T9_T10_S9_lSB_S9_lSA_T11_S9_li.num_agpr, 0
	.set _ZL29rocblas_internal_gemmt_kernelIlLi16ELi32ELi8ELc67ELc78ELc85ELb1ELb0E19rocblas_complex_numIfEPKS1_PKS3_PKPS1_EviT_T9_T10_S9_lSB_S9_lSA_T11_S9_li.numbered_sgpr, 44
	.set _ZL29rocblas_internal_gemmt_kernelIlLi16ELi32ELi8ELc67ELc78ELc85ELb1ELb0E19rocblas_complex_numIfEPKS1_PKS3_PKPS1_EviT_T9_T10_S9_lSB_S9_lSA_T11_S9_li.num_named_barrier, 0
	.set _ZL29rocblas_internal_gemmt_kernelIlLi16ELi32ELi8ELc67ELc78ELc85ELb1ELb0E19rocblas_complex_numIfEPKS1_PKS3_PKPS1_EviT_T9_T10_S9_lSB_S9_lSA_T11_S9_li.private_seg_size, 0
	.set _ZL29rocblas_internal_gemmt_kernelIlLi16ELi32ELi8ELc67ELc78ELc85ELb1ELb0E19rocblas_complex_numIfEPKS1_PKS3_PKPS1_EviT_T9_T10_S9_lSB_S9_lSA_T11_S9_li.uses_vcc, 1
	.set _ZL29rocblas_internal_gemmt_kernelIlLi16ELi32ELi8ELc67ELc78ELc85ELb1ELb0E19rocblas_complex_numIfEPKS1_PKS3_PKPS1_EviT_T9_T10_S9_lSB_S9_lSA_T11_S9_li.uses_flat_scratch, 0
	.set _ZL29rocblas_internal_gemmt_kernelIlLi16ELi32ELi8ELc67ELc78ELc85ELb1ELb0E19rocblas_complex_numIfEPKS1_PKS3_PKPS1_EviT_T9_T10_S9_lSB_S9_lSA_T11_S9_li.has_dyn_sized_stack, 0
	.set _ZL29rocblas_internal_gemmt_kernelIlLi16ELi32ELi8ELc67ELc78ELc85ELb1ELb0E19rocblas_complex_numIfEPKS1_PKS3_PKPS1_EviT_T9_T10_S9_lSB_S9_lSA_T11_S9_li.has_recursion, 0
	.set _ZL29rocblas_internal_gemmt_kernelIlLi16ELi32ELi8ELc67ELc78ELc85ELb1ELb0E19rocblas_complex_numIfEPKS1_PKS3_PKPS1_EviT_T9_T10_S9_lSB_S9_lSA_T11_S9_li.has_indirect_call, 0
	.section	.AMDGPU.csdata,"",@progbits
; Kernel info:
; codeLenInByte = 2648
; TotalNumSgprs: 46
; NumVgprs: 61
; ScratchSize: 0
; MemoryBound: 0
; FloatMode: 240
; IeeeMode: 1
; LDSByteSize: 4096 bytes/workgroup (compile time only)
; SGPRBlocks: 0
; VGPRBlocks: 7
; NumSGPRsForWavesPerEU: 46
; NumVGPRsForWavesPerEU: 61
; Occupancy: 16
; WaveLimiterHint : 1
; COMPUTE_PGM_RSRC2:SCRATCH_EN: 0
; COMPUTE_PGM_RSRC2:USER_SGPR: 6
; COMPUTE_PGM_RSRC2:TRAP_HANDLER: 0
; COMPUTE_PGM_RSRC2:TGID_X_EN: 1
; COMPUTE_PGM_RSRC2:TGID_Y_EN: 1
; COMPUTE_PGM_RSRC2:TGID_Z_EN: 1
; COMPUTE_PGM_RSRC2:TIDIG_COMP_CNT: 1
	.section	.text._ZL29rocblas_internal_gemmt_kernelIlLi16ELi32ELi8ELc67ELc84ELc85ELb1ELb0E19rocblas_complex_numIfEPKS1_PKS3_PKPS1_EviT_T9_T10_S9_lSB_S9_lSA_T11_S9_li,"axG",@progbits,_ZL29rocblas_internal_gemmt_kernelIlLi16ELi32ELi8ELc67ELc84ELc85ELb1ELb0E19rocblas_complex_numIfEPKS1_PKS3_PKPS1_EviT_T9_T10_S9_lSB_S9_lSA_T11_S9_li,comdat
	.globl	_ZL29rocblas_internal_gemmt_kernelIlLi16ELi32ELi8ELc67ELc84ELc85ELb1ELb0E19rocblas_complex_numIfEPKS1_PKS3_PKPS1_EviT_T9_T10_S9_lSB_S9_lSA_T11_S9_li ; -- Begin function _ZL29rocblas_internal_gemmt_kernelIlLi16ELi32ELi8ELc67ELc84ELc85ELb1ELb0E19rocblas_complex_numIfEPKS1_PKS3_PKPS1_EviT_T9_T10_S9_lSB_S9_lSA_T11_S9_li
	.p2align	8
	.type	_ZL29rocblas_internal_gemmt_kernelIlLi16ELi32ELi8ELc67ELc84ELc85ELb1ELb0E19rocblas_complex_numIfEPKS1_PKS3_PKPS1_EviT_T9_T10_S9_lSB_S9_lSA_T11_S9_li,@function
_ZL29rocblas_internal_gemmt_kernelIlLi16ELi32ELi8ELc67ELc84ELc85ELb1ELb0E19rocblas_complex_numIfEPKS1_PKS3_PKPS1_EviT_T9_T10_S9_lSB_S9_lSA_T11_S9_li: ; @_ZL29rocblas_internal_gemmt_kernelIlLi16ELi32ELi8ELc67ELc84ELc85ELb1ELb0E19rocblas_complex_numIfEPKS1_PKS3_PKPS1_EviT_T9_T10_S9_lSB_S9_lSA_T11_S9_li
; %bb.0:
	s_clause 0x1
	s_load_dwordx8 s[36:43], s[4:5], 0x48
	s_load_dwordx16 s[12:27], s[4:5], 0x8
	s_waitcnt lgkmcnt(0)
	s_load_dwordx2 s[2:3], s[36:37], 0x0
	s_load_dwordx2 s[10:11], s[14:15], 0x0
	s_waitcnt lgkmcnt(0)
	s_and_b32 s0, s3, 0x7fffffff
	v_cmp_eq_f32_e64 s1, s2, 1.0
	s_cmp_eq_u32 s0, 0
	s_mov_b32 s0, 0
	s_cselect_b32 s15, -1, 0
	s_and_b32 s1, s1, s15
	s_andn2_b32 vcc_lo, exec_lo, s1
	s_mov_b32 s1, -1
	s_cbranch_vccnz .LBB511_4
; %bb.1:
	s_cmp_lg_u64 s[12:13], 0
	s_cbranch_scc0 .LBB511_3
; %bb.2:
	v_cmp_neq_f32_e64 s0, s10, 0
	v_cmp_neq_f32_e64 s1, s11, 0
	s_or_b32 s0, s0, s1
.LBB511_3:
	s_mov_b32 s1, s0
.LBB511_4:
	s_and_b32 vcc_lo, exec_lo, s1
	s_cbranch_vccz .LBB511_34
; %bb.5:
	s_mov_b32 s9, 0
	s_load_dword s14, s[4:5], 0x0
	s_lshl_b64 s[0:1], s[8:9], 3
	v_cmp_eq_f32_e64 s8, s10, 0
	s_add_u32 s4, s38, s0
	s_addc_u32 s5, s39, s1
	v_cmp_eq_f32_e64 s9, s11, 0
	s_load_dwordx2 s[4:5], s[4:5], 0x0
	v_cmp_lt_i64_e64 s28, s[12:13], 1
	v_mov_b32_e32 v23, 0
	v_mov_b32_e32 v22, 0
	s_and_b32 s9, s8, s9
	v_mov_b32_e32 v20, 0
	v_mov_b32_e32 v21, 0
	;; [unrolled: 1-line block ×6, first 2 shown]
	s_lshl_b32 s8, s6, 5
	s_or_b32 s6, s9, s28
	s_lshl_b32 s9, s7, 5
	s_and_b32 vcc_lo, exec_lo, s6
	s_cbranch_vccnz .LBB511_18
; %bb.6:
	s_add_u32 s6, s22, s0
	s_addc_u32 s7, s23, s1
	s_lshl_b64 s[22:23], s[26:27], 3
	s_load_dwordx2 s[6:7], s[6:7], 0x0
	v_lshl_add_u32 v2, v1, 4, v0
	v_and_b32_e32 v6, 7, v0
	v_lshlrev_b32_e32 v7, 3, v0
	v_lshl_add_u32 v8, v1, 6, 0x800
	v_mov_b32_e32 v3, 0
	v_and_b32_e32 v5, 31, v2
	v_lshrrev_b32_e32 v10, 3, v2
	v_lshlrev_b32_e32 v11, 3, v6
	v_lshrrev_b32_e32 v9, 5, v2
	v_mov_b32_e32 v17, 0
	v_or_b32_e32 v14, s8, v5
	v_add_nc_u32_e32 v4, s9, v10
	v_lshl_or_b32 v11, v10, 6, v11
	v_lshlrev_b32_e32 v2, 3, v5
	v_mov_b32_e32 v16, 0
	v_mul_lo_u32 v10, s19, v14
	v_mad_u64_u32 v[12:13], null, s18, v14, 0
	v_ashrrev_i32_e32 v5, 31, v4
	s_waitcnt lgkmcnt(0)
	s_add_u32 s22, s6, s22
	s_addc_u32 s23, s7, s23
	s_add_u32 s0, s16, s0
	s_addc_u32 s1, s17, s1
	s_lshl_b64 s[6:7], s[20:21], 3
	s_load_dwordx2 s[0:1], s[0:1], 0x0
	v_cmp_le_i32_e64 s16, s14, v14
	v_cmp_gt_i32_e32 vcc_lo, s14, v4
	v_mov_b32_e32 v19, 0
	v_mov_b32_e32 v18, 0
	;; [unrolled: 1-line block ×5, first 2 shown]
	v_add_nc_u32_e32 v11, 0x800, v11
	v_mov_b32_e32 v23, 0
	s_waitcnt lgkmcnt(0)
	s_add_u32 s6, s0, s6
	s_addc_u32 s7, s1, s7
	s_ashr_i32 s1, s8, 31
	v_cmp_gt_i32_e64 s0, s14, v14
	s_mul_i32 s1, s18, s1
	v_lshlrev_b64 v[14:15], 3, v[4:5]
	v_add3_u32 v13, v13, s1, v10
	v_lshl_or_b32 v10, v9, 8, v2
	v_lshlrev_b64 v[4:5], 3, v[12:13]
	v_add_co_u32 v12, s1, s22, v14
	v_add_co_ci_u32_e64 v13, null, s23, v15, s1
	v_add_co_u32 v14, s1, s6, v4
	v_add_co_ci_u32_e64 v15, null, s7, v5, s1
	s_mov_b64 s[6:7], 0
	s_xor_b32 s1, vcc_lo, -1
                                        ; implicit-def: $vgpr4_vgpr5
	s_branch .LBB511_8
.LBB511_7:                              ;   in Loop: Header=BB511_8 Depth=1
	s_or_b32 exec_lo, exec_lo, s17
	s_waitcnt lgkmcnt(0)
	s_barrier
	buffer_gl0_inv
	ds_read_b128 v[24:27], v8
	ds_read2_b64 v[28:31], v7 offset1:16
	ds_read_b128 v[32:35], v8 offset:1024
	ds_read_b128 v[36:39], v8 offset:16
	;; [unrolled: 1-line block ×4, first 2 shown]
	ds_read2_b64 v[48:51], v7 offset0:32 offset1:48
	ds_read_b128 v[52:55], v8 offset:1040
	s_add_u32 s6, s6, 8
	s_addc_u32 s7, s7, 0
	v_cmp_gt_i64_e64 s17, s[12:13], s[6:7]
	s_and_b32 vcc_lo, exec_lo, s17
	s_waitcnt lgkmcnt(6)
	v_mul_f32_e32 v2, v25, v29
	v_mul_f32_e32 v56, v24, v29
	;; [unrolled: 1-line block ×4, first 2 shown]
	s_waitcnt lgkmcnt(5)
	v_mul_f32_e32 v59, v33, v29
	v_mul_f32_e32 v29, v32, v29
	;; [unrolled: 1-line block ×3, first 2 shown]
	v_fma_f32 v2, v24, v28, -v2
	v_fmac_f32_e32 v56, v25, v28
	v_fma_f32 v24, v24, v30, -v57
	v_fmac_f32_e32 v58, v25, v30
	;; [unrolled: 2-line block ×3, first 2 shown]
	v_mul_f32_e32 v31, v32, v31
	v_fma_f32 v28, v32, v30, -v60
	v_add_f32_e32 v2, v23, v2
	v_add_f32_e32 v23, v20, v24
	v_add_f32_e32 v24, v21, v58
	v_add_f32_e32 v25, v18, v25
	v_add_f32_e32 v29, v19, v29
	s_waitcnt lgkmcnt(1)
	v_mul_f32_e32 v32, v27, v49
	ds_read2_b64 v[18:21], v7 offset0:64 offset1:80
	v_fmac_f32_e32 v31, v33, v30
	v_add_f32_e32 v16, v16, v28
	v_mul_f32_e32 v28, v26, v49
	v_fma_f32 v30, v26, v48, -v32
	v_mul_f32_e32 v32, v27, v51
	v_add_f32_e32 v22, v22, v56
	v_add_f32_e32 v17, v17, v31
	v_fmac_f32_e32 v28, v27, v48
	v_mul_f32_e32 v31, v26, v51
	v_add_f32_e32 v2, v2, v30
	v_fma_f32 v26, v26, v50, -v32
	v_mul_f32_e32 v30, v35, v49
	v_add_f32_e32 v28, v22, v28
	v_fmac_f32_e32 v31, v27, v50
	v_mul_f32_e32 v22, v34, v49
	v_add_f32_e32 v26, v23, v26
	v_fma_f32 v23, v34, v48, -v30
	v_mul_f32_e32 v27, v35, v51
	v_add_f32_e32 v30, v24, v31
	v_fmac_f32_e32 v22, v35, v48
	v_mul_f32_e32 v31, v34, v51
	v_add_f32_e32 v32, v25, v23
	v_fma_f32 v23, v34, v50, -v27
	s_waitcnt lgkmcnt(0)
	v_mul_f32_e32 v24, v37, v19
	v_add_f32_e32 v27, v29, v22
	v_fmac_f32_e32 v31, v35, v50
	v_mul_f32_e32 v29, v36, v19
	v_add_f32_e32 v16, v16, v23
	v_fma_f32 v33, v36, v18, -v24
	v_mul_f32_e32 v34, v37, v21
	ds_read2_b64 v[22:25], v7 offset0:96 offset1:112
	v_fmac_f32_e32 v29, v37, v18
	v_add_f32_e32 v31, v17, v31
	v_add_f32_e32 v2, v2, v33
	v_mul_f32_e32 v17, v36, v21
	v_fma_f32 v33, v36, v20, -v34
	v_add_f32_e32 v28, v28, v29
	v_mul_f32_e32 v29, v53, v19
	v_mul_f32_e32 v19, v52, v19
	v_fmac_f32_e32 v17, v37, v20
	v_add_f32_e32 v26, v26, v33
	v_mul_f32_e32 v33, v53, v21
	v_mul_f32_e32 v21, v52, v21
	v_fmac_f32_e32 v19, v53, v18
	v_add_f32_e32 v30, v30, v17
	v_fma_f32 v29, v52, v18, -v29
	v_fma_f32 v17, v52, v20, -v33
	v_fmac_f32_e32 v21, v53, v20
	v_add_f32_e32 v33, v27, v19
	s_waitcnt lgkmcnt(0)
	v_mul_f32_e32 v20, v39, v23
	v_add_f32_e32 v34, v16, v17
	ds_read2_b64 v[16:19], v7 offset0:128 offset1:144
	v_add_f32_e32 v32, v32, v29
	v_mul_f32_e32 v27, v38, v23
	v_mul_f32_e32 v29, v39, v25
	v_fma_f32 v20, v38, v22, -v20
	v_add_f32_e32 v31, v31, v21
	v_mul_f32_e32 v21, v38, v25
	v_fmac_f32_e32 v27, v39, v22
	v_fma_f32 v29, v38, v24, -v29
	v_add_f32_e32 v2, v2, v20
	v_mul_f32_e32 v20, v55, v23
	v_fmac_f32_e32 v21, v39, v24
	v_add_f32_e32 v35, v28, v27
	v_add_f32_e32 v36, v26, v29
	v_mul_f32_e32 v23, v54, v23
	v_fma_f32 v20, v54, v22, -v20
	v_mul_f32_e32 v37, v55, v25
	ds_read_b128 v[26:29], v8 offset:1056
	v_add_f32_e32 v38, v30, v21
	v_fmac_f32_e32 v23, v55, v22
	v_mul_f32_e32 v25, v54, v25
	v_fma_f32 v21, v54, v24, -v37
	v_add_f32_e32 v37, v32, v20
	s_waitcnt lgkmcnt(1)
	v_mul_f32_e32 v20, v41, v17
	v_add_f32_e32 v39, v33, v23
	v_fmac_f32_e32 v25, v55, v24
	v_add_f32_e32 v24, v34, v21
	v_mul_f32_e32 v32, v41, v19
	v_fma_f32 v30, v40, v16, -v20
	ds_read2_b64 v[20:23], v7 offset0:160 offset1:176
	v_mul_f32_e32 v34, v40, v17
	v_add_f32_e32 v25, v31, v25
	v_fma_f32 v48, v40, v18, -v32
	v_mul_f32_e32 v40, v40, v19
	v_add_f32_e32 v2, v2, v30
	v_fmac_f32_e32 v34, v41, v16
	ds_read_b128 v[30:33], v8 offset:1072
	s_waitcnt lgkmcnt(2)
	v_mul_f32_e32 v49, v27, v17
	v_mul_f32_e32 v17, v26, v17
	v_fmac_f32_e32 v40, v41, v18
	v_mul_f32_e32 v41, v27, v19
	v_add_f32_e32 v34, v35, v34
	v_add_f32_e32 v35, v36, v48
	v_fma_f32 v36, v26, v16, -v49
	v_fmac_f32_e32 v17, v27, v16
	v_add_f32_e32 v38, v38, v40
	v_mul_f32_e32 v40, v26, v19
	v_fma_f32 v16, v26, v18, -v41
	v_add_f32_e32 v36, v37, v36
	v_add_f32_e32 v26, v39, v17
	s_waitcnt lgkmcnt(1)
	v_mul_f32_e32 v37, v43, v21
	v_fmac_f32_e32 v40, v27, v18
	v_add_f32_e32 v24, v24, v16
	ds_read2_b64 v[16:19], v7 offset0:192 offset1:208
	v_mul_f32_e32 v27, v42, v21
	v_fma_f32 v37, v42, v20, -v37
	v_mul_f32_e32 v39, v43, v23
	v_add_f32_e32 v40, v25, v40
	v_mul_f32_e32 v25, v42, v23
	v_fmac_f32_e32 v27, v43, v20
	v_add_f32_e32 v2, v2, v37
	v_fma_f32 v37, v42, v22, -v39
	v_fmac_f32_e32 v25, v43, v22
	v_add_f32_e32 v34, v34, v27
	v_mul_f32_e32 v27, v29, v21
	v_mul_f32_e32 v21, v28, v21
	v_add_f32_e32 v35, v35, v37
	v_mul_f32_e32 v37, v29, v23
	v_add_f32_e32 v38, v38, v25
	v_fma_f32 v27, v28, v20, -v27
	v_fmac_f32_e32 v21, v29, v20
	v_mul_f32_e32 v20, v28, v23
	v_fma_f32 v23, v28, v22, -v37
	s_waitcnt lgkmcnt(0)
	v_mul_f32_e32 v25, v45, v17
	v_add_f32_e32 v28, v36, v27
	v_add_f32_e32 v21, v26, v21
	v_fmac_f32_e32 v20, v29, v22
	v_add_f32_e32 v22, v24, v23
	v_fma_f32 v29, v44, v16, -v25
	ds_read2_b64 v[24:27], v7 offset0:224 offset1:240
	v_mul_f32_e32 v23, v44, v17
	v_mul_f32_e32 v37, v31, v17
	;; [unrolled: 1-line block ×4, first 2 shown]
	v_add_f32_e32 v2, v2, v29
	v_fmac_f32_e32 v23, v45, v16
	v_mul_f32_e32 v29, v44, v19
	v_fmac_f32_e32 v17, v31, v16
	v_fma_f32 v36, v44, v18, -v36
	v_add_f32_e32 v20, v40, v20
	v_add_f32_e32 v34, v34, v23
	v_fma_f32 v23, v30, v16, -v37
	v_mul_f32_e32 v16, v31, v19
	v_mul_f32_e32 v19, v30, v19
	v_fmac_f32_e32 v29, v45, v18
	v_add_f32_e32 v17, v21, v17
	v_add_f32_e32 v35, v35, v36
	v_fma_f32 v16, v30, v18, -v16
	v_fmac_f32_e32 v19, v31, v18
	s_waitcnt lgkmcnt(0)
	v_mul_f32_e32 v21, v47, v25
	v_mul_f32_e32 v18, v47, v27
	v_add_f32_e32 v28, v28, v23
	v_mul_f32_e32 v30, v46, v25
	v_mul_f32_e32 v31, v46, v27
	v_fma_f32 v21, v46, v24, -v21
	v_fma_f32 v18, v46, v26, -v18
	v_add_f32_e32 v36, v20, v19
	v_mul_f32_e32 v19, v32, v25
	v_add_f32_e32 v29, v38, v29
	v_add_f32_e32 v23, v2, v21
	v_add_f32_e32 v20, v35, v18
	v_mul_f32_e32 v2, v33, v25
	v_mul_f32_e32 v18, v33, v27
	;; [unrolled: 1-line block ×3, first 2 shown]
	v_add_f32_e32 v16, v22, v16
	v_fmac_f32_e32 v30, v47, v24
	v_fmac_f32_e32 v31, v47, v26
	v_fma_f32 v2, v32, v24, -v2
	v_fmac_f32_e32 v19, v33, v24
	v_fma_f32 v24, v32, v26, -v18
	v_fmac_f32_e32 v25, v33, v26
	v_add_f32_e32 v22, v34, v30
	v_add_f32_e32 v21, v29, v31
	;; [unrolled: 1-line block ×6, first 2 shown]
	s_barrier
	buffer_gl0_inv
	s_cbranch_vccz .LBB511_18
.LBB511_8:                              ; =>This Inner Loop Header: Depth=1
	s_mov_b32 s19, s16
	s_mov_b32 s17, 0
	s_and_saveexec_b32 s18, s0
	s_cbranch_execnz .LBB511_16
; %bb.9:                                ;   in Loop: Header=BB511_8 Depth=1
	s_or_b32 exec_lo, exec_lo, s18
	s_and_saveexec_b32 s18, s19
	s_xor_b32 s18, exec_lo, s18
	s_cbranch_execnz .LBB511_17
.LBB511_10:                             ;   in Loop: Header=BB511_8 Depth=1
	s_or_b32 exec_lo, exec_lo, s18
	v_mov_b32_e32 v24, 0
	s_and_saveexec_b32 s18, s17
	s_cbranch_execz .LBB511_12
.LBB511_11:                             ;   in Loop: Header=BB511_8 Depth=1
	v_lshlrev_b64 v[24:25], 3, v[4:5]
	v_add_co_u32 v24, vcc_lo, v14, v24
	v_add_co_ci_u32_e64 v25, null, v15, v25, vcc_lo
	flat_load_dwordx2 v[25:26], v[24:25]
	s_waitcnt vmcnt(0) lgkmcnt(0)
	v_xor_b32_e32 v24, 0x80000000, v26
	ds_write_b32 v10, v25
.LBB511_12:                             ;   in Loop: Header=BB511_8 Depth=1
	s_or_b32 exec_lo, exec_lo, s18
	v_add_nc_u32_e32 v2, s6, v6
	ds_write_b32 v10, v24 offset:4
	v_cmp_le_u64_e32 vcc_lo, s[12:13], v[2:3]
	s_or_b32 s17, vcc_lo, s1
	s_and_saveexec_b32 s18, s17
	s_xor_b32 s17, exec_lo, s18
; %bb.13:                               ;   in Loop: Header=BB511_8 Depth=1
	v_mov_b32_e32 v2, v3
	ds_write_b64 v11, v[2:3]
; %bb.14:                               ;   in Loop: Header=BB511_8 Depth=1
	s_andn2_saveexec_b32 s17, s17
	s_cbranch_execz .LBB511_7
; %bb.15:                               ;   in Loop: Header=BB511_8 Depth=1
	v_mad_u64_u32 v[24:25], null, s24, v2, 0
	v_mad_u64_u32 v[25:26], null, s25, v2, v[25:26]
	v_lshlrev_b64 v[24:25], 3, v[24:25]
	v_add_co_u32 v24, vcc_lo, v12, v24
	v_add_co_ci_u32_e64 v25, null, v13, v25, vcc_lo
	flat_load_dwordx2 v[24:25], v[24:25]
	s_waitcnt vmcnt(0) lgkmcnt(0)
	ds_write_b64 v11, v[24:25]
	s_branch .LBB511_7
.LBB511_16:                             ;   in Loop: Header=BB511_8 Depth=1
	v_add_nc_u32_e32 v2, s6, v9
	v_mov_b32_e32 v5, v3
	s_andn2_b32 s19, s16, exec_lo
	s_mov_b32 s17, exec_lo
	v_cmp_le_u64_e32 vcc_lo, s[12:13], v[2:3]
	v_mov_b32_e32 v4, v2
	s_and_b32 s20, vcc_lo, exec_lo
	s_or_b32 s19, s19, s20
	s_or_b32 exec_lo, exec_lo, s18
	s_and_saveexec_b32 s18, s19
	s_xor_b32 s18, exec_lo, s18
	s_cbranch_execz .LBB511_10
.LBB511_17:                             ;   in Loop: Header=BB511_8 Depth=1
	s_andn2_b32 s17, s17, exec_lo
	ds_write_b32 v10, v3
	s_or_b32 exec_lo, exec_lo, s18
	v_mov_b32_e32 v24, 0
	s_and_saveexec_b32 s18, s17
	s_cbranch_execnz .LBB511_11
	s_branch .LBB511_12
.LBB511_18:
	v_add_nc_u32_e32 v9, s9, v1
	s_lshl_b64 s[0:1], s[42:43], 3
	v_add_nc_u32_e32 v0, s8, v0
	v_cmp_neq_f32_e64 s6, s2, 0
	s_waitcnt lgkmcnt(0)
	s_add_u32 s4, s4, s0
	v_ashrrev_i32_e32 v3, 31, v9
	v_mul_lo_u32 v4, s41, v9
	v_mad_u64_u32 v[1:2], null, s40, v9, 0
	s_addc_u32 s5, s5, s1
	v_mul_lo_u32 v3, s40, v3
	s_xor_b32 s7, s15, -1
	v_cmp_gt_i32_e64 s0, s14, v9
	v_cmp_le_i32_e32 vcc_lo, v0, v9
	s_or_b32 s6, s6, s7
	v_cndmask_b32_e64 v8, 0, 1, s6
	s_and_b32 s7, s0, vcc_lo
	v_add3_u32 v2, v2, v3, v4
	v_lshlrev_b64 v[2:3], 3, v[1:2]
	v_ashrrev_i32_e32 v1, 31, v0
	v_add_co_u32 v6, s1, s4, v2
	v_add_co_ci_u32_e64 v7, null, s5, v3, s1
	s_and_saveexec_b32 s1, s7
	s_cbranch_execz .LBB511_22
; %bb.19:
	v_lshlrev_b64 v[4:5], 3, v[0:1]
	v_mul_f32_e32 v2, s11, v22
	v_mul_f32_e32 v3, s10, v22
	v_fma_f32 v2, v23, s10, -v2
	v_add_co_u32 v4, vcc_lo, v6, v4
	v_fmac_f32_e32 v3, s11, v23
	v_add_co_ci_u32_e64 v5, null, v7, v5, vcc_lo
	s_andn2_b32 vcc_lo, exec_lo, s6
	s_cbranch_vccnz .LBB511_21
; %bb.20:
	flat_load_dwordx2 v[10:11], v[4:5]
	s_waitcnt vmcnt(0) lgkmcnt(0)
	v_mul_f32_e32 v12, s3, v11
	v_mul_f32_e32 v11, s2, v11
	v_fma_f32 v12, v10, s2, -v12
	v_fmac_f32_e32 v11, s3, v10
	v_add_f32_e32 v2, v2, v12
	v_add_f32_e32 v3, v3, v11
.LBB511_21:
	flat_store_dwordx2 v[4:5], v[2:3]
.LBB511_22:
	s_or_b32 exec_lo, exec_lo, s1
	v_add_nc_u32_e32 v2, 16, v0
	v_cmp_le_i32_e32 vcc_lo, v2, v9
	v_ashrrev_i32_e32 v3, 31, v2
	s_and_b32 s0, s0, vcc_lo
	s_and_saveexec_b32 s1, s0
	s_cbranch_execz .LBB511_26
; %bb.23:
	v_lshlrev_b64 v[10:11], 3, v[2:3]
	v_mul_f32_e32 v4, s11, v21
	v_mul_f32_e32 v5, s10, v21
	v_cmp_ne_u32_e32 vcc_lo, 1, v8
	v_fma_f32 v4, v20, s10, -v4
	v_add_co_u32 v6, s0, v6, v10
	v_fmac_f32_e32 v5, s11, v20
	v_add_co_ci_u32_e64 v7, null, v7, v11, s0
	s_cbranch_vccnz .LBB511_25
; %bb.24:
	flat_load_dwordx2 v[10:11], v[6:7]
	s_waitcnt vmcnt(0) lgkmcnt(0)
	v_mul_f32_e32 v12, s3, v11
	v_mul_f32_e32 v11, s2, v11
	v_fma_f32 v12, v10, s2, -v12
	v_fmac_f32_e32 v11, s3, v10
	v_add_f32_e32 v4, v4, v12
	v_add_f32_e32 v5, v5, v11
.LBB511_25:
	flat_store_dwordx2 v[6:7], v[4:5]
.LBB511_26:
	s_or_b32 exec_lo, exec_lo, s1
	v_add_nc_u32_e32 v9, 16, v9
	v_ashrrev_i32_e32 v6, 31, v9
	v_mul_lo_u32 v7, s41, v9
	v_mad_u64_u32 v[4:5], null, s40, v9, 0
	v_cmp_gt_i32_e64 s0, s14, v9
	v_mul_lo_u32 v6, s40, v6
	v_cmp_le_i32_e32 vcc_lo, v0, v9
	v_add3_u32 v5, v5, v6, v7
	v_lshlrev_b64 v[4:5], 3, v[4:5]
	v_add_co_u32 v6, s1, s4, v4
	v_add_co_ci_u32_e64 v7, null, s5, v5, s1
	s_and_b32 s1, s0, vcc_lo
	s_and_saveexec_b32 s4, s1
	s_cbranch_execz .LBB511_30
; %bb.27:
	v_lshlrev_b64 v[0:1], 3, v[0:1]
	v_mul_f32_e32 v4, s11, v19
	v_mul_f32_e32 v5, s10, v19
	v_cmp_ne_u32_e32 vcc_lo, 1, v8
	v_fma_f32 v4, v18, s10, -v4
	v_add_co_u32 v0, s1, v6, v0
	v_fmac_f32_e32 v5, s11, v18
	v_add_co_ci_u32_e64 v1, null, v7, v1, s1
	s_cbranch_vccnz .LBB511_29
; %bb.28:
	flat_load_dwordx2 v[10:11], v[0:1]
	s_waitcnt vmcnt(0) lgkmcnt(0)
	v_mul_f32_e32 v12, s3, v11
	v_mul_f32_e32 v11, s2, v11
	v_fma_f32 v12, v10, s2, -v12
	v_fmac_f32_e32 v11, s3, v10
	v_add_f32_e32 v4, v4, v12
	v_add_f32_e32 v5, v5, v11
.LBB511_29:
	flat_store_dwordx2 v[0:1], v[4:5]
.LBB511_30:
	s_or_b32 exec_lo, exec_lo, s4
	v_cmp_le_i32_e32 vcc_lo, v2, v9
	s_and_b32 s0, s0, vcc_lo
	s_and_saveexec_b32 s1, s0
	s_cbranch_execz .LBB511_34
; %bb.31:
	v_lshlrev_b64 v[2:3], 3, v[2:3]
	v_mul_f32_e32 v0, s11, v17
	v_mul_f32_e32 v1, s10, v17
	v_cmp_ne_u32_e32 vcc_lo, 1, v8
	v_fma_f32 v0, v16, s10, -v0
	v_add_co_u32 v2, s0, v6, v2
	v_fmac_f32_e32 v1, s11, v16
	v_add_co_ci_u32_e64 v3, null, v7, v3, s0
	s_cbranch_vccnz .LBB511_33
; %bb.32:
	flat_load_dwordx2 v[4:5], v[2:3]
	s_waitcnt vmcnt(0) lgkmcnt(0)
	v_mul_f32_e32 v6, s3, v5
	v_mul_f32_e32 v5, s2, v5
	v_fma_f32 v6, v4, s2, -v6
	v_fmac_f32_e32 v5, s3, v4
	v_add_f32_e32 v0, v0, v6
	v_add_f32_e32 v1, v1, v5
.LBB511_33:
	flat_store_dwordx2 v[2:3], v[0:1]
.LBB511_34:
	s_endpgm
	.section	.rodata,"a",@progbits
	.p2align	6, 0x0
	.amdhsa_kernel _ZL29rocblas_internal_gemmt_kernelIlLi16ELi32ELi8ELc67ELc84ELc85ELb1ELb0E19rocblas_complex_numIfEPKS1_PKS3_PKPS1_EviT_T9_T10_S9_lSB_S9_lSA_T11_S9_li
		.amdhsa_group_segment_fixed_size 4096
		.amdhsa_private_segment_fixed_size 0
		.amdhsa_kernarg_size 108
		.amdhsa_user_sgpr_count 6
		.amdhsa_user_sgpr_private_segment_buffer 1
		.amdhsa_user_sgpr_dispatch_ptr 0
		.amdhsa_user_sgpr_queue_ptr 0
		.amdhsa_user_sgpr_kernarg_segment_ptr 1
		.amdhsa_user_sgpr_dispatch_id 0
		.amdhsa_user_sgpr_flat_scratch_init 0
		.amdhsa_user_sgpr_private_segment_size 0
		.amdhsa_wavefront_size32 1
		.amdhsa_uses_dynamic_stack 0
		.amdhsa_system_sgpr_private_segment_wavefront_offset 0
		.amdhsa_system_sgpr_workgroup_id_x 1
		.amdhsa_system_sgpr_workgroup_id_y 1
		.amdhsa_system_sgpr_workgroup_id_z 1
		.amdhsa_system_sgpr_workgroup_info 0
		.amdhsa_system_vgpr_workitem_id 1
		.amdhsa_next_free_vgpr 61
		.amdhsa_next_free_sgpr 44
		.amdhsa_reserve_vcc 1
		.amdhsa_reserve_flat_scratch 0
		.amdhsa_float_round_mode_32 0
		.amdhsa_float_round_mode_16_64 0
		.amdhsa_float_denorm_mode_32 3
		.amdhsa_float_denorm_mode_16_64 3
		.amdhsa_dx10_clamp 1
		.amdhsa_ieee_mode 1
		.amdhsa_fp16_overflow 0
		.amdhsa_workgroup_processor_mode 1
		.amdhsa_memory_ordered 1
		.amdhsa_forward_progress 1
		.amdhsa_shared_vgpr_count 0
		.amdhsa_exception_fp_ieee_invalid_op 0
		.amdhsa_exception_fp_denorm_src 0
		.amdhsa_exception_fp_ieee_div_zero 0
		.amdhsa_exception_fp_ieee_overflow 0
		.amdhsa_exception_fp_ieee_underflow 0
		.amdhsa_exception_fp_ieee_inexact 0
		.amdhsa_exception_int_div_zero 0
	.end_amdhsa_kernel
	.section	.text._ZL29rocblas_internal_gemmt_kernelIlLi16ELi32ELi8ELc67ELc84ELc85ELb1ELb0E19rocblas_complex_numIfEPKS1_PKS3_PKPS1_EviT_T9_T10_S9_lSB_S9_lSA_T11_S9_li,"axG",@progbits,_ZL29rocblas_internal_gemmt_kernelIlLi16ELi32ELi8ELc67ELc84ELc85ELb1ELb0E19rocblas_complex_numIfEPKS1_PKS3_PKPS1_EviT_T9_T10_S9_lSB_S9_lSA_T11_S9_li,comdat
.Lfunc_end511:
	.size	_ZL29rocblas_internal_gemmt_kernelIlLi16ELi32ELi8ELc67ELc84ELc85ELb1ELb0E19rocblas_complex_numIfEPKS1_PKS3_PKPS1_EviT_T9_T10_S9_lSB_S9_lSA_T11_S9_li, .Lfunc_end511-_ZL29rocblas_internal_gemmt_kernelIlLi16ELi32ELi8ELc67ELc84ELc85ELb1ELb0E19rocblas_complex_numIfEPKS1_PKS3_PKPS1_EviT_T9_T10_S9_lSB_S9_lSA_T11_S9_li
                                        ; -- End function
	.set _ZL29rocblas_internal_gemmt_kernelIlLi16ELi32ELi8ELc67ELc84ELc85ELb1ELb0E19rocblas_complex_numIfEPKS1_PKS3_PKPS1_EviT_T9_T10_S9_lSB_S9_lSA_T11_S9_li.num_vgpr, 61
	.set _ZL29rocblas_internal_gemmt_kernelIlLi16ELi32ELi8ELc67ELc84ELc85ELb1ELb0E19rocblas_complex_numIfEPKS1_PKS3_PKPS1_EviT_T9_T10_S9_lSB_S9_lSA_T11_S9_li.num_agpr, 0
	.set _ZL29rocblas_internal_gemmt_kernelIlLi16ELi32ELi8ELc67ELc84ELc85ELb1ELb0E19rocblas_complex_numIfEPKS1_PKS3_PKPS1_EviT_T9_T10_S9_lSB_S9_lSA_T11_S9_li.numbered_sgpr, 44
	.set _ZL29rocblas_internal_gemmt_kernelIlLi16ELi32ELi8ELc67ELc84ELc85ELb1ELb0E19rocblas_complex_numIfEPKS1_PKS3_PKPS1_EviT_T9_T10_S9_lSB_S9_lSA_T11_S9_li.num_named_barrier, 0
	.set _ZL29rocblas_internal_gemmt_kernelIlLi16ELi32ELi8ELc67ELc84ELc85ELb1ELb0E19rocblas_complex_numIfEPKS1_PKS3_PKPS1_EviT_T9_T10_S9_lSB_S9_lSA_T11_S9_li.private_seg_size, 0
	.set _ZL29rocblas_internal_gemmt_kernelIlLi16ELi32ELi8ELc67ELc84ELc85ELb1ELb0E19rocblas_complex_numIfEPKS1_PKS3_PKPS1_EviT_T9_T10_S9_lSB_S9_lSA_T11_S9_li.uses_vcc, 1
	.set _ZL29rocblas_internal_gemmt_kernelIlLi16ELi32ELi8ELc67ELc84ELc85ELb1ELb0E19rocblas_complex_numIfEPKS1_PKS3_PKPS1_EviT_T9_T10_S9_lSB_S9_lSA_T11_S9_li.uses_flat_scratch, 0
	.set _ZL29rocblas_internal_gemmt_kernelIlLi16ELi32ELi8ELc67ELc84ELc85ELb1ELb0E19rocblas_complex_numIfEPKS1_PKS3_PKPS1_EviT_T9_T10_S9_lSB_S9_lSA_T11_S9_li.has_dyn_sized_stack, 0
	.set _ZL29rocblas_internal_gemmt_kernelIlLi16ELi32ELi8ELc67ELc84ELc85ELb1ELb0E19rocblas_complex_numIfEPKS1_PKS3_PKPS1_EviT_T9_T10_S9_lSB_S9_lSA_T11_S9_li.has_recursion, 0
	.set _ZL29rocblas_internal_gemmt_kernelIlLi16ELi32ELi8ELc67ELc84ELc85ELb1ELb0E19rocblas_complex_numIfEPKS1_PKS3_PKPS1_EviT_T9_T10_S9_lSB_S9_lSA_T11_S9_li.has_indirect_call, 0
	.section	.AMDGPU.csdata,"",@progbits
; Kernel info:
; codeLenInByte = 2632
; TotalNumSgprs: 46
; NumVgprs: 61
; ScratchSize: 0
; MemoryBound: 0
; FloatMode: 240
; IeeeMode: 1
; LDSByteSize: 4096 bytes/workgroup (compile time only)
; SGPRBlocks: 0
; VGPRBlocks: 7
; NumSGPRsForWavesPerEU: 46
; NumVGPRsForWavesPerEU: 61
; Occupancy: 16
; WaveLimiterHint : 1
; COMPUTE_PGM_RSRC2:SCRATCH_EN: 0
; COMPUTE_PGM_RSRC2:USER_SGPR: 6
; COMPUTE_PGM_RSRC2:TRAP_HANDLER: 0
; COMPUTE_PGM_RSRC2:TGID_X_EN: 1
; COMPUTE_PGM_RSRC2:TGID_Y_EN: 1
; COMPUTE_PGM_RSRC2:TGID_Z_EN: 1
; COMPUTE_PGM_RSRC2:TIDIG_COMP_CNT: 1
	.section	.text._ZL29rocblas_internal_gemmt_kernelIlLi16ELi32ELi8ELc67ELc67ELc85ELb1ELb1E19rocblas_complex_numIfEPKS1_PKS3_PKPS1_EviT_T9_T10_S9_lSB_S9_lSA_T11_S9_li,"axG",@progbits,_ZL29rocblas_internal_gemmt_kernelIlLi16ELi32ELi8ELc67ELc67ELc85ELb1ELb1E19rocblas_complex_numIfEPKS1_PKS3_PKPS1_EviT_T9_T10_S9_lSB_S9_lSA_T11_S9_li,comdat
	.globl	_ZL29rocblas_internal_gemmt_kernelIlLi16ELi32ELi8ELc67ELc67ELc85ELb1ELb1E19rocblas_complex_numIfEPKS1_PKS3_PKPS1_EviT_T9_T10_S9_lSB_S9_lSA_T11_S9_li ; -- Begin function _ZL29rocblas_internal_gemmt_kernelIlLi16ELi32ELi8ELc67ELc67ELc85ELb1ELb1E19rocblas_complex_numIfEPKS1_PKS3_PKPS1_EviT_T9_T10_S9_lSB_S9_lSA_T11_S9_li
	.p2align	8
	.type	_ZL29rocblas_internal_gemmt_kernelIlLi16ELi32ELi8ELc67ELc67ELc85ELb1ELb1E19rocblas_complex_numIfEPKS1_PKS3_PKPS1_EviT_T9_T10_S9_lSB_S9_lSA_T11_S9_li,@function
_ZL29rocblas_internal_gemmt_kernelIlLi16ELi32ELi8ELc67ELc67ELc85ELb1ELb1E19rocblas_complex_numIfEPKS1_PKS3_PKPS1_EviT_T9_T10_S9_lSB_S9_lSA_T11_S9_li: ; @_ZL29rocblas_internal_gemmt_kernelIlLi16ELi32ELi8ELc67ELc67ELc85ELb1ELb1E19rocblas_complex_numIfEPKS1_PKS3_PKPS1_EviT_T9_T10_S9_lSB_S9_lSA_T11_S9_li
; %bb.0:
	s_clause 0x1
	s_load_dwordx8 s[36:43], s[4:5], 0x48
	s_load_dwordx16 s[12:27], s[4:5], 0x8
	s_waitcnt lgkmcnt(0)
	s_load_dwordx2 s[2:3], s[36:37], 0x0
	s_load_dwordx2 s[10:11], s[14:15], 0x0
	s_waitcnt lgkmcnt(0)
	s_and_b32 s0, s3, 0x7fffffff
	v_cmp_eq_f32_e64 s1, s2, 1.0
	s_cmp_eq_u32 s0, 0
	s_mov_b32 s0, 0
	s_cselect_b32 s15, -1, 0
	s_and_b32 s1, s1, s15
	s_andn2_b32 vcc_lo, exec_lo, s1
	s_mov_b32 s1, -1
	s_cbranch_vccnz .LBB512_4
; %bb.1:
	s_cmp_lg_u64 s[12:13], 0
	s_cbranch_scc0 .LBB512_3
; %bb.2:
	v_cmp_neq_f32_e64 s0, s10, 0
	v_cmp_neq_f32_e64 s1, s11, 0
	s_or_b32 s0, s0, s1
.LBB512_3:
	s_mov_b32 s1, s0
.LBB512_4:
	s_and_b32 vcc_lo, exec_lo, s1
	s_cbranch_vccz .LBB512_34
; %bb.5:
	s_mov_b32 s9, 0
	s_load_dword s14, s[4:5], 0x0
	s_lshl_b64 s[0:1], s[8:9], 3
	v_cmp_eq_f32_e64 s8, s10, 0
	s_add_u32 s4, s38, s0
	s_addc_u32 s5, s39, s1
	v_cmp_eq_f32_e64 s9, s11, 0
	s_load_dwordx2 s[4:5], s[4:5], 0x0
	v_cmp_lt_i64_e64 s28, s[12:13], 1
	v_mov_b32_e32 v23, 0
	v_mov_b32_e32 v22, 0
	s_and_b32 s9, s8, s9
	v_mov_b32_e32 v20, 0
	v_mov_b32_e32 v21, 0
	;; [unrolled: 1-line block ×6, first 2 shown]
	s_lshl_b32 s8, s6, 5
	s_or_b32 s6, s9, s28
	s_lshl_b32 s9, s7, 5
	s_and_b32 vcc_lo, exec_lo, s6
	s_cbranch_vccnz .LBB512_18
; %bb.6:
	s_add_u32 s6, s22, s0
	s_addc_u32 s7, s23, s1
	s_lshl_b64 s[22:23], s[26:27], 3
	s_load_dwordx2 s[6:7], s[6:7], 0x0
	v_lshl_add_u32 v2, v1, 4, v0
	v_and_b32_e32 v6, 7, v0
	v_lshlrev_b32_e32 v7, 3, v0
	v_lshl_add_u32 v8, v1, 6, 0x800
	v_mov_b32_e32 v3, 0
	v_and_b32_e32 v5, 31, v2
	v_lshrrev_b32_e32 v10, 3, v2
	v_lshlrev_b32_e32 v11, 3, v6
	v_lshrrev_b32_e32 v9, 5, v2
	v_mov_b32_e32 v17, 0
	v_or_b32_e32 v14, s8, v5
	v_add_nc_u32_e32 v4, s9, v10
	v_lshl_or_b32 v11, v10, 6, v11
	v_lshlrev_b32_e32 v2, 3, v5
	v_mov_b32_e32 v16, 0
	v_mul_lo_u32 v10, s19, v14
	v_mad_u64_u32 v[12:13], null, s18, v14, 0
	v_ashrrev_i32_e32 v5, 31, v4
	s_waitcnt lgkmcnt(0)
	s_add_u32 s22, s6, s22
	s_addc_u32 s23, s7, s23
	s_add_u32 s0, s16, s0
	s_addc_u32 s1, s17, s1
	s_lshl_b64 s[6:7], s[20:21], 3
	s_load_dwordx2 s[0:1], s[0:1], 0x0
	v_cmp_le_i32_e64 s16, s14, v14
	v_cmp_gt_i32_e32 vcc_lo, s14, v4
	v_mov_b32_e32 v19, 0
	v_mov_b32_e32 v18, 0
	;; [unrolled: 1-line block ×5, first 2 shown]
	v_add_nc_u32_e32 v11, 0x800, v11
	v_mov_b32_e32 v23, 0
	s_waitcnt lgkmcnt(0)
	s_add_u32 s6, s0, s6
	s_addc_u32 s7, s1, s7
	s_ashr_i32 s1, s8, 31
	v_cmp_gt_i32_e64 s0, s14, v14
	s_mul_i32 s1, s18, s1
	v_lshlrev_b64 v[14:15], 3, v[4:5]
	v_add3_u32 v13, v13, s1, v10
	v_lshl_or_b32 v10, v9, 8, v2
	v_lshlrev_b64 v[4:5], 3, v[12:13]
	v_add_co_u32 v12, s1, s22, v14
	v_add_co_ci_u32_e64 v13, null, s23, v15, s1
	v_add_co_u32 v14, s1, s6, v4
	v_add_co_ci_u32_e64 v15, null, s7, v5, s1
	s_mov_b64 s[6:7], 0
	s_xor_b32 s1, vcc_lo, -1
                                        ; implicit-def: $vgpr4_vgpr5
	s_branch .LBB512_8
.LBB512_7:                              ;   in Loop: Header=BB512_8 Depth=1
	s_or_b32 exec_lo, exec_lo, s17
	ds_write_b32 v11, v24 offset:4
	s_waitcnt lgkmcnt(0)
	s_barrier
	buffer_gl0_inv
	ds_read_b128 v[24:27], v8
	ds_read2_b64 v[28:31], v7 offset1:16
	ds_read_b128 v[32:35], v8 offset:1024
	ds_read_b128 v[36:39], v8 offset:16
	;; [unrolled: 1-line block ×4, first 2 shown]
	ds_read2_b64 v[48:51], v7 offset0:32 offset1:48
	ds_read_b128 v[52:55], v8 offset:1040
	s_add_u32 s6, s6, 8
	s_addc_u32 s7, s7, 0
	v_cmp_gt_i64_e64 s17, s[12:13], s[6:7]
	s_and_b32 vcc_lo, exec_lo, s17
	s_waitcnt lgkmcnt(6)
	v_mul_f32_e32 v2, v25, v29
	v_mul_f32_e32 v56, v24, v29
	;; [unrolled: 1-line block ×4, first 2 shown]
	s_waitcnt lgkmcnt(5)
	v_mul_f32_e32 v59, v33, v29
	v_mul_f32_e32 v29, v32, v29
	;; [unrolled: 1-line block ×3, first 2 shown]
	v_fma_f32 v2, v24, v28, -v2
	v_fmac_f32_e32 v56, v25, v28
	v_fma_f32 v24, v24, v30, -v57
	v_fmac_f32_e32 v58, v25, v30
	;; [unrolled: 2-line block ×3, first 2 shown]
	v_mul_f32_e32 v31, v32, v31
	v_fma_f32 v28, v32, v30, -v60
	v_add_f32_e32 v2, v23, v2
	v_add_f32_e32 v23, v20, v24
	;; [unrolled: 1-line block ×5, first 2 shown]
	s_waitcnt lgkmcnt(1)
	v_mul_f32_e32 v32, v27, v49
	ds_read2_b64 v[18:21], v7 offset0:64 offset1:80
	v_fmac_f32_e32 v31, v33, v30
	v_add_f32_e32 v16, v16, v28
	v_mul_f32_e32 v28, v26, v49
	v_fma_f32 v30, v26, v48, -v32
	v_mul_f32_e32 v32, v27, v51
	v_add_f32_e32 v22, v22, v56
	v_add_f32_e32 v17, v17, v31
	v_fmac_f32_e32 v28, v27, v48
	v_mul_f32_e32 v31, v26, v51
	v_add_f32_e32 v2, v2, v30
	v_fma_f32 v26, v26, v50, -v32
	v_mul_f32_e32 v30, v35, v49
	v_add_f32_e32 v28, v22, v28
	v_fmac_f32_e32 v31, v27, v50
	v_mul_f32_e32 v22, v34, v49
	v_add_f32_e32 v26, v23, v26
	v_fma_f32 v23, v34, v48, -v30
	v_mul_f32_e32 v27, v35, v51
	v_add_f32_e32 v30, v24, v31
	v_fmac_f32_e32 v22, v35, v48
	v_mul_f32_e32 v31, v34, v51
	v_add_f32_e32 v32, v25, v23
	v_fma_f32 v23, v34, v50, -v27
	s_waitcnt lgkmcnt(0)
	v_mul_f32_e32 v24, v37, v19
	v_add_f32_e32 v27, v29, v22
	v_fmac_f32_e32 v31, v35, v50
	v_mul_f32_e32 v29, v36, v19
	v_add_f32_e32 v16, v16, v23
	v_fma_f32 v33, v36, v18, -v24
	v_mul_f32_e32 v34, v37, v21
	ds_read2_b64 v[22:25], v7 offset0:96 offset1:112
	v_fmac_f32_e32 v29, v37, v18
	v_add_f32_e32 v31, v17, v31
	v_add_f32_e32 v2, v2, v33
	v_mul_f32_e32 v17, v36, v21
	v_fma_f32 v33, v36, v20, -v34
	v_add_f32_e32 v28, v28, v29
	v_mul_f32_e32 v29, v53, v19
	v_mul_f32_e32 v19, v52, v19
	v_fmac_f32_e32 v17, v37, v20
	v_add_f32_e32 v26, v26, v33
	v_mul_f32_e32 v33, v53, v21
	v_mul_f32_e32 v21, v52, v21
	v_fmac_f32_e32 v19, v53, v18
	v_add_f32_e32 v30, v30, v17
	v_fma_f32 v29, v52, v18, -v29
	v_fma_f32 v17, v52, v20, -v33
	v_fmac_f32_e32 v21, v53, v20
	v_add_f32_e32 v33, v27, v19
	s_waitcnt lgkmcnt(0)
	v_mul_f32_e32 v20, v39, v23
	v_add_f32_e32 v34, v16, v17
	ds_read2_b64 v[16:19], v7 offset0:128 offset1:144
	v_add_f32_e32 v32, v32, v29
	v_mul_f32_e32 v27, v38, v23
	v_mul_f32_e32 v29, v39, v25
	v_fma_f32 v20, v38, v22, -v20
	v_add_f32_e32 v31, v31, v21
	v_mul_f32_e32 v21, v38, v25
	v_fmac_f32_e32 v27, v39, v22
	v_fma_f32 v29, v38, v24, -v29
	v_add_f32_e32 v2, v2, v20
	v_mul_f32_e32 v20, v55, v23
	v_fmac_f32_e32 v21, v39, v24
	v_add_f32_e32 v35, v28, v27
	v_add_f32_e32 v36, v26, v29
	v_mul_f32_e32 v23, v54, v23
	v_fma_f32 v20, v54, v22, -v20
	v_mul_f32_e32 v37, v55, v25
	ds_read_b128 v[26:29], v8 offset:1056
	v_add_f32_e32 v38, v30, v21
	v_fmac_f32_e32 v23, v55, v22
	v_mul_f32_e32 v25, v54, v25
	v_fma_f32 v21, v54, v24, -v37
	v_add_f32_e32 v37, v32, v20
	s_waitcnt lgkmcnt(1)
	v_mul_f32_e32 v20, v41, v17
	v_add_f32_e32 v39, v33, v23
	v_fmac_f32_e32 v25, v55, v24
	v_add_f32_e32 v24, v34, v21
	v_mul_f32_e32 v32, v41, v19
	v_fma_f32 v30, v40, v16, -v20
	ds_read2_b64 v[20:23], v7 offset0:160 offset1:176
	v_mul_f32_e32 v34, v40, v17
	v_add_f32_e32 v25, v31, v25
	v_fma_f32 v48, v40, v18, -v32
	v_mul_f32_e32 v40, v40, v19
	v_add_f32_e32 v2, v2, v30
	v_fmac_f32_e32 v34, v41, v16
	ds_read_b128 v[30:33], v8 offset:1072
	s_waitcnt lgkmcnt(2)
	v_mul_f32_e32 v49, v27, v17
	v_mul_f32_e32 v17, v26, v17
	v_fmac_f32_e32 v40, v41, v18
	v_mul_f32_e32 v41, v27, v19
	v_add_f32_e32 v34, v35, v34
	v_add_f32_e32 v35, v36, v48
	v_fma_f32 v36, v26, v16, -v49
	v_fmac_f32_e32 v17, v27, v16
	v_add_f32_e32 v38, v38, v40
	v_mul_f32_e32 v40, v26, v19
	v_fma_f32 v16, v26, v18, -v41
	v_add_f32_e32 v36, v37, v36
	v_add_f32_e32 v26, v39, v17
	s_waitcnt lgkmcnt(1)
	v_mul_f32_e32 v37, v43, v21
	v_fmac_f32_e32 v40, v27, v18
	v_add_f32_e32 v24, v24, v16
	ds_read2_b64 v[16:19], v7 offset0:192 offset1:208
	v_mul_f32_e32 v27, v42, v21
	v_fma_f32 v37, v42, v20, -v37
	v_mul_f32_e32 v39, v43, v23
	v_add_f32_e32 v40, v25, v40
	v_mul_f32_e32 v25, v42, v23
	v_fmac_f32_e32 v27, v43, v20
	v_add_f32_e32 v2, v2, v37
	v_fma_f32 v37, v42, v22, -v39
	v_fmac_f32_e32 v25, v43, v22
	v_add_f32_e32 v34, v34, v27
	v_mul_f32_e32 v27, v29, v21
	v_mul_f32_e32 v21, v28, v21
	v_add_f32_e32 v35, v35, v37
	v_mul_f32_e32 v37, v29, v23
	v_add_f32_e32 v38, v38, v25
	v_fma_f32 v27, v28, v20, -v27
	v_fmac_f32_e32 v21, v29, v20
	v_mul_f32_e32 v20, v28, v23
	v_fma_f32 v23, v28, v22, -v37
	s_waitcnt lgkmcnt(0)
	v_mul_f32_e32 v25, v45, v17
	v_add_f32_e32 v28, v36, v27
	v_add_f32_e32 v21, v26, v21
	v_fmac_f32_e32 v20, v29, v22
	v_add_f32_e32 v22, v24, v23
	v_fma_f32 v29, v44, v16, -v25
	ds_read2_b64 v[24:27], v7 offset0:224 offset1:240
	v_mul_f32_e32 v23, v44, v17
	v_mul_f32_e32 v37, v31, v17
	v_mul_f32_e32 v17, v30, v17
	v_mul_f32_e32 v36, v45, v19
	v_add_f32_e32 v2, v2, v29
	v_fmac_f32_e32 v23, v45, v16
	v_mul_f32_e32 v29, v44, v19
	v_fmac_f32_e32 v17, v31, v16
	v_fma_f32 v36, v44, v18, -v36
	v_add_f32_e32 v20, v40, v20
	v_add_f32_e32 v34, v34, v23
	v_fma_f32 v23, v30, v16, -v37
	v_mul_f32_e32 v16, v31, v19
	v_mul_f32_e32 v19, v30, v19
	v_fmac_f32_e32 v29, v45, v18
	v_add_f32_e32 v17, v21, v17
	v_add_f32_e32 v35, v35, v36
	v_fma_f32 v16, v30, v18, -v16
	v_fmac_f32_e32 v19, v31, v18
	s_waitcnt lgkmcnt(0)
	v_mul_f32_e32 v21, v47, v25
	v_mul_f32_e32 v18, v47, v27
	v_add_f32_e32 v28, v28, v23
	v_mul_f32_e32 v30, v46, v25
	v_mul_f32_e32 v31, v46, v27
	v_fma_f32 v21, v46, v24, -v21
	v_fma_f32 v18, v46, v26, -v18
	v_add_f32_e32 v36, v20, v19
	v_mul_f32_e32 v19, v32, v25
	v_add_f32_e32 v29, v38, v29
	v_add_f32_e32 v23, v2, v21
	;; [unrolled: 1-line block ×3, first 2 shown]
	v_mul_f32_e32 v2, v33, v25
	v_mul_f32_e32 v18, v33, v27
	;; [unrolled: 1-line block ×3, first 2 shown]
	v_add_f32_e32 v16, v22, v16
	v_fmac_f32_e32 v30, v47, v24
	v_fmac_f32_e32 v31, v47, v26
	v_fma_f32 v2, v32, v24, -v2
	v_fmac_f32_e32 v19, v33, v24
	v_fma_f32 v24, v32, v26, -v18
	v_fmac_f32_e32 v25, v33, v26
	v_add_f32_e32 v22, v34, v30
	v_add_f32_e32 v21, v29, v31
	;; [unrolled: 1-line block ×6, first 2 shown]
	s_barrier
	buffer_gl0_inv
	s_cbranch_vccz .LBB512_18
.LBB512_8:                              ; =>This Inner Loop Header: Depth=1
	s_mov_b32 s17, 0
	s_mov_b32 s19, s16
	s_and_saveexec_b32 s18, s0
	s_cbranch_execnz .LBB512_16
; %bb.9:                                ;   in Loop: Header=BB512_8 Depth=1
	s_or_b32 exec_lo, exec_lo, s18
	s_and_saveexec_b32 s18, s19
	s_xor_b32 s18, exec_lo, s18
	s_cbranch_execnz .LBB512_17
.LBB512_10:                             ;   in Loop: Header=BB512_8 Depth=1
	s_or_b32 exec_lo, exec_lo, s18
	v_mov_b32_e32 v24, 0
	s_and_saveexec_b32 s18, s17
	s_cbranch_execz .LBB512_12
.LBB512_11:                             ;   in Loop: Header=BB512_8 Depth=1
	v_lshlrev_b64 v[24:25], 3, v[4:5]
	v_add_co_u32 v24, vcc_lo, v14, v24
	v_add_co_ci_u32_e64 v25, null, v15, v25, vcc_lo
	flat_load_dwordx2 v[25:26], v[24:25]
	s_waitcnt vmcnt(0) lgkmcnt(0)
	v_xor_b32_e32 v24, 0x80000000, v26
	ds_write_b32 v10, v25
.LBB512_12:                             ;   in Loop: Header=BB512_8 Depth=1
	s_or_b32 exec_lo, exec_lo, s18
	v_add_nc_u32_e32 v2, s6, v6
	ds_write_b32 v10, v24 offset:4
	v_cmp_le_u64_e32 vcc_lo, s[12:13], v[2:3]
	s_or_b32 s17, vcc_lo, s1
	s_and_saveexec_b32 s18, s17
	s_xor_b32 s17, exec_lo, s18
; %bb.13:                               ;   in Loop: Header=BB512_8 Depth=1
	ds_write_b32 v11, v3
; %bb.14:                               ;   in Loop: Header=BB512_8 Depth=1
	s_or_saveexec_b32 s17, s17
	v_mov_b32_e32 v24, 0
	s_xor_b32 exec_lo, exec_lo, s17
	s_cbranch_execz .LBB512_7
; %bb.15:                               ;   in Loop: Header=BB512_8 Depth=1
	v_mad_u64_u32 v[24:25], null, s24, v2, 0
	v_mad_u64_u32 v[25:26], null, s25, v2, v[25:26]
	v_lshlrev_b64 v[24:25], 3, v[24:25]
	v_add_co_u32 v24, vcc_lo, v12, v24
	v_add_co_ci_u32_e64 v25, null, v13, v25, vcc_lo
	flat_load_dwordx2 v[25:26], v[24:25]
	s_waitcnt vmcnt(0) lgkmcnt(0)
	v_xor_b32_e32 v24, 0x80000000, v26
	ds_write_b32 v11, v25
	s_branch .LBB512_7
.LBB512_16:                             ;   in Loop: Header=BB512_8 Depth=1
	v_add_nc_u32_e32 v2, s6, v9
	v_mov_b32_e32 v5, v3
	s_andn2_b32 s19, s16, exec_lo
	s_mov_b32 s17, exec_lo
	v_cmp_le_u64_e32 vcc_lo, s[12:13], v[2:3]
	v_mov_b32_e32 v4, v2
	s_and_b32 s20, vcc_lo, exec_lo
	s_or_b32 s19, s19, s20
	s_or_b32 exec_lo, exec_lo, s18
	s_and_saveexec_b32 s18, s19
	s_xor_b32 s18, exec_lo, s18
	s_cbranch_execz .LBB512_10
.LBB512_17:                             ;   in Loop: Header=BB512_8 Depth=1
	s_andn2_b32 s17, s17, exec_lo
	ds_write_b32 v10, v3
	s_or_b32 exec_lo, exec_lo, s18
	v_mov_b32_e32 v24, 0
	s_and_saveexec_b32 s18, s17
	s_cbranch_execnz .LBB512_11
	s_branch .LBB512_12
.LBB512_18:
	v_add_nc_u32_e32 v9, s9, v1
	s_lshl_b64 s[0:1], s[42:43], 3
	v_add_nc_u32_e32 v0, s8, v0
	v_cmp_neq_f32_e64 s6, s2, 0
	s_waitcnt lgkmcnt(0)
	s_add_u32 s4, s4, s0
	v_ashrrev_i32_e32 v3, 31, v9
	v_mul_lo_u32 v4, s41, v9
	v_mad_u64_u32 v[1:2], null, s40, v9, 0
	s_addc_u32 s5, s5, s1
	v_mul_lo_u32 v3, s40, v3
	s_xor_b32 s7, s15, -1
	v_cmp_gt_i32_e64 s0, s14, v9
	v_cmp_le_i32_e32 vcc_lo, v0, v9
	s_or_b32 s6, s6, s7
	v_cndmask_b32_e64 v8, 0, 1, s6
	s_and_b32 s7, s0, vcc_lo
	v_add3_u32 v2, v2, v3, v4
	v_lshlrev_b64 v[2:3], 3, v[1:2]
	v_ashrrev_i32_e32 v1, 31, v0
	v_add_co_u32 v6, s1, s4, v2
	v_add_co_ci_u32_e64 v7, null, s5, v3, s1
	s_and_saveexec_b32 s1, s7
	s_cbranch_execz .LBB512_22
; %bb.19:
	v_lshlrev_b64 v[4:5], 3, v[0:1]
	v_mul_f32_e32 v2, s11, v22
	v_mul_f32_e32 v3, s10, v22
	v_fma_f32 v2, v23, s10, -v2
	v_add_co_u32 v4, vcc_lo, v6, v4
	v_fmac_f32_e32 v3, s11, v23
	v_add_co_ci_u32_e64 v5, null, v7, v5, vcc_lo
	s_andn2_b32 vcc_lo, exec_lo, s6
	s_cbranch_vccnz .LBB512_21
; %bb.20:
	flat_load_dwordx2 v[10:11], v[4:5]
	s_waitcnt vmcnt(0) lgkmcnt(0)
	v_mul_f32_e32 v12, s3, v11
	v_mul_f32_e32 v11, s2, v11
	v_fma_f32 v12, v10, s2, -v12
	v_fmac_f32_e32 v11, s3, v10
	v_add_f32_e32 v2, v2, v12
	v_add_f32_e32 v3, v3, v11
.LBB512_21:
	flat_store_dwordx2 v[4:5], v[2:3]
.LBB512_22:
	s_or_b32 exec_lo, exec_lo, s1
	v_add_nc_u32_e32 v2, 16, v0
	v_cmp_le_i32_e32 vcc_lo, v2, v9
	v_ashrrev_i32_e32 v3, 31, v2
	s_and_b32 s0, s0, vcc_lo
	s_and_saveexec_b32 s1, s0
	s_cbranch_execz .LBB512_26
; %bb.23:
	v_lshlrev_b64 v[10:11], 3, v[2:3]
	v_mul_f32_e32 v4, s11, v21
	v_mul_f32_e32 v5, s10, v21
	v_cmp_ne_u32_e32 vcc_lo, 1, v8
	v_fma_f32 v4, v20, s10, -v4
	v_add_co_u32 v6, s0, v6, v10
	v_fmac_f32_e32 v5, s11, v20
	v_add_co_ci_u32_e64 v7, null, v7, v11, s0
	s_cbranch_vccnz .LBB512_25
; %bb.24:
	flat_load_dwordx2 v[10:11], v[6:7]
	s_waitcnt vmcnt(0) lgkmcnt(0)
	v_mul_f32_e32 v12, s3, v11
	v_mul_f32_e32 v11, s2, v11
	v_fma_f32 v12, v10, s2, -v12
	v_fmac_f32_e32 v11, s3, v10
	v_add_f32_e32 v4, v4, v12
	v_add_f32_e32 v5, v5, v11
.LBB512_25:
	flat_store_dwordx2 v[6:7], v[4:5]
.LBB512_26:
	s_or_b32 exec_lo, exec_lo, s1
	v_add_nc_u32_e32 v9, 16, v9
	v_ashrrev_i32_e32 v6, 31, v9
	v_mul_lo_u32 v7, s41, v9
	v_mad_u64_u32 v[4:5], null, s40, v9, 0
	v_cmp_gt_i32_e64 s0, s14, v9
	v_mul_lo_u32 v6, s40, v6
	v_cmp_le_i32_e32 vcc_lo, v0, v9
	v_add3_u32 v5, v5, v6, v7
	v_lshlrev_b64 v[4:5], 3, v[4:5]
	v_add_co_u32 v6, s1, s4, v4
	v_add_co_ci_u32_e64 v7, null, s5, v5, s1
	s_and_b32 s1, s0, vcc_lo
	s_and_saveexec_b32 s4, s1
	s_cbranch_execz .LBB512_30
; %bb.27:
	v_lshlrev_b64 v[0:1], 3, v[0:1]
	v_mul_f32_e32 v4, s11, v19
	v_mul_f32_e32 v5, s10, v19
	v_cmp_ne_u32_e32 vcc_lo, 1, v8
	v_fma_f32 v4, v18, s10, -v4
	v_add_co_u32 v0, s1, v6, v0
	v_fmac_f32_e32 v5, s11, v18
	v_add_co_ci_u32_e64 v1, null, v7, v1, s1
	s_cbranch_vccnz .LBB512_29
; %bb.28:
	flat_load_dwordx2 v[10:11], v[0:1]
	s_waitcnt vmcnt(0) lgkmcnt(0)
	v_mul_f32_e32 v12, s3, v11
	v_mul_f32_e32 v11, s2, v11
	v_fma_f32 v12, v10, s2, -v12
	v_fmac_f32_e32 v11, s3, v10
	v_add_f32_e32 v4, v4, v12
	v_add_f32_e32 v5, v5, v11
.LBB512_29:
	flat_store_dwordx2 v[0:1], v[4:5]
.LBB512_30:
	s_or_b32 exec_lo, exec_lo, s4
	v_cmp_le_i32_e32 vcc_lo, v2, v9
	s_and_b32 s0, s0, vcc_lo
	s_and_saveexec_b32 s1, s0
	s_cbranch_execz .LBB512_34
; %bb.31:
	v_lshlrev_b64 v[2:3], 3, v[2:3]
	v_mul_f32_e32 v0, s11, v17
	v_mul_f32_e32 v1, s10, v17
	v_cmp_ne_u32_e32 vcc_lo, 1, v8
	v_fma_f32 v0, v16, s10, -v0
	v_add_co_u32 v2, s0, v6, v2
	v_fmac_f32_e32 v1, s11, v16
	v_add_co_ci_u32_e64 v3, null, v7, v3, s0
	s_cbranch_vccnz .LBB512_33
; %bb.32:
	flat_load_dwordx2 v[4:5], v[2:3]
	s_waitcnt vmcnt(0) lgkmcnt(0)
	v_mul_f32_e32 v6, s3, v5
	v_mul_f32_e32 v5, s2, v5
	v_fma_f32 v6, v4, s2, -v6
	v_fmac_f32_e32 v5, s3, v4
	v_add_f32_e32 v0, v0, v6
	v_add_f32_e32 v1, v1, v5
.LBB512_33:
	flat_store_dwordx2 v[2:3], v[0:1]
.LBB512_34:
	s_endpgm
	.section	.rodata,"a",@progbits
	.p2align	6, 0x0
	.amdhsa_kernel _ZL29rocblas_internal_gemmt_kernelIlLi16ELi32ELi8ELc67ELc67ELc85ELb1ELb1E19rocblas_complex_numIfEPKS1_PKS3_PKPS1_EviT_T9_T10_S9_lSB_S9_lSA_T11_S9_li
		.amdhsa_group_segment_fixed_size 4096
		.amdhsa_private_segment_fixed_size 0
		.amdhsa_kernarg_size 108
		.amdhsa_user_sgpr_count 6
		.amdhsa_user_sgpr_private_segment_buffer 1
		.amdhsa_user_sgpr_dispatch_ptr 0
		.amdhsa_user_sgpr_queue_ptr 0
		.amdhsa_user_sgpr_kernarg_segment_ptr 1
		.amdhsa_user_sgpr_dispatch_id 0
		.amdhsa_user_sgpr_flat_scratch_init 0
		.amdhsa_user_sgpr_private_segment_size 0
		.amdhsa_wavefront_size32 1
		.amdhsa_uses_dynamic_stack 0
		.amdhsa_system_sgpr_private_segment_wavefront_offset 0
		.amdhsa_system_sgpr_workgroup_id_x 1
		.amdhsa_system_sgpr_workgroup_id_y 1
		.amdhsa_system_sgpr_workgroup_id_z 1
		.amdhsa_system_sgpr_workgroup_info 0
		.amdhsa_system_vgpr_workitem_id 1
		.amdhsa_next_free_vgpr 61
		.amdhsa_next_free_sgpr 44
		.amdhsa_reserve_vcc 1
		.amdhsa_reserve_flat_scratch 0
		.amdhsa_float_round_mode_32 0
		.amdhsa_float_round_mode_16_64 0
		.amdhsa_float_denorm_mode_32 3
		.amdhsa_float_denorm_mode_16_64 3
		.amdhsa_dx10_clamp 1
		.amdhsa_ieee_mode 1
		.amdhsa_fp16_overflow 0
		.amdhsa_workgroup_processor_mode 1
		.amdhsa_memory_ordered 1
		.amdhsa_forward_progress 1
		.amdhsa_shared_vgpr_count 0
		.amdhsa_exception_fp_ieee_invalid_op 0
		.amdhsa_exception_fp_denorm_src 0
		.amdhsa_exception_fp_ieee_div_zero 0
		.amdhsa_exception_fp_ieee_overflow 0
		.amdhsa_exception_fp_ieee_underflow 0
		.amdhsa_exception_fp_ieee_inexact 0
		.amdhsa_exception_int_div_zero 0
	.end_amdhsa_kernel
	.section	.text._ZL29rocblas_internal_gemmt_kernelIlLi16ELi32ELi8ELc67ELc67ELc85ELb1ELb1E19rocblas_complex_numIfEPKS1_PKS3_PKPS1_EviT_T9_T10_S9_lSB_S9_lSA_T11_S9_li,"axG",@progbits,_ZL29rocblas_internal_gemmt_kernelIlLi16ELi32ELi8ELc67ELc67ELc85ELb1ELb1E19rocblas_complex_numIfEPKS1_PKS3_PKPS1_EviT_T9_T10_S9_lSB_S9_lSA_T11_S9_li,comdat
.Lfunc_end512:
	.size	_ZL29rocblas_internal_gemmt_kernelIlLi16ELi32ELi8ELc67ELc67ELc85ELb1ELb1E19rocblas_complex_numIfEPKS1_PKS3_PKPS1_EviT_T9_T10_S9_lSB_S9_lSA_T11_S9_li, .Lfunc_end512-_ZL29rocblas_internal_gemmt_kernelIlLi16ELi32ELi8ELc67ELc67ELc85ELb1ELb1E19rocblas_complex_numIfEPKS1_PKS3_PKPS1_EviT_T9_T10_S9_lSB_S9_lSA_T11_S9_li
                                        ; -- End function
	.set _ZL29rocblas_internal_gemmt_kernelIlLi16ELi32ELi8ELc67ELc67ELc85ELb1ELb1E19rocblas_complex_numIfEPKS1_PKS3_PKPS1_EviT_T9_T10_S9_lSB_S9_lSA_T11_S9_li.num_vgpr, 61
	.set _ZL29rocblas_internal_gemmt_kernelIlLi16ELi32ELi8ELc67ELc67ELc85ELb1ELb1E19rocblas_complex_numIfEPKS1_PKS3_PKPS1_EviT_T9_T10_S9_lSB_S9_lSA_T11_S9_li.num_agpr, 0
	.set _ZL29rocblas_internal_gemmt_kernelIlLi16ELi32ELi8ELc67ELc67ELc85ELb1ELb1E19rocblas_complex_numIfEPKS1_PKS3_PKPS1_EviT_T9_T10_S9_lSB_S9_lSA_T11_S9_li.numbered_sgpr, 44
	.set _ZL29rocblas_internal_gemmt_kernelIlLi16ELi32ELi8ELc67ELc67ELc85ELb1ELb1E19rocblas_complex_numIfEPKS1_PKS3_PKPS1_EviT_T9_T10_S9_lSB_S9_lSA_T11_S9_li.num_named_barrier, 0
	.set _ZL29rocblas_internal_gemmt_kernelIlLi16ELi32ELi8ELc67ELc67ELc85ELb1ELb1E19rocblas_complex_numIfEPKS1_PKS3_PKPS1_EviT_T9_T10_S9_lSB_S9_lSA_T11_S9_li.private_seg_size, 0
	.set _ZL29rocblas_internal_gemmt_kernelIlLi16ELi32ELi8ELc67ELc67ELc85ELb1ELb1E19rocblas_complex_numIfEPKS1_PKS3_PKPS1_EviT_T9_T10_S9_lSB_S9_lSA_T11_S9_li.uses_vcc, 1
	.set _ZL29rocblas_internal_gemmt_kernelIlLi16ELi32ELi8ELc67ELc67ELc85ELb1ELb1E19rocblas_complex_numIfEPKS1_PKS3_PKPS1_EviT_T9_T10_S9_lSB_S9_lSA_T11_S9_li.uses_flat_scratch, 0
	.set _ZL29rocblas_internal_gemmt_kernelIlLi16ELi32ELi8ELc67ELc67ELc85ELb1ELb1E19rocblas_complex_numIfEPKS1_PKS3_PKPS1_EviT_T9_T10_S9_lSB_S9_lSA_T11_S9_li.has_dyn_sized_stack, 0
	.set _ZL29rocblas_internal_gemmt_kernelIlLi16ELi32ELi8ELc67ELc67ELc85ELb1ELb1E19rocblas_complex_numIfEPKS1_PKS3_PKPS1_EviT_T9_T10_S9_lSB_S9_lSA_T11_S9_li.has_recursion, 0
	.set _ZL29rocblas_internal_gemmt_kernelIlLi16ELi32ELi8ELc67ELc67ELc85ELb1ELb1E19rocblas_complex_numIfEPKS1_PKS3_PKPS1_EviT_T9_T10_S9_lSB_S9_lSA_T11_S9_li.has_indirect_call, 0
	.section	.AMDGPU.csdata,"",@progbits
; Kernel info:
; codeLenInByte = 2652
; TotalNumSgprs: 46
; NumVgprs: 61
; ScratchSize: 0
; MemoryBound: 0
; FloatMode: 240
; IeeeMode: 1
; LDSByteSize: 4096 bytes/workgroup (compile time only)
; SGPRBlocks: 0
; VGPRBlocks: 7
; NumSGPRsForWavesPerEU: 46
; NumVGPRsForWavesPerEU: 61
; Occupancy: 16
; WaveLimiterHint : 1
; COMPUTE_PGM_RSRC2:SCRATCH_EN: 0
; COMPUTE_PGM_RSRC2:USER_SGPR: 6
; COMPUTE_PGM_RSRC2:TRAP_HANDLER: 0
; COMPUTE_PGM_RSRC2:TGID_X_EN: 1
; COMPUTE_PGM_RSRC2:TGID_Y_EN: 1
; COMPUTE_PGM_RSRC2:TGID_Z_EN: 1
; COMPUTE_PGM_RSRC2:TIDIG_COMP_CNT: 1
	.section	.text._ZL29rocblas_internal_gemmt_kernelIlLi16ELi32ELi8ELc78ELc78ELc76ELb0ELb0E19rocblas_complex_numIfEPKS1_PKS3_PKPS1_EviT_T9_T10_S9_lSB_S9_lSA_T11_S9_li,"axG",@progbits,_ZL29rocblas_internal_gemmt_kernelIlLi16ELi32ELi8ELc78ELc78ELc76ELb0ELb0E19rocblas_complex_numIfEPKS1_PKS3_PKPS1_EviT_T9_T10_S9_lSB_S9_lSA_T11_S9_li,comdat
	.globl	_ZL29rocblas_internal_gemmt_kernelIlLi16ELi32ELi8ELc78ELc78ELc76ELb0ELb0E19rocblas_complex_numIfEPKS1_PKS3_PKPS1_EviT_T9_T10_S9_lSB_S9_lSA_T11_S9_li ; -- Begin function _ZL29rocblas_internal_gemmt_kernelIlLi16ELi32ELi8ELc78ELc78ELc76ELb0ELb0E19rocblas_complex_numIfEPKS1_PKS3_PKPS1_EviT_T9_T10_S9_lSB_S9_lSA_T11_S9_li
	.p2align	8
	.type	_ZL29rocblas_internal_gemmt_kernelIlLi16ELi32ELi8ELc78ELc78ELc76ELb0ELb0E19rocblas_complex_numIfEPKS1_PKS3_PKPS1_EviT_T9_T10_S9_lSB_S9_lSA_T11_S9_li,@function
_ZL29rocblas_internal_gemmt_kernelIlLi16ELi32ELi8ELc78ELc78ELc76ELb0ELb0E19rocblas_complex_numIfEPKS1_PKS3_PKPS1_EviT_T9_T10_S9_lSB_S9_lSA_T11_S9_li: ; @_ZL29rocblas_internal_gemmt_kernelIlLi16ELi32ELi8ELc78ELc78ELc76ELb0ELb0E19rocblas_complex_numIfEPKS1_PKS3_PKPS1_EviT_T9_T10_S9_lSB_S9_lSA_T11_S9_li
; %bb.0:
	s_clause 0x1
	s_load_dwordx8 s[36:43], s[4:5], 0x48
	s_load_dwordx16 s[12:27], s[4:5], 0x8
	s_waitcnt lgkmcnt(0)
	s_load_dwordx2 s[10:11], s[36:37], 0x0
	s_load_dwordx2 s[14:15], s[14:15], 0x0
	s_waitcnt lgkmcnt(0)
	s_and_b32 s0, s11, 0x7fffffff
	v_cmp_eq_f32_e64 s1, s10, 1.0
	s_cmp_eq_u32 s0, 0
	s_mov_b32 s0, 0
	s_cselect_b32 s29, -1, 0
	s_and_b32 s1, s1, s29
	s_andn2_b32 vcc_lo, exec_lo, s1
	s_mov_b32 s1, -1
	s_cbranch_vccnz .LBB513_4
; %bb.1:
	s_cmp_lg_u64 s[12:13], 0
	s_cbranch_scc0 .LBB513_3
; %bb.2:
	v_cmp_neq_f32_e64 s0, s14, 0
	v_cmp_neq_f32_e64 s1, s15, 0
	s_or_b32 s0, s0, s1
.LBB513_3:
	s_mov_b32 s1, s0
.LBB513_4:
	s_and_b32 vcc_lo, exec_lo, s1
	s_cbranch_vccz .LBB513_34
; %bb.5:
	s_mov_b32 s9, 0
	s_load_dword s28, s[4:5], 0x0
	s_lshl_b64 s[0:1], s[8:9], 3
	v_cmp_eq_f32_e64 s4, s14, 0
	s_add_u32 s2, s38, s0
	s_addc_u32 s3, s39, s1
	v_cmp_eq_f32_e64 s5, s15, 0
	s_load_dwordx2 s[2:3], s[2:3], 0x0
	v_cmp_lt_i64_e64 s8, s[12:13], 1
	v_mov_b32_e32 v22, 0
	v_mov_b32_e32 v23, 0
	s_and_b32 s4, s4, s5
	v_mov_b32_e32 v20, 0
	v_mov_b32_e32 v21, 0
	;; [unrolled: 1-line block ×6, first 2 shown]
	s_or_b32 s4, s4, s8
	s_lshl_b32 s6, s6, 5
	s_and_b32 vcc_lo, exec_lo, s4
	s_lshl_b32 s7, s7, 5
	s_cbranch_vccnz .LBB513_18
; %bb.6:
	s_add_u32 s4, s22, s0
	s_addc_u32 s5, s23, s1
	v_lshl_add_u32 v2, v1, 4, v0
	s_load_dwordx2 s[4:5], s[4:5], 0x0
	s_lshl_b64 s[8:9], s[26:27], 3
	v_and_b32_e32 v6, 7, v0
	v_lshlrev_b32_e32 v7, 3, v0
	v_lshrrev_b32_e32 v10, 3, v2
	v_and_b32_e32 v13, 31, v2
	v_lshl_add_u32 v8, v1, 6, 0x800
	v_lshlrev_b32_e32 v20, 3, v6
	v_mov_b32_e32 v3, 0
	v_add_nc_u32_e32 v11, s7, v10
	v_or_b32_e32 v12, s6, v13
	v_mov_b32_e32 v17, 0
	v_lshl_or_b32 v20, v10, 6, v20
	v_mov_b32_e32 v16, 0
	v_ashrrev_i32_e32 v9, 31, v11
	v_mul_lo_u32 v14, s25, v11
	v_mad_u64_u32 v[4:5], null, s24, v11, 0
	s_waitcnt lgkmcnt(0)
	v_cmp_gt_i32_e32 vcc_lo, s28, v11
	v_mul_lo_u32 v15, s24, v9
	s_add_u32 s22, s4, s8
	s_addc_u32 s9, s5, s9
	s_add_u32 s0, s16, s0
	s_addc_u32 s1, s17, s1
	v_lshrrev_b32_e32 v9, 5, v2
	s_load_dwordx2 s[4:5], s[0:1], 0x0
	v_lshlrev_b32_e32 v2, 3, v13
	v_add3_u32 v5, v5, v15, v14
	v_ashrrev_i32_e32 v13, 31, v12
	v_cmp_gt_i32_e64 s0, s28, v12
	v_cmp_le_i32_e64 s8, s28, v12
	s_lshl_b64 s[16:17], s[20:21], 3
	v_lshlrev_b64 v[4:5], 3, v[4:5]
	v_lshlrev_b64 v[14:15], 3, v[12:13]
	v_mov_b32_e32 v19, 0
	v_mov_b32_e32 v18, 0
	;; [unrolled: 1-line block ×3, first 2 shown]
	v_lshl_or_b32 v10, v9, 8, v2
	v_add_co_u32 v12, s1, s22, v4
	v_add_co_ci_u32_e64 v13, null, s9, v5, s1
	v_add_nc_u32_e32 v11, 0x800, v20
	v_mov_b32_e32 v20, 0
	v_mov_b32_e32 v23, 0
	s_waitcnt lgkmcnt(0)
	s_add_u32 s1, s4, s16
	s_addc_u32 s4, s5, s17
	v_add_co_u32 v14, s1, s1, v14
	v_add_co_ci_u32_e64 v15, null, s4, v15, s1
	v_mov_b32_e32 v22, 0
	s_mov_b64 s[4:5], 0
	s_xor_b32 s1, vcc_lo, -1
                                        ; implicit-def: $vgpr4_vgpr5
	s_branch .LBB513_8
.LBB513_7:                              ;   in Loop: Header=BB513_8 Depth=1
	s_or_b32 exec_lo, exec_lo, s9
	s_waitcnt lgkmcnt(0)
	s_barrier
	buffer_gl0_inv
	ds_read_b128 v[24:27], v8
	ds_read2_b64 v[28:31], v7 offset1:16
	ds_read_b128 v[32:35], v8 offset:1024
	ds_read_b128 v[36:39], v8 offset:16
	;; [unrolled: 1-line block ×4, first 2 shown]
	ds_read2_b64 v[48:51], v7 offset0:32 offset1:48
	ds_read_b128 v[52:55], v8 offset:1040
	s_add_u32 s4, s4, 8
	s_addc_u32 s5, s5, 0
	v_cmp_gt_i64_e64 s9, s[12:13], s[4:5]
	s_and_b32 vcc_lo, exec_lo, s9
	s_waitcnt lgkmcnt(6)
	v_mul_f32_e32 v2, v25, v29
	v_mul_f32_e32 v56, v24, v29
	;; [unrolled: 1-line block ×4, first 2 shown]
	s_waitcnt lgkmcnt(5)
	v_mul_f32_e32 v59, v33, v29
	v_mul_f32_e32 v29, v32, v29
	;; [unrolled: 1-line block ×3, first 2 shown]
	v_fma_f32 v2, v24, v28, -v2
	v_fmac_f32_e32 v56, v25, v28
	v_fma_f32 v24, v24, v30, -v57
	v_fmac_f32_e32 v58, v25, v30
	;; [unrolled: 2-line block ×3, first 2 shown]
	v_mul_f32_e32 v31, v32, v31
	v_fma_f32 v28, v32, v30, -v60
	v_add_f32_e32 v2, v22, v2
	v_add_f32_e32 v22, v23, v56
	;; [unrolled: 1-line block ×6, first 2 shown]
	s_waitcnt lgkmcnt(1)
	v_mul_f32_e32 v32, v27, v49
	ds_read2_b64 v[18:21], v7 offset0:64 offset1:80
	v_fmac_f32_e32 v31, v33, v30
	v_add_f32_e32 v16, v16, v28
	v_mul_f32_e32 v28, v26, v49
	v_fma_f32 v30, v26, v48, -v32
	v_mul_f32_e32 v32, v27, v51
	v_add_f32_e32 v17, v17, v31
	v_mul_f32_e32 v31, v26, v51
	v_fmac_f32_e32 v28, v27, v48
	v_add_f32_e32 v2, v2, v30
	v_fma_f32 v26, v26, v50, -v32
	v_mul_f32_e32 v30, v35, v49
	v_fmac_f32_e32 v31, v27, v50
	v_add_f32_e32 v28, v22, v28
	v_mul_f32_e32 v22, v34, v49
	v_add_f32_e32 v26, v23, v26
	v_fma_f32 v23, v34, v48, -v30
	v_mul_f32_e32 v27, v35, v51
	v_add_f32_e32 v30, v24, v31
	v_fmac_f32_e32 v22, v35, v48
	v_mul_f32_e32 v31, v34, v51
	v_add_f32_e32 v32, v25, v23
	v_fma_f32 v23, v34, v50, -v27
	s_waitcnt lgkmcnt(0)
	v_mul_f32_e32 v24, v37, v19
	v_add_f32_e32 v27, v29, v22
	v_fmac_f32_e32 v31, v35, v50
	v_mul_f32_e32 v29, v36, v19
	v_add_f32_e32 v16, v16, v23
	v_fma_f32 v33, v36, v18, -v24
	v_mul_f32_e32 v34, v37, v21
	ds_read2_b64 v[22:25], v7 offset0:96 offset1:112
	v_fmac_f32_e32 v29, v37, v18
	v_add_f32_e32 v31, v17, v31
	v_add_f32_e32 v2, v2, v33
	v_mul_f32_e32 v17, v36, v21
	v_fma_f32 v33, v36, v20, -v34
	v_add_f32_e32 v28, v28, v29
	v_mul_f32_e32 v29, v53, v19
	v_mul_f32_e32 v19, v52, v19
	v_fmac_f32_e32 v17, v37, v20
	v_add_f32_e32 v26, v26, v33
	v_mul_f32_e32 v33, v53, v21
	v_mul_f32_e32 v21, v52, v21
	v_fmac_f32_e32 v19, v53, v18
	v_add_f32_e32 v30, v30, v17
	v_fma_f32 v29, v52, v18, -v29
	v_fma_f32 v17, v52, v20, -v33
	v_fmac_f32_e32 v21, v53, v20
	v_add_f32_e32 v33, v27, v19
	s_waitcnt lgkmcnt(0)
	v_mul_f32_e32 v20, v39, v23
	v_add_f32_e32 v34, v16, v17
	ds_read2_b64 v[16:19], v7 offset0:128 offset1:144
	v_add_f32_e32 v32, v32, v29
	v_mul_f32_e32 v27, v38, v23
	v_mul_f32_e32 v29, v39, v25
	v_fma_f32 v20, v38, v22, -v20
	v_add_f32_e32 v31, v31, v21
	v_mul_f32_e32 v21, v38, v25
	v_fmac_f32_e32 v27, v39, v22
	v_fma_f32 v29, v38, v24, -v29
	v_add_f32_e32 v2, v2, v20
	v_mul_f32_e32 v20, v55, v23
	v_fmac_f32_e32 v21, v39, v24
	v_add_f32_e32 v35, v28, v27
	v_add_f32_e32 v36, v26, v29
	v_mul_f32_e32 v23, v54, v23
	v_fma_f32 v20, v54, v22, -v20
	v_mul_f32_e32 v37, v55, v25
	ds_read_b128 v[26:29], v8 offset:1056
	v_add_f32_e32 v38, v30, v21
	v_fmac_f32_e32 v23, v55, v22
	v_mul_f32_e32 v25, v54, v25
	v_fma_f32 v21, v54, v24, -v37
	v_add_f32_e32 v37, v32, v20
	s_waitcnt lgkmcnt(1)
	v_mul_f32_e32 v20, v41, v17
	v_add_f32_e32 v39, v33, v23
	v_fmac_f32_e32 v25, v55, v24
	v_add_f32_e32 v24, v34, v21
	v_mul_f32_e32 v32, v41, v19
	v_fma_f32 v30, v40, v16, -v20
	ds_read2_b64 v[20:23], v7 offset0:160 offset1:176
	v_mul_f32_e32 v34, v40, v17
	v_add_f32_e32 v25, v31, v25
	v_fma_f32 v48, v40, v18, -v32
	v_mul_f32_e32 v40, v40, v19
	v_add_f32_e32 v2, v2, v30
	v_fmac_f32_e32 v34, v41, v16
	ds_read_b128 v[30:33], v8 offset:1072
	s_waitcnt lgkmcnt(2)
	v_mul_f32_e32 v49, v27, v17
	v_mul_f32_e32 v17, v26, v17
	v_fmac_f32_e32 v40, v41, v18
	v_mul_f32_e32 v41, v27, v19
	v_add_f32_e32 v34, v35, v34
	v_add_f32_e32 v35, v36, v48
	v_fma_f32 v36, v26, v16, -v49
	v_fmac_f32_e32 v17, v27, v16
	v_add_f32_e32 v38, v38, v40
	v_mul_f32_e32 v40, v26, v19
	v_fma_f32 v16, v26, v18, -v41
	v_add_f32_e32 v36, v37, v36
	v_add_f32_e32 v26, v39, v17
	s_waitcnt lgkmcnt(1)
	v_mul_f32_e32 v37, v43, v21
	v_fmac_f32_e32 v40, v27, v18
	v_add_f32_e32 v24, v24, v16
	ds_read2_b64 v[16:19], v7 offset0:192 offset1:208
	v_mul_f32_e32 v27, v42, v21
	v_fma_f32 v37, v42, v20, -v37
	v_mul_f32_e32 v39, v43, v23
	v_add_f32_e32 v40, v25, v40
	v_mul_f32_e32 v25, v42, v23
	v_fmac_f32_e32 v27, v43, v20
	v_add_f32_e32 v2, v2, v37
	v_fma_f32 v37, v42, v22, -v39
	v_fmac_f32_e32 v25, v43, v22
	v_add_f32_e32 v34, v34, v27
	v_mul_f32_e32 v27, v29, v21
	v_mul_f32_e32 v21, v28, v21
	v_add_f32_e32 v35, v35, v37
	v_mul_f32_e32 v37, v29, v23
	v_add_f32_e32 v38, v38, v25
	v_fma_f32 v27, v28, v20, -v27
	v_fmac_f32_e32 v21, v29, v20
	v_mul_f32_e32 v20, v28, v23
	v_fma_f32 v23, v28, v22, -v37
	s_waitcnt lgkmcnt(0)
	v_mul_f32_e32 v25, v45, v17
	v_add_f32_e32 v28, v36, v27
	v_add_f32_e32 v21, v26, v21
	v_fmac_f32_e32 v20, v29, v22
	v_add_f32_e32 v22, v24, v23
	v_fma_f32 v29, v44, v16, -v25
	ds_read2_b64 v[24:27], v7 offset0:224 offset1:240
	v_mul_f32_e32 v23, v44, v17
	v_mul_f32_e32 v37, v31, v17
	;; [unrolled: 1-line block ×4, first 2 shown]
	v_add_f32_e32 v2, v2, v29
	v_fmac_f32_e32 v23, v45, v16
	v_mul_f32_e32 v29, v44, v19
	v_fmac_f32_e32 v17, v31, v16
	v_fma_f32 v36, v44, v18, -v36
	v_add_f32_e32 v20, v40, v20
	v_add_f32_e32 v23, v34, v23
	v_fma_f32 v34, v30, v16, -v37
	v_mul_f32_e32 v16, v31, v19
	v_mul_f32_e32 v19, v30, v19
	v_fmac_f32_e32 v29, v45, v18
	v_add_f32_e32 v17, v21, v17
	v_add_f32_e32 v35, v35, v36
	v_fma_f32 v16, v30, v18, -v16
	v_fmac_f32_e32 v19, v31, v18
	s_waitcnt lgkmcnt(0)
	v_mul_f32_e32 v21, v47, v25
	v_mul_f32_e32 v18, v47, v27
	v_add_f32_e32 v28, v28, v34
	v_mul_f32_e32 v30, v46, v25
	v_add_f32_e32 v16, v22, v16
	v_fma_f32 v21, v46, v24, -v21
	v_fma_f32 v18, v46, v26, -v18
	v_mul_f32_e32 v31, v46, v27
	v_add_f32_e32 v34, v20, v19
	v_mul_f32_e32 v19, v32, v25
	v_add_f32_e32 v22, v2, v21
	v_add_f32_e32 v20, v35, v18
	v_mul_f32_e32 v2, v33, v25
	v_mul_f32_e32 v18, v33, v27
	;; [unrolled: 1-line block ×3, first 2 shown]
	v_add_f32_e32 v29, v38, v29
	v_fmac_f32_e32 v30, v47, v24
	v_fmac_f32_e32 v31, v47, v26
	v_fma_f32 v2, v32, v24, -v2
	v_fmac_f32_e32 v19, v33, v24
	v_fma_f32 v24, v32, v26, -v18
	v_fmac_f32_e32 v25, v33, v26
	v_add_f32_e32 v23, v23, v30
	v_add_f32_e32 v21, v29, v31
	;; [unrolled: 1-line block ×6, first 2 shown]
	s_barrier
	buffer_gl0_inv
	s_cbranch_vccz .LBB513_18
.LBB513_8:                              ; =>This Inner Loop Header: Depth=1
	s_mov_b32 s17, s8
	s_mov_b32 s9, 0
	s_and_saveexec_b32 s16, s0
	s_cbranch_execnz .LBB513_16
; %bb.9:                                ;   in Loop: Header=BB513_8 Depth=1
	s_or_b32 exec_lo, exec_lo, s16
	s_and_saveexec_b32 s16, s17
	s_xor_b32 s16, exec_lo, s16
	s_cbranch_execnz .LBB513_17
.LBB513_10:                             ;   in Loop: Header=BB513_8 Depth=1
	s_or_b32 exec_lo, exec_lo, s16
	s_and_saveexec_b32 s16, s9
	s_cbranch_execz .LBB513_12
.LBB513_11:                             ;   in Loop: Header=BB513_8 Depth=1
	v_mul_lo_u32 v2, s19, v4
	v_mul_lo_u32 v26, s18, v5
	v_mad_u64_u32 v[24:25], null, s18, v4, 0
	v_add3_u32 v25, v25, v26, v2
	v_lshlrev_b64 v[24:25], 3, v[24:25]
	v_add_co_u32 v24, vcc_lo, v14, v24
	v_add_co_ci_u32_e64 v25, null, v15, v25, vcc_lo
	flat_load_dwordx2 v[24:25], v[24:25]
	s_waitcnt vmcnt(0) lgkmcnt(0)
	ds_write_b64 v10, v[24:25]
.LBB513_12:                             ;   in Loop: Header=BB513_8 Depth=1
	s_or_b32 exec_lo, exec_lo, s16
	v_add_nc_u32_e32 v2, s4, v6
	v_cmp_le_u64_e32 vcc_lo, s[12:13], v[2:3]
	s_or_b32 s9, vcc_lo, s1
	s_and_saveexec_b32 s16, s9
	s_xor_b32 s9, exec_lo, s16
; %bb.13:                               ;   in Loop: Header=BB513_8 Depth=1
	v_mov_b32_e32 v2, v3
	ds_write_b64 v11, v[2:3]
; %bb.14:                               ;   in Loop: Header=BB513_8 Depth=1
	s_andn2_saveexec_b32 s9, s9
	s_cbranch_execz .LBB513_7
; %bb.15:                               ;   in Loop: Header=BB513_8 Depth=1
	v_lshlrev_b64 v[24:25], 3, v[2:3]
	v_add_co_u32 v24, vcc_lo, v12, v24
	v_add_co_ci_u32_e64 v25, null, v13, v25, vcc_lo
	flat_load_dwordx2 v[24:25], v[24:25]
	s_waitcnt vmcnt(0) lgkmcnt(0)
	ds_write_b64 v11, v[24:25]
	s_branch .LBB513_7
.LBB513_16:                             ;   in Loop: Header=BB513_8 Depth=1
	v_add_nc_u32_e32 v2, s4, v9
	v_mov_b32_e32 v5, v3
	s_andn2_b32 s17, s8, exec_lo
	s_mov_b32 s9, exec_lo
	v_cmp_le_u64_e32 vcc_lo, s[12:13], v[2:3]
	v_mov_b32_e32 v4, v2
	s_and_b32 s20, vcc_lo, exec_lo
	s_or_b32 s17, s17, s20
	s_or_b32 exec_lo, exec_lo, s16
	s_and_saveexec_b32 s16, s17
	s_xor_b32 s16, exec_lo, s16
	s_cbranch_execz .LBB513_10
.LBB513_17:                             ;   in Loop: Header=BB513_8 Depth=1
	v_mov_b32_e32 v2, v3
	s_andn2_b32 s9, s9, exec_lo
	ds_write_b64 v10, v[2:3]
	s_or_b32 exec_lo, exec_lo, s16
	s_and_saveexec_b32 s16, s9
	s_cbranch_execnz .LBB513_11
	s_branch .LBB513_12
.LBB513_18:
	v_add_nc_u32_e32 v9, s7, v1
	s_lshl_b64 s[0:1], s[42:43], 3
	v_add_nc_u32_e32 v0, s6, v0
	v_cmp_neq_f32_e64 s5, s10, 0
	s_waitcnt lgkmcnt(0)
	s_add_u32 s4, s2, s0
	v_ashrrev_i32_e32 v3, 31, v9
	v_mul_lo_u32 v4, s41, v9
	v_mad_u64_u32 v[1:2], null, s40, v9, 0
	s_addc_u32 s3, s3, s1
	v_mul_lo_u32 v3, s40, v3
	s_xor_b32 s2, s29, -1
	v_cmp_le_i32_e32 vcc_lo, v9, v0
	v_cmp_gt_i32_e64 s0, s28, v0
	s_or_b32 s2, s5, s2
	v_cndmask_b32_e64 v8, 0, 1, s2
	s_and_b32 s5, vcc_lo, s0
	v_add3_u32 v2, v2, v3, v4
	v_lshlrev_b64 v[2:3], 3, v[1:2]
	v_ashrrev_i32_e32 v1, 31, v0
	v_add_co_u32 v6, s1, s4, v2
	v_add_co_ci_u32_e64 v7, null, s3, v3, s1
	s_and_saveexec_b32 s1, s5
	s_cbranch_execz .LBB513_22
; %bb.19:
	v_lshlrev_b64 v[4:5], 3, v[0:1]
	v_mul_f32_e32 v2, s15, v23
	v_mul_f32_e32 v3, s14, v23
	v_fma_f32 v2, v22, s14, -v2
	v_add_co_u32 v4, vcc_lo, v6, v4
	v_fmac_f32_e32 v3, s15, v22
	v_add_co_ci_u32_e64 v5, null, v7, v5, vcc_lo
	s_andn2_b32 vcc_lo, exec_lo, s2
	s_cbranch_vccnz .LBB513_21
; %bb.20:
	flat_load_dwordx2 v[10:11], v[4:5]
	s_waitcnt vmcnt(0) lgkmcnt(0)
	v_mul_f32_e32 v12, s11, v11
	v_mul_f32_e32 v11, s10, v11
	v_fma_f32 v12, v10, s10, -v12
	v_fmac_f32_e32 v11, s11, v10
	v_add_f32_e32 v2, v2, v12
	v_add_f32_e32 v3, v3, v11
.LBB513_21:
	flat_store_dwordx2 v[4:5], v[2:3]
.LBB513_22:
	s_or_b32 exec_lo, exec_lo, s1
	v_add_nc_u32_e32 v2, 16, v0
	v_cmp_le_i32_e32 vcc_lo, v9, v2
	v_cmp_gt_i32_e64 s1, s28, v2
	v_ashrrev_i32_e32 v3, 31, v2
	s_and_b32 s2, vcc_lo, s1
	s_and_saveexec_b32 s5, s2
	s_cbranch_execz .LBB513_26
; %bb.23:
	v_lshlrev_b64 v[10:11], 3, v[2:3]
	v_mul_f32_e32 v4, s15, v21
	v_mul_f32_e32 v5, s14, v21
	v_cmp_ne_u32_e32 vcc_lo, 1, v8
	v_fma_f32 v4, v20, s14, -v4
	v_add_co_u32 v6, s2, v6, v10
	v_fmac_f32_e32 v5, s15, v20
	v_add_co_ci_u32_e64 v7, null, v7, v11, s2
	s_cbranch_vccnz .LBB513_25
; %bb.24:
	flat_load_dwordx2 v[10:11], v[6:7]
	s_waitcnt vmcnt(0) lgkmcnt(0)
	v_mul_f32_e32 v12, s11, v11
	v_mul_f32_e32 v11, s10, v11
	v_fma_f32 v12, v10, s10, -v12
	v_fmac_f32_e32 v11, s11, v10
	v_add_f32_e32 v4, v4, v12
	v_add_f32_e32 v5, v5, v11
.LBB513_25:
	flat_store_dwordx2 v[6:7], v[4:5]
.LBB513_26:
	s_or_b32 exec_lo, exec_lo, s5
	v_add_nc_u32_e32 v9, 16, v9
	v_ashrrev_i32_e32 v6, 31, v9
	v_mul_lo_u32 v7, s41, v9
	v_mad_u64_u32 v[4:5], null, s40, v9, 0
	v_cmp_le_i32_e32 vcc_lo, v9, v0
	v_mul_lo_u32 v6, s40, v6
	s_and_b32 s0, vcc_lo, s0
	v_add3_u32 v5, v5, v6, v7
	v_lshlrev_b64 v[4:5], 3, v[4:5]
	v_add_co_u32 v6, s2, s4, v4
	v_add_co_ci_u32_e64 v7, null, s3, v5, s2
	s_and_saveexec_b32 s2, s0
	s_cbranch_execz .LBB513_30
; %bb.27:
	v_lshlrev_b64 v[0:1], 3, v[0:1]
	v_mul_f32_e32 v4, s15, v19
	v_mul_f32_e32 v5, s14, v19
	v_cmp_ne_u32_e32 vcc_lo, 1, v8
	v_fma_f32 v4, v18, s14, -v4
	v_add_co_u32 v0, s0, v6, v0
	v_fmac_f32_e32 v5, s15, v18
	v_add_co_ci_u32_e64 v1, null, v7, v1, s0
	s_cbranch_vccnz .LBB513_29
; %bb.28:
	flat_load_dwordx2 v[10:11], v[0:1]
	s_waitcnt vmcnt(0) lgkmcnt(0)
	v_mul_f32_e32 v12, s11, v11
	v_mul_f32_e32 v11, s10, v11
	v_fma_f32 v12, v10, s10, -v12
	v_fmac_f32_e32 v11, s11, v10
	v_add_f32_e32 v4, v4, v12
	v_add_f32_e32 v5, v5, v11
.LBB513_29:
	flat_store_dwordx2 v[0:1], v[4:5]
.LBB513_30:
	s_or_b32 exec_lo, exec_lo, s2
	v_cmp_le_i32_e32 vcc_lo, v9, v2
	s_and_b32 s0, vcc_lo, s1
	s_and_saveexec_b32 s1, s0
	s_cbranch_execz .LBB513_34
; %bb.31:
	v_lshlrev_b64 v[2:3], 3, v[2:3]
	v_mul_f32_e32 v0, s15, v17
	v_mul_f32_e32 v1, s14, v17
	v_cmp_ne_u32_e32 vcc_lo, 1, v8
	v_fma_f32 v0, v16, s14, -v0
	v_add_co_u32 v2, s0, v6, v2
	v_fmac_f32_e32 v1, s15, v16
	v_add_co_ci_u32_e64 v3, null, v7, v3, s0
	s_cbranch_vccnz .LBB513_33
; %bb.32:
	flat_load_dwordx2 v[4:5], v[2:3]
	s_waitcnt vmcnt(0) lgkmcnt(0)
	v_mul_f32_e32 v6, s11, v5
	v_mul_f32_e32 v5, s10, v5
	v_fma_f32 v6, v4, s10, -v6
	v_fmac_f32_e32 v5, s11, v4
	v_add_f32_e32 v0, v0, v6
	v_add_f32_e32 v1, v1, v5
.LBB513_33:
	flat_store_dwordx2 v[2:3], v[0:1]
.LBB513_34:
	s_endpgm
	.section	.rodata,"a",@progbits
	.p2align	6, 0x0
	.amdhsa_kernel _ZL29rocblas_internal_gemmt_kernelIlLi16ELi32ELi8ELc78ELc78ELc76ELb0ELb0E19rocblas_complex_numIfEPKS1_PKS3_PKPS1_EviT_T9_T10_S9_lSB_S9_lSA_T11_S9_li
		.amdhsa_group_segment_fixed_size 4096
		.amdhsa_private_segment_fixed_size 0
		.amdhsa_kernarg_size 108
		.amdhsa_user_sgpr_count 6
		.amdhsa_user_sgpr_private_segment_buffer 1
		.amdhsa_user_sgpr_dispatch_ptr 0
		.amdhsa_user_sgpr_queue_ptr 0
		.amdhsa_user_sgpr_kernarg_segment_ptr 1
		.amdhsa_user_sgpr_dispatch_id 0
		.amdhsa_user_sgpr_flat_scratch_init 0
		.amdhsa_user_sgpr_private_segment_size 0
		.amdhsa_wavefront_size32 1
		.amdhsa_uses_dynamic_stack 0
		.amdhsa_system_sgpr_private_segment_wavefront_offset 0
		.amdhsa_system_sgpr_workgroup_id_x 1
		.amdhsa_system_sgpr_workgroup_id_y 1
		.amdhsa_system_sgpr_workgroup_id_z 1
		.amdhsa_system_sgpr_workgroup_info 0
		.amdhsa_system_vgpr_workitem_id 1
		.amdhsa_next_free_vgpr 61
		.amdhsa_next_free_sgpr 44
		.amdhsa_reserve_vcc 1
		.amdhsa_reserve_flat_scratch 0
		.amdhsa_float_round_mode_32 0
		.amdhsa_float_round_mode_16_64 0
		.amdhsa_float_denorm_mode_32 3
		.amdhsa_float_denorm_mode_16_64 3
		.amdhsa_dx10_clamp 1
		.amdhsa_ieee_mode 1
		.amdhsa_fp16_overflow 0
		.amdhsa_workgroup_processor_mode 1
		.amdhsa_memory_ordered 1
		.amdhsa_forward_progress 1
		.amdhsa_shared_vgpr_count 0
		.amdhsa_exception_fp_ieee_invalid_op 0
		.amdhsa_exception_fp_denorm_src 0
		.amdhsa_exception_fp_ieee_div_zero 0
		.amdhsa_exception_fp_ieee_overflow 0
		.amdhsa_exception_fp_ieee_underflow 0
		.amdhsa_exception_fp_ieee_inexact 0
		.amdhsa_exception_int_div_zero 0
	.end_amdhsa_kernel
	.section	.text._ZL29rocblas_internal_gemmt_kernelIlLi16ELi32ELi8ELc78ELc78ELc76ELb0ELb0E19rocblas_complex_numIfEPKS1_PKS3_PKPS1_EviT_T9_T10_S9_lSB_S9_lSA_T11_S9_li,"axG",@progbits,_ZL29rocblas_internal_gemmt_kernelIlLi16ELi32ELi8ELc78ELc78ELc76ELb0ELb0E19rocblas_complex_numIfEPKS1_PKS3_PKPS1_EviT_T9_T10_S9_lSB_S9_lSA_T11_S9_li,comdat
.Lfunc_end513:
	.size	_ZL29rocblas_internal_gemmt_kernelIlLi16ELi32ELi8ELc78ELc78ELc76ELb0ELb0E19rocblas_complex_numIfEPKS1_PKS3_PKPS1_EviT_T9_T10_S9_lSB_S9_lSA_T11_S9_li, .Lfunc_end513-_ZL29rocblas_internal_gemmt_kernelIlLi16ELi32ELi8ELc78ELc78ELc76ELb0ELb0E19rocblas_complex_numIfEPKS1_PKS3_PKPS1_EviT_T9_T10_S9_lSB_S9_lSA_T11_S9_li
                                        ; -- End function
	.set _ZL29rocblas_internal_gemmt_kernelIlLi16ELi32ELi8ELc78ELc78ELc76ELb0ELb0E19rocblas_complex_numIfEPKS1_PKS3_PKPS1_EviT_T9_T10_S9_lSB_S9_lSA_T11_S9_li.num_vgpr, 61
	.set _ZL29rocblas_internal_gemmt_kernelIlLi16ELi32ELi8ELc78ELc78ELc76ELb0ELb0E19rocblas_complex_numIfEPKS1_PKS3_PKPS1_EviT_T9_T10_S9_lSB_S9_lSA_T11_S9_li.num_agpr, 0
	.set _ZL29rocblas_internal_gemmt_kernelIlLi16ELi32ELi8ELc78ELc78ELc76ELb0ELb0E19rocblas_complex_numIfEPKS1_PKS3_PKPS1_EviT_T9_T10_S9_lSB_S9_lSA_T11_S9_li.numbered_sgpr, 44
	.set _ZL29rocblas_internal_gemmt_kernelIlLi16ELi32ELi8ELc78ELc78ELc76ELb0ELb0E19rocblas_complex_numIfEPKS1_PKS3_PKPS1_EviT_T9_T10_S9_lSB_S9_lSA_T11_S9_li.num_named_barrier, 0
	.set _ZL29rocblas_internal_gemmt_kernelIlLi16ELi32ELi8ELc78ELc78ELc76ELb0ELb0E19rocblas_complex_numIfEPKS1_PKS3_PKPS1_EviT_T9_T10_S9_lSB_S9_lSA_T11_S9_li.private_seg_size, 0
	.set _ZL29rocblas_internal_gemmt_kernelIlLi16ELi32ELi8ELc78ELc78ELc76ELb0ELb0E19rocblas_complex_numIfEPKS1_PKS3_PKPS1_EviT_T9_T10_S9_lSB_S9_lSA_T11_S9_li.uses_vcc, 1
	.set _ZL29rocblas_internal_gemmt_kernelIlLi16ELi32ELi8ELc78ELc78ELc76ELb0ELb0E19rocblas_complex_numIfEPKS1_PKS3_PKPS1_EviT_T9_T10_S9_lSB_S9_lSA_T11_S9_li.uses_flat_scratch, 0
	.set _ZL29rocblas_internal_gemmt_kernelIlLi16ELi32ELi8ELc78ELc78ELc76ELb0ELb0E19rocblas_complex_numIfEPKS1_PKS3_PKPS1_EviT_T9_T10_S9_lSB_S9_lSA_T11_S9_li.has_dyn_sized_stack, 0
	.set _ZL29rocblas_internal_gemmt_kernelIlLi16ELi32ELi8ELc78ELc78ELc76ELb0ELb0E19rocblas_complex_numIfEPKS1_PKS3_PKPS1_EviT_T9_T10_S9_lSB_S9_lSA_T11_S9_li.has_recursion, 0
	.set _ZL29rocblas_internal_gemmt_kernelIlLi16ELi32ELi8ELc78ELc78ELc76ELb0ELb0E19rocblas_complex_numIfEPKS1_PKS3_PKPS1_EviT_T9_T10_S9_lSB_S9_lSA_T11_S9_li.has_indirect_call, 0
	.section	.AMDGPU.csdata,"",@progbits
; Kernel info:
; codeLenInByte = 2632
; TotalNumSgprs: 46
; NumVgprs: 61
; ScratchSize: 0
; MemoryBound: 0
; FloatMode: 240
; IeeeMode: 1
; LDSByteSize: 4096 bytes/workgroup (compile time only)
; SGPRBlocks: 0
; VGPRBlocks: 7
; NumSGPRsForWavesPerEU: 46
; NumVGPRsForWavesPerEU: 61
; Occupancy: 16
; WaveLimiterHint : 1
; COMPUTE_PGM_RSRC2:SCRATCH_EN: 0
; COMPUTE_PGM_RSRC2:USER_SGPR: 6
; COMPUTE_PGM_RSRC2:TRAP_HANDLER: 0
; COMPUTE_PGM_RSRC2:TGID_X_EN: 1
; COMPUTE_PGM_RSRC2:TGID_Y_EN: 1
; COMPUTE_PGM_RSRC2:TGID_Z_EN: 1
; COMPUTE_PGM_RSRC2:TIDIG_COMP_CNT: 1
	.section	.text._ZL29rocblas_internal_gemmt_kernelIlLi16ELi32ELi8ELc78ELc84ELc76ELb0ELb0E19rocblas_complex_numIfEPKS1_PKS3_PKPS1_EviT_T9_T10_S9_lSB_S9_lSA_T11_S9_li,"axG",@progbits,_ZL29rocblas_internal_gemmt_kernelIlLi16ELi32ELi8ELc78ELc84ELc76ELb0ELb0E19rocblas_complex_numIfEPKS1_PKS3_PKPS1_EviT_T9_T10_S9_lSB_S9_lSA_T11_S9_li,comdat
	.globl	_ZL29rocblas_internal_gemmt_kernelIlLi16ELi32ELi8ELc78ELc84ELc76ELb0ELb0E19rocblas_complex_numIfEPKS1_PKS3_PKPS1_EviT_T9_T10_S9_lSB_S9_lSA_T11_S9_li ; -- Begin function _ZL29rocblas_internal_gemmt_kernelIlLi16ELi32ELi8ELc78ELc84ELc76ELb0ELb0E19rocblas_complex_numIfEPKS1_PKS3_PKPS1_EviT_T9_T10_S9_lSB_S9_lSA_T11_S9_li
	.p2align	8
	.type	_ZL29rocblas_internal_gemmt_kernelIlLi16ELi32ELi8ELc78ELc84ELc76ELb0ELb0E19rocblas_complex_numIfEPKS1_PKS3_PKPS1_EviT_T9_T10_S9_lSB_S9_lSA_T11_S9_li,@function
_ZL29rocblas_internal_gemmt_kernelIlLi16ELi32ELi8ELc78ELc84ELc76ELb0ELb0E19rocblas_complex_numIfEPKS1_PKS3_PKPS1_EviT_T9_T10_S9_lSB_S9_lSA_T11_S9_li: ; @_ZL29rocblas_internal_gemmt_kernelIlLi16ELi32ELi8ELc78ELc84ELc76ELb0ELb0E19rocblas_complex_numIfEPKS1_PKS3_PKPS1_EviT_T9_T10_S9_lSB_S9_lSA_T11_S9_li
; %bb.0:
	s_clause 0x1
	s_load_dwordx8 s[36:43], s[4:5], 0x48
	s_load_dwordx16 s[12:27], s[4:5], 0x8
	s_waitcnt lgkmcnt(0)
	s_load_dwordx2 s[10:11], s[36:37], 0x0
	s_load_dwordx2 s[14:15], s[14:15], 0x0
	s_waitcnt lgkmcnt(0)
	s_and_b32 s0, s11, 0x7fffffff
	v_cmp_eq_f32_e64 s1, s10, 1.0
	s_cmp_eq_u32 s0, 0
	s_mov_b32 s0, 0
	s_cselect_b32 s29, -1, 0
	s_and_b32 s1, s1, s29
	s_andn2_b32 vcc_lo, exec_lo, s1
	s_mov_b32 s1, -1
	s_cbranch_vccnz .LBB514_4
; %bb.1:
	s_cmp_lg_u64 s[12:13], 0
	s_cbranch_scc0 .LBB514_3
; %bb.2:
	v_cmp_neq_f32_e64 s0, s14, 0
	v_cmp_neq_f32_e64 s1, s15, 0
	s_or_b32 s0, s0, s1
.LBB514_3:
	s_mov_b32 s1, s0
.LBB514_4:
	s_and_b32 vcc_lo, exec_lo, s1
	s_cbranch_vccz .LBB514_34
; %bb.5:
	s_mov_b32 s9, 0
	s_load_dword s28, s[4:5], 0x0
	s_lshl_b64 s[0:1], s[8:9], 3
	v_cmp_eq_f32_e64 s4, s14, 0
	s_add_u32 s2, s38, s0
	s_addc_u32 s3, s39, s1
	v_cmp_eq_f32_e64 s5, s15, 0
	s_load_dwordx2 s[2:3], s[2:3], 0x0
	v_cmp_lt_i64_e64 s8, s[12:13], 1
	v_mov_b32_e32 v23, 0
	v_mov_b32_e32 v22, 0
	s_and_b32 s4, s4, s5
	v_mov_b32_e32 v20, 0
	v_mov_b32_e32 v21, 0
	;; [unrolled: 1-line block ×6, first 2 shown]
	s_or_b32 s4, s4, s8
	s_lshl_b32 s6, s6, 5
	s_and_b32 vcc_lo, exec_lo, s4
	s_lshl_b32 s7, s7, 5
	s_cbranch_vccnz .LBB514_18
; %bb.6:
	s_add_u32 s4, s22, s0
	s_addc_u32 s5, s23, s1
	v_lshl_add_u32 v2, v1, 4, v0
	s_load_dwordx2 s[4:5], s[4:5], 0x0
	s_lshl_b64 s[8:9], s[26:27], 3
	v_and_b32_e32 v6, 7, v0
	v_lshlrev_b32_e32 v7, 3, v0
	v_lshrrev_b32_e32 v5, 3, v2
	v_and_b32_e32 v10, 31, v2
	v_lshrrev_b32_e32 v9, 5, v2
	v_lshlrev_b32_e32 v11, 3, v6
	v_lshl_add_u32 v8, v1, 6, 0x800
	v_add_nc_u32_e32 v4, s7, v5
	v_or_b32_e32 v12, s6, v10
	v_lshlrev_b32_e32 v2, 3, v10
	v_lshl_or_b32 v11, v5, 6, v11
	v_mov_b32_e32 v3, 0
	v_ashrrev_i32_e32 v5, 31, v4
	v_ashrrev_i32_e32 v13, 31, v12
	s_waitcnt lgkmcnt(0)
	v_cmp_gt_i32_e32 vcc_lo, s28, v4
	v_mov_b32_e32 v17, 0
	v_mov_b32_e32 v16, 0
	v_lshlrev_b64 v[14:15], 3, v[4:5]
	s_add_u32 s22, s4, s8
	s_addc_u32 s9, s5, s9
	s_add_u32 s0, s16, s0
	s_addc_u32 s1, s17, s1
	v_lshlrev_b64 v[4:5], 3, v[12:13]
	s_load_dwordx2 s[4:5], s[0:1], 0x0
	v_cmp_gt_i32_e64 s0, s28, v12
	v_cmp_le_i32_e64 s8, s28, v12
	s_lshl_b64 s[16:17], s[20:21], 3
	v_add_co_u32 v12, s1, s22, v14
	v_add_co_ci_u32_e64 v13, null, s9, v15, s1
	v_mov_b32_e32 v19, 0
	v_mov_b32_e32 v18, 0
	;; [unrolled: 1-line block ×5, first 2 shown]
	v_lshl_or_b32 v10, v9, 8, v2
	v_add_nc_u32_e32 v11, 0x800, v11
	v_mov_b32_e32 v23, 0
	s_waitcnt lgkmcnt(0)
	s_add_u32 s1, s4, s16
	s_addc_u32 s4, s5, s17
	v_add_co_u32 v14, s1, s1, v4
	v_add_co_ci_u32_e64 v15, null, s4, v5, s1
	s_mov_b64 s[4:5], 0
	s_xor_b32 s1, vcc_lo, -1
                                        ; implicit-def: $vgpr4_vgpr5
	s_branch .LBB514_8
.LBB514_7:                              ;   in Loop: Header=BB514_8 Depth=1
	s_or_b32 exec_lo, exec_lo, s9
	s_waitcnt lgkmcnt(0)
	s_barrier
	buffer_gl0_inv
	ds_read_b128 v[24:27], v8
	ds_read2_b64 v[28:31], v7 offset1:16
	ds_read_b128 v[32:35], v8 offset:1024
	ds_read_b128 v[36:39], v8 offset:16
	;; [unrolled: 1-line block ×4, first 2 shown]
	ds_read2_b64 v[48:51], v7 offset0:32 offset1:48
	ds_read_b128 v[52:55], v8 offset:1040
	s_add_u32 s4, s4, 8
	s_addc_u32 s5, s5, 0
	v_cmp_gt_i64_e64 s9, s[12:13], s[4:5]
	s_and_b32 vcc_lo, exec_lo, s9
	s_waitcnt lgkmcnt(6)
	v_mul_f32_e32 v2, v25, v29
	v_mul_f32_e32 v56, v24, v29
	;; [unrolled: 1-line block ×4, first 2 shown]
	s_waitcnt lgkmcnt(5)
	v_mul_f32_e32 v59, v33, v29
	v_mul_f32_e32 v29, v32, v29
	;; [unrolled: 1-line block ×3, first 2 shown]
	v_fma_f32 v2, v24, v28, -v2
	v_fmac_f32_e32 v56, v25, v28
	v_fma_f32 v24, v24, v30, -v57
	v_fmac_f32_e32 v58, v25, v30
	;; [unrolled: 2-line block ×3, first 2 shown]
	v_mul_f32_e32 v31, v32, v31
	v_fma_f32 v28, v32, v30, -v60
	v_add_f32_e32 v2, v23, v2
	v_add_f32_e32 v23, v20, v24
	v_add_f32_e32 v24, v21, v58
	v_add_f32_e32 v25, v18, v25
	v_add_f32_e32 v29, v19, v29
	s_waitcnt lgkmcnt(1)
	v_mul_f32_e32 v32, v27, v49
	ds_read2_b64 v[18:21], v7 offset0:64 offset1:80
	v_fmac_f32_e32 v31, v33, v30
	v_add_f32_e32 v16, v16, v28
	v_mul_f32_e32 v28, v26, v49
	v_fma_f32 v30, v26, v48, -v32
	v_mul_f32_e32 v32, v27, v51
	v_add_f32_e32 v22, v22, v56
	v_add_f32_e32 v17, v17, v31
	v_fmac_f32_e32 v28, v27, v48
	v_mul_f32_e32 v31, v26, v51
	v_add_f32_e32 v2, v2, v30
	v_fma_f32 v26, v26, v50, -v32
	v_mul_f32_e32 v30, v35, v49
	v_add_f32_e32 v28, v22, v28
	v_fmac_f32_e32 v31, v27, v50
	v_mul_f32_e32 v22, v34, v49
	v_add_f32_e32 v26, v23, v26
	v_fma_f32 v23, v34, v48, -v30
	v_mul_f32_e32 v27, v35, v51
	v_add_f32_e32 v30, v24, v31
	v_fmac_f32_e32 v22, v35, v48
	v_mul_f32_e32 v31, v34, v51
	v_add_f32_e32 v32, v25, v23
	v_fma_f32 v23, v34, v50, -v27
	s_waitcnt lgkmcnt(0)
	v_mul_f32_e32 v24, v37, v19
	v_add_f32_e32 v27, v29, v22
	v_fmac_f32_e32 v31, v35, v50
	v_mul_f32_e32 v29, v36, v19
	v_add_f32_e32 v16, v16, v23
	v_fma_f32 v33, v36, v18, -v24
	v_mul_f32_e32 v34, v37, v21
	ds_read2_b64 v[22:25], v7 offset0:96 offset1:112
	v_fmac_f32_e32 v29, v37, v18
	v_add_f32_e32 v31, v17, v31
	v_add_f32_e32 v2, v2, v33
	v_mul_f32_e32 v17, v36, v21
	v_fma_f32 v33, v36, v20, -v34
	v_add_f32_e32 v28, v28, v29
	v_mul_f32_e32 v29, v53, v19
	v_mul_f32_e32 v19, v52, v19
	v_fmac_f32_e32 v17, v37, v20
	v_add_f32_e32 v26, v26, v33
	v_mul_f32_e32 v33, v53, v21
	v_mul_f32_e32 v21, v52, v21
	v_fmac_f32_e32 v19, v53, v18
	v_add_f32_e32 v30, v30, v17
	v_fma_f32 v29, v52, v18, -v29
	v_fma_f32 v17, v52, v20, -v33
	v_fmac_f32_e32 v21, v53, v20
	v_add_f32_e32 v33, v27, v19
	s_waitcnt lgkmcnt(0)
	v_mul_f32_e32 v20, v39, v23
	v_add_f32_e32 v34, v16, v17
	ds_read2_b64 v[16:19], v7 offset0:128 offset1:144
	v_add_f32_e32 v32, v32, v29
	v_mul_f32_e32 v27, v38, v23
	v_mul_f32_e32 v29, v39, v25
	v_fma_f32 v20, v38, v22, -v20
	v_add_f32_e32 v31, v31, v21
	v_mul_f32_e32 v21, v38, v25
	v_fmac_f32_e32 v27, v39, v22
	v_fma_f32 v29, v38, v24, -v29
	v_add_f32_e32 v2, v2, v20
	v_mul_f32_e32 v20, v55, v23
	v_fmac_f32_e32 v21, v39, v24
	v_add_f32_e32 v35, v28, v27
	v_add_f32_e32 v36, v26, v29
	v_mul_f32_e32 v23, v54, v23
	v_fma_f32 v20, v54, v22, -v20
	v_mul_f32_e32 v37, v55, v25
	ds_read_b128 v[26:29], v8 offset:1056
	v_add_f32_e32 v38, v30, v21
	v_fmac_f32_e32 v23, v55, v22
	v_mul_f32_e32 v25, v54, v25
	v_fma_f32 v21, v54, v24, -v37
	v_add_f32_e32 v37, v32, v20
	s_waitcnt lgkmcnt(1)
	v_mul_f32_e32 v20, v41, v17
	v_add_f32_e32 v39, v33, v23
	v_fmac_f32_e32 v25, v55, v24
	v_add_f32_e32 v24, v34, v21
	v_mul_f32_e32 v32, v41, v19
	v_fma_f32 v30, v40, v16, -v20
	ds_read2_b64 v[20:23], v7 offset0:160 offset1:176
	v_mul_f32_e32 v34, v40, v17
	v_add_f32_e32 v25, v31, v25
	v_fma_f32 v48, v40, v18, -v32
	v_mul_f32_e32 v40, v40, v19
	v_add_f32_e32 v2, v2, v30
	v_fmac_f32_e32 v34, v41, v16
	ds_read_b128 v[30:33], v8 offset:1072
	s_waitcnt lgkmcnt(2)
	v_mul_f32_e32 v49, v27, v17
	v_mul_f32_e32 v17, v26, v17
	v_fmac_f32_e32 v40, v41, v18
	v_mul_f32_e32 v41, v27, v19
	v_add_f32_e32 v34, v35, v34
	v_add_f32_e32 v35, v36, v48
	v_fma_f32 v36, v26, v16, -v49
	v_fmac_f32_e32 v17, v27, v16
	v_add_f32_e32 v38, v38, v40
	v_mul_f32_e32 v40, v26, v19
	v_fma_f32 v16, v26, v18, -v41
	v_add_f32_e32 v36, v37, v36
	v_add_f32_e32 v26, v39, v17
	s_waitcnt lgkmcnt(1)
	v_mul_f32_e32 v37, v43, v21
	v_fmac_f32_e32 v40, v27, v18
	v_add_f32_e32 v24, v24, v16
	ds_read2_b64 v[16:19], v7 offset0:192 offset1:208
	v_mul_f32_e32 v27, v42, v21
	v_fma_f32 v37, v42, v20, -v37
	v_mul_f32_e32 v39, v43, v23
	v_add_f32_e32 v40, v25, v40
	v_mul_f32_e32 v25, v42, v23
	v_fmac_f32_e32 v27, v43, v20
	v_add_f32_e32 v2, v2, v37
	v_fma_f32 v37, v42, v22, -v39
	v_fmac_f32_e32 v25, v43, v22
	v_add_f32_e32 v34, v34, v27
	v_mul_f32_e32 v27, v29, v21
	v_mul_f32_e32 v21, v28, v21
	v_add_f32_e32 v35, v35, v37
	v_mul_f32_e32 v37, v29, v23
	v_add_f32_e32 v38, v38, v25
	v_fma_f32 v27, v28, v20, -v27
	v_fmac_f32_e32 v21, v29, v20
	v_mul_f32_e32 v20, v28, v23
	v_fma_f32 v23, v28, v22, -v37
	s_waitcnt lgkmcnt(0)
	v_mul_f32_e32 v25, v45, v17
	v_add_f32_e32 v28, v36, v27
	v_add_f32_e32 v21, v26, v21
	v_fmac_f32_e32 v20, v29, v22
	v_add_f32_e32 v22, v24, v23
	v_fma_f32 v29, v44, v16, -v25
	ds_read2_b64 v[24:27], v7 offset0:224 offset1:240
	v_mul_f32_e32 v23, v44, v17
	v_mul_f32_e32 v37, v31, v17
	v_mul_f32_e32 v17, v30, v17
	v_mul_f32_e32 v36, v45, v19
	v_add_f32_e32 v2, v2, v29
	v_fmac_f32_e32 v23, v45, v16
	v_mul_f32_e32 v29, v44, v19
	v_fmac_f32_e32 v17, v31, v16
	v_fma_f32 v36, v44, v18, -v36
	v_add_f32_e32 v20, v40, v20
	v_add_f32_e32 v34, v34, v23
	v_fma_f32 v23, v30, v16, -v37
	v_mul_f32_e32 v16, v31, v19
	v_mul_f32_e32 v19, v30, v19
	v_fmac_f32_e32 v29, v45, v18
	v_add_f32_e32 v17, v21, v17
	v_add_f32_e32 v35, v35, v36
	v_fma_f32 v16, v30, v18, -v16
	v_fmac_f32_e32 v19, v31, v18
	s_waitcnt lgkmcnt(0)
	v_mul_f32_e32 v21, v47, v25
	v_mul_f32_e32 v18, v47, v27
	v_add_f32_e32 v28, v28, v23
	v_mul_f32_e32 v30, v46, v25
	v_mul_f32_e32 v31, v46, v27
	v_fma_f32 v21, v46, v24, -v21
	v_fma_f32 v18, v46, v26, -v18
	v_add_f32_e32 v36, v20, v19
	v_mul_f32_e32 v19, v32, v25
	v_add_f32_e32 v29, v38, v29
	v_add_f32_e32 v23, v2, v21
	;; [unrolled: 1-line block ×3, first 2 shown]
	v_mul_f32_e32 v2, v33, v25
	v_mul_f32_e32 v18, v33, v27
	;; [unrolled: 1-line block ×3, first 2 shown]
	v_add_f32_e32 v16, v22, v16
	v_fmac_f32_e32 v30, v47, v24
	v_fmac_f32_e32 v31, v47, v26
	v_fma_f32 v2, v32, v24, -v2
	v_fmac_f32_e32 v19, v33, v24
	v_fma_f32 v24, v32, v26, -v18
	v_fmac_f32_e32 v25, v33, v26
	v_add_f32_e32 v22, v34, v30
	v_add_f32_e32 v21, v29, v31
	;; [unrolled: 1-line block ×6, first 2 shown]
	s_barrier
	buffer_gl0_inv
	s_cbranch_vccz .LBB514_18
.LBB514_8:                              ; =>This Inner Loop Header: Depth=1
	s_mov_b32 s17, s8
	s_mov_b32 s9, 0
	s_and_saveexec_b32 s16, s0
	s_cbranch_execnz .LBB514_16
; %bb.9:                                ;   in Loop: Header=BB514_8 Depth=1
	s_or_b32 exec_lo, exec_lo, s16
	s_and_saveexec_b32 s16, s17
	s_xor_b32 s16, exec_lo, s16
	s_cbranch_execnz .LBB514_17
.LBB514_10:                             ;   in Loop: Header=BB514_8 Depth=1
	s_or_b32 exec_lo, exec_lo, s16
	s_and_saveexec_b32 s16, s9
	s_cbranch_execz .LBB514_12
.LBB514_11:                             ;   in Loop: Header=BB514_8 Depth=1
	v_mul_lo_u32 v2, s19, v4
	v_mul_lo_u32 v26, s18, v5
	v_mad_u64_u32 v[24:25], null, s18, v4, 0
	v_add3_u32 v25, v25, v26, v2
	v_lshlrev_b64 v[24:25], 3, v[24:25]
	v_add_co_u32 v24, vcc_lo, v14, v24
	v_add_co_ci_u32_e64 v25, null, v15, v25, vcc_lo
	flat_load_dwordx2 v[24:25], v[24:25]
	s_waitcnt vmcnt(0) lgkmcnt(0)
	ds_write_b64 v10, v[24:25]
.LBB514_12:                             ;   in Loop: Header=BB514_8 Depth=1
	s_or_b32 exec_lo, exec_lo, s16
	v_add_nc_u32_e32 v2, s4, v6
	v_cmp_le_u64_e32 vcc_lo, s[12:13], v[2:3]
	s_or_b32 s9, vcc_lo, s1
	s_and_saveexec_b32 s16, s9
	s_xor_b32 s9, exec_lo, s16
; %bb.13:                               ;   in Loop: Header=BB514_8 Depth=1
	v_mov_b32_e32 v2, v3
	ds_write_b64 v11, v[2:3]
; %bb.14:                               ;   in Loop: Header=BB514_8 Depth=1
	s_andn2_saveexec_b32 s9, s9
	s_cbranch_execz .LBB514_7
; %bb.15:                               ;   in Loop: Header=BB514_8 Depth=1
	v_mad_u64_u32 v[24:25], null, s24, v2, 0
	v_mad_u64_u32 v[25:26], null, s25, v2, v[25:26]
	v_lshlrev_b64 v[24:25], 3, v[24:25]
	v_add_co_u32 v24, vcc_lo, v12, v24
	v_add_co_ci_u32_e64 v25, null, v13, v25, vcc_lo
	flat_load_dwordx2 v[24:25], v[24:25]
	s_waitcnt vmcnt(0) lgkmcnt(0)
	ds_write_b64 v11, v[24:25]
	s_branch .LBB514_7
.LBB514_16:                             ;   in Loop: Header=BB514_8 Depth=1
	v_add_nc_u32_e32 v2, s4, v9
	v_mov_b32_e32 v5, v3
	s_andn2_b32 s17, s8, exec_lo
	s_mov_b32 s9, exec_lo
	v_cmp_le_u64_e32 vcc_lo, s[12:13], v[2:3]
	v_mov_b32_e32 v4, v2
	s_and_b32 s20, vcc_lo, exec_lo
	s_or_b32 s17, s17, s20
	s_or_b32 exec_lo, exec_lo, s16
	s_and_saveexec_b32 s16, s17
	s_xor_b32 s16, exec_lo, s16
	s_cbranch_execz .LBB514_10
.LBB514_17:                             ;   in Loop: Header=BB514_8 Depth=1
	v_mov_b32_e32 v2, v3
	s_andn2_b32 s9, s9, exec_lo
	ds_write_b64 v10, v[2:3]
	s_or_b32 exec_lo, exec_lo, s16
	s_and_saveexec_b32 s16, s9
	s_cbranch_execnz .LBB514_11
	s_branch .LBB514_12
.LBB514_18:
	v_add_nc_u32_e32 v9, s7, v1
	s_lshl_b64 s[0:1], s[42:43], 3
	v_add_nc_u32_e32 v0, s6, v0
	v_cmp_neq_f32_e64 s5, s10, 0
	s_waitcnt lgkmcnt(0)
	s_add_u32 s4, s2, s0
	v_ashrrev_i32_e32 v3, 31, v9
	v_mul_lo_u32 v4, s41, v9
	v_mad_u64_u32 v[1:2], null, s40, v9, 0
	s_addc_u32 s3, s3, s1
	v_mul_lo_u32 v3, s40, v3
	s_xor_b32 s2, s29, -1
	v_cmp_le_i32_e32 vcc_lo, v9, v0
	v_cmp_gt_i32_e64 s0, s28, v0
	s_or_b32 s2, s5, s2
	v_cndmask_b32_e64 v8, 0, 1, s2
	s_and_b32 s5, vcc_lo, s0
	v_add3_u32 v2, v2, v3, v4
	v_lshlrev_b64 v[2:3], 3, v[1:2]
	v_ashrrev_i32_e32 v1, 31, v0
	v_add_co_u32 v6, s1, s4, v2
	v_add_co_ci_u32_e64 v7, null, s3, v3, s1
	s_and_saveexec_b32 s1, s5
	s_cbranch_execz .LBB514_22
; %bb.19:
	v_lshlrev_b64 v[4:5], 3, v[0:1]
	v_mul_f32_e32 v2, s15, v22
	v_mul_f32_e32 v3, s14, v22
	v_fma_f32 v2, v23, s14, -v2
	v_add_co_u32 v4, vcc_lo, v6, v4
	v_fmac_f32_e32 v3, s15, v23
	v_add_co_ci_u32_e64 v5, null, v7, v5, vcc_lo
	s_andn2_b32 vcc_lo, exec_lo, s2
	s_cbranch_vccnz .LBB514_21
; %bb.20:
	flat_load_dwordx2 v[10:11], v[4:5]
	s_waitcnt vmcnt(0) lgkmcnt(0)
	v_mul_f32_e32 v12, s11, v11
	v_mul_f32_e32 v11, s10, v11
	v_fma_f32 v12, v10, s10, -v12
	v_fmac_f32_e32 v11, s11, v10
	v_add_f32_e32 v2, v2, v12
	v_add_f32_e32 v3, v3, v11
.LBB514_21:
	flat_store_dwordx2 v[4:5], v[2:3]
.LBB514_22:
	s_or_b32 exec_lo, exec_lo, s1
	v_add_nc_u32_e32 v2, 16, v0
	v_cmp_le_i32_e32 vcc_lo, v9, v2
	v_cmp_gt_i32_e64 s1, s28, v2
	v_ashrrev_i32_e32 v3, 31, v2
	s_and_b32 s2, vcc_lo, s1
	s_and_saveexec_b32 s5, s2
	s_cbranch_execz .LBB514_26
; %bb.23:
	v_lshlrev_b64 v[10:11], 3, v[2:3]
	v_mul_f32_e32 v4, s15, v21
	v_mul_f32_e32 v5, s14, v21
	v_cmp_ne_u32_e32 vcc_lo, 1, v8
	v_fma_f32 v4, v20, s14, -v4
	v_add_co_u32 v6, s2, v6, v10
	v_fmac_f32_e32 v5, s15, v20
	v_add_co_ci_u32_e64 v7, null, v7, v11, s2
	s_cbranch_vccnz .LBB514_25
; %bb.24:
	flat_load_dwordx2 v[10:11], v[6:7]
	s_waitcnt vmcnt(0) lgkmcnt(0)
	v_mul_f32_e32 v12, s11, v11
	v_mul_f32_e32 v11, s10, v11
	v_fma_f32 v12, v10, s10, -v12
	v_fmac_f32_e32 v11, s11, v10
	v_add_f32_e32 v4, v4, v12
	v_add_f32_e32 v5, v5, v11
.LBB514_25:
	flat_store_dwordx2 v[6:7], v[4:5]
.LBB514_26:
	s_or_b32 exec_lo, exec_lo, s5
	v_add_nc_u32_e32 v9, 16, v9
	v_ashrrev_i32_e32 v6, 31, v9
	v_mul_lo_u32 v7, s41, v9
	v_mad_u64_u32 v[4:5], null, s40, v9, 0
	v_cmp_le_i32_e32 vcc_lo, v9, v0
	v_mul_lo_u32 v6, s40, v6
	s_and_b32 s0, vcc_lo, s0
	v_add3_u32 v5, v5, v6, v7
	v_lshlrev_b64 v[4:5], 3, v[4:5]
	v_add_co_u32 v6, s2, s4, v4
	v_add_co_ci_u32_e64 v7, null, s3, v5, s2
	s_and_saveexec_b32 s2, s0
	s_cbranch_execz .LBB514_30
; %bb.27:
	v_lshlrev_b64 v[0:1], 3, v[0:1]
	v_mul_f32_e32 v4, s15, v19
	v_mul_f32_e32 v5, s14, v19
	v_cmp_ne_u32_e32 vcc_lo, 1, v8
	v_fma_f32 v4, v18, s14, -v4
	v_add_co_u32 v0, s0, v6, v0
	v_fmac_f32_e32 v5, s15, v18
	v_add_co_ci_u32_e64 v1, null, v7, v1, s0
	s_cbranch_vccnz .LBB514_29
; %bb.28:
	flat_load_dwordx2 v[10:11], v[0:1]
	s_waitcnt vmcnt(0) lgkmcnt(0)
	v_mul_f32_e32 v12, s11, v11
	v_mul_f32_e32 v11, s10, v11
	v_fma_f32 v12, v10, s10, -v12
	v_fmac_f32_e32 v11, s11, v10
	v_add_f32_e32 v4, v4, v12
	v_add_f32_e32 v5, v5, v11
.LBB514_29:
	flat_store_dwordx2 v[0:1], v[4:5]
.LBB514_30:
	s_or_b32 exec_lo, exec_lo, s2
	v_cmp_le_i32_e32 vcc_lo, v9, v2
	s_and_b32 s0, vcc_lo, s1
	s_and_saveexec_b32 s1, s0
	s_cbranch_execz .LBB514_34
; %bb.31:
	v_lshlrev_b64 v[2:3], 3, v[2:3]
	v_mul_f32_e32 v0, s15, v17
	v_mul_f32_e32 v1, s14, v17
	v_cmp_ne_u32_e32 vcc_lo, 1, v8
	v_fma_f32 v0, v16, s14, -v0
	v_add_co_u32 v2, s0, v6, v2
	v_fmac_f32_e32 v1, s15, v16
	v_add_co_ci_u32_e64 v3, null, v7, v3, s0
	s_cbranch_vccnz .LBB514_33
; %bb.32:
	flat_load_dwordx2 v[4:5], v[2:3]
	s_waitcnt vmcnt(0) lgkmcnt(0)
	v_mul_f32_e32 v6, s11, v5
	v_mul_f32_e32 v5, s10, v5
	v_fma_f32 v6, v4, s10, -v6
	v_fmac_f32_e32 v5, s11, v4
	v_add_f32_e32 v0, v0, v6
	v_add_f32_e32 v1, v1, v5
.LBB514_33:
	flat_store_dwordx2 v[2:3], v[0:1]
.LBB514_34:
	s_endpgm
	.section	.rodata,"a",@progbits
	.p2align	6, 0x0
	.amdhsa_kernel _ZL29rocblas_internal_gemmt_kernelIlLi16ELi32ELi8ELc78ELc84ELc76ELb0ELb0E19rocblas_complex_numIfEPKS1_PKS3_PKPS1_EviT_T9_T10_S9_lSB_S9_lSA_T11_S9_li
		.amdhsa_group_segment_fixed_size 4096
		.amdhsa_private_segment_fixed_size 0
		.amdhsa_kernarg_size 108
		.amdhsa_user_sgpr_count 6
		.amdhsa_user_sgpr_private_segment_buffer 1
		.amdhsa_user_sgpr_dispatch_ptr 0
		.amdhsa_user_sgpr_queue_ptr 0
		.amdhsa_user_sgpr_kernarg_segment_ptr 1
		.amdhsa_user_sgpr_dispatch_id 0
		.amdhsa_user_sgpr_flat_scratch_init 0
		.amdhsa_user_sgpr_private_segment_size 0
		.amdhsa_wavefront_size32 1
		.amdhsa_uses_dynamic_stack 0
		.amdhsa_system_sgpr_private_segment_wavefront_offset 0
		.amdhsa_system_sgpr_workgroup_id_x 1
		.amdhsa_system_sgpr_workgroup_id_y 1
		.amdhsa_system_sgpr_workgroup_id_z 1
		.amdhsa_system_sgpr_workgroup_info 0
		.amdhsa_system_vgpr_workitem_id 1
		.amdhsa_next_free_vgpr 61
		.amdhsa_next_free_sgpr 44
		.amdhsa_reserve_vcc 1
		.amdhsa_reserve_flat_scratch 0
		.amdhsa_float_round_mode_32 0
		.amdhsa_float_round_mode_16_64 0
		.amdhsa_float_denorm_mode_32 3
		.amdhsa_float_denorm_mode_16_64 3
		.amdhsa_dx10_clamp 1
		.amdhsa_ieee_mode 1
		.amdhsa_fp16_overflow 0
		.amdhsa_workgroup_processor_mode 1
		.amdhsa_memory_ordered 1
		.amdhsa_forward_progress 1
		.amdhsa_shared_vgpr_count 0
		.amdhsa_exception_fp_ieee_invalid_op 0
		.amdhsa_exception_fp_denorm_src 0
		.amdhsa_exception_fp_ieee_div_zero 0
		.amdhsa_exception_fp_ieee_overflow 0
		.amdhsa_exception_fp_ieee_underflow 0
		.amdhsa_exception_fp_ieee_inexact 0
		.amdhsa_exception_int_div_zero 0
	.end_amdhsa_kernel
	.section	.text._ZL29rocblas_internal_gemmt_kernelIlLi16ELi32ELi8ELc78ELc84ELc76ELb0ELb0E19rocblas_complex_numIfEPKS1_PKS3_PKPS1_EviT_T9_T10_S9_lSB_S9_lSA_T11_S9_li,"axG",@progbits,_ZL29rocblas_internal_gemmt_kernelIlLi16ELi32ELi8ELc78ELc84ELc76ELb0ELb0E19rocblas_complex_numIfEPKS1_PKS3_PKPS1_EviT_T9_T10_S9_lSB_S9_lSA_T11_S9_li,comdat
.Lfunc_end514:
	.size	_ZL29rocblas_internal_gemmt_kernelIlLi16ELi32ELi8ELc78ELc84ELc76ELb0ELb0E19rocblas_complex_numIfEPKS1_PKS3_PKPS1_EviT_T9_T10_S9_lSB_S9_lSA_T11_S9_li, .Lfunc_end514-_ZL29rocblas_internal_gemmt_kernelIlLi16ELi32ELi8ELc78ELc84ELc76ELb0ELb0E19rocblas_complex_numIfEPKS1_PKS3_PKPS1_EviT_T9_T10_S9_lSB_S9_lSA_T11_S9_li
                                        ; -- End function
	.set _ZL29rocblas_internal_gemmt_kernelIlLi16ELi32ELi8ELc78ELc84ELc76ELb0ELb0E19rocblas_complex_numIfEPKS1_PKS3_PKPS1_EviT_T9_T10_S9_lSB_S9_lSA_T11_S9_li.num_vgpr, 61
	.set _ZL29rocblas_internal_gemmt_kernelIlLi16ELi32ELi8ELc78ELc84ELc76ELb0ELb0E19rocblas_complex_numIfEPKS1_PKS3_PKPS1_EviT_T9_T10_S9_lSB_S9_lSA_T11_S9_li.num_agpr, 0
	.set _ZL29rocblas_internal_gemmt_kernelIlLi16ELi32ELi8ELc78ELc84ELc76ELb0ELb0E19rocblas_complex_numIfEPKS1_PKS3_PKPS1_EviT_T9_T10_S9_lSB_S9_lSA_T11_S9_li.numbered_sgpr, 44
	.set _ZL29rocblas_internal_gemmt_kernelIlLi16ELi32ELi8ELc78ELc84ELc76ELb0ELb0E19rocblas_complex_numIfEPKS1_PKS3_PKPS1_EviT_T9_T10_S9_lSB_S9_lSA_T11_S9_li.num_named_barrier, 0
	.set _ZL29rocblas_internal_gemmt_kernelIlLi16ELi32ELi8ELc78ELc84ELc76ELb0ELb0E19rocblas_complex_numIfEPKS1_PKS3_PKPS1_EviT_T9_T10_S9_lSB_S9_lSA_T11_S9_li.private_seg_size, 0
	.set _ZL29rocblas_internal_gemmt_kernelIlLi16ELi32ELi8ELc78ELc84ELc76ELb0ELb0E19rocblas_complex_numIfEPKS1_PKS3_PKPS1_EviT_T9_T10_S9_lSB_S9_lSA_T11_S9_li.uses_vcc, 1
	.set _ZL29rocblas_internal_gemmt_kernelIlLi16ELi32ELi8ELc78ELc84ELc76ELb0ELb0E19rocblas_complex_numIfEPKS1_PKS3_PKPS1_EviT_T9_T10_S9_lSB_S9_lSA_T11_S9_li.uses_flat_scratch, 0
	.set _ZL29rocblas_internal_gemmt_kernelIlLi16ELi32ELi8ELc78ELc84ELc76ELb0ELb0E19rocblas_complex_numIfEPKS1_PKS3_PKPS1_EviT_T9_T10_S9_lSB_S9_lSA_T11_S9_li.has_dyn_sized_stack, 0
	.set _ZL29rocblas_internal_gemmt_kernelIlLi16ELi32ELi8ELc78ELc84ELc76ELb0ELb0E19rocblas_complex_numIfEPKS1_PKS3_PKPS1_EviT_T9_T10_S9_lSB_S9_lSA_T11_S9_li.has_recursion, 0
	.set _ZL29rocblas_internal_gemmt_kernelIlLi16ELi32ELi8ELc78ELc84ELc76ELb0ELb0E19rocblas_complex_numIfEPKS1_PKS3_PKPS1_EviT_T9_T10_S9_lSB_S9_lSA_T11_S9_li.has_indirect_call, 0
	.section	.AMDGPU.csdata,"",@progbits
; Kernel info:
; codeLenInByte = 2616
; TotalNumSgprs: 46
; NumVgprs: 61
; ScratchSize: 0
; MemoryBound: 0
; FloatMode: 240
; IeeeMode: 1
; LDSByteSize: 4096 bytes/workgroup (compile time only)
; SGPRBlocks: 0
; VGPRBlocks: 7
; NumSGPRsForWavesPerEU: 46
; NumVGPRsForWavesPerEU: 61
; Occupancy: 16
; WaveLimiterHint : 1
; COMPUTE_PGM_RSRC2:SCRATCH_EN: 0
; COMPUTE_PGM_RSRC2:USER_SGPR: 6
; COMPUTE_PGM_RSRC2:TRAP_HANDLER: 0
; COMPUTE_PGM_RSRC2:TGID_X_EN: 1
; COMPUTE_PGM_RSRC2:TGID_Y_EN: 1
; COMPUTE_PGM_RSRC2:TGID_Z_EN: 1
; COMPUTE_PGM_RSRC2:TIDIG_COMP_CNT: 1
	.section	.text._ZL29rocblas_internal_gemmt_kernelIlLi16ELi32ELi8ELc78ELc67ELc76ELb0ELb1E19rocblas_complex_numIfEPKS1_PKS3_PKPS1_EviT_T9_T10_S9_lSB_S9_lSA_T11_S9_li,"axG",@progbits,_ZL29rocblas_internal_gemmt_kernelIlLi16ELi32ELi8ELc78ELc67ELc76ELb0ELb1E19rocblas_complex_numIfEPKS1_PKS3_PKPS1_EviT_T9_T10_S9_lSB_S9_lSA_T11_S9_li,comdat
	.globl	_ZL29rocblas_internal_gemmt_kernelIlLi16ELi32ELi8ELc78ELc67ELc76ELb0ELb1E19rocblas_complex_numIfEPKS1_PKS3_PKPS1_EviT_T9_T10_S9_lSB_S9_lSA_T11_S9_li ; -- Begin function _ZL29rocblas_internal_gemmt_kernelIlLi16ELi32ELi8ELc78ELc67ELc76ELb0ELb1E19rocblas_complex_numIfEPKS1_PKS3_PKPS1_EviT_T9_T10_S9_lSB_S9_lSA_T11_S9_li
	.p2align	8
	.type	_ZL29rocblas_internal_gemmt_kernelIlLi16ELi32ELi8ELc78ELc67ELc76ELb0ELb1E19rocblas_complex_numIfEPKS1_PKS3_PKPS1_EviT_T9_T10_S9_lSB_S9_lSA_T11_S9_li,@function
_ZL29rocblas_internal_gemmt_kernelIlLi16ELi32ELi8ELc78ELc67ELc76ELb0ELb1E19rocblas_complex_numIfEPKS1_PKS3_PKPS1_EviT_T9_T10_S9_lSB_S9_lSA_T11_S9_li: ; @_ZL29rocblas_internal_gemmt_kernelIlLi16ELi32ELi8ELc78ELc67ELc76ELb0ELb1E19rocblas_complex_numIfEPKS1_PKS3_PKPS1_EviT_T9_T10_S9_lSB_S9_lSA_T11_S9_li
; %bb.0:
	s_clause 0x1
	s_load_dwordx8 s[36:43], s[4:5], 0x48
	s_load_dwordx16 s[12:27], s[4:5], 0x8
	s_waitcnt lgkmcnt(0)
	s_load_dwordx2 s[10:11], s[36:37], 0x0
	s_load_dwordx2 s[14:15], s[14:15], 0x0
	s_waitcnt lgkmcnt(0)
	s_and_b32 s0, s11, 0x7fffffff
	v_cmp_eq_f32_e64 s1, s10, 1.0
	s_cmp_eq_u32 s0, 0
	s_mov_b32 s0, 0
	s_cselect_b32 s29, -1, 0
	s_and_b32 s1, s1, s29
	s_andn2_b32 vcc_lo, exec_lo, s1
	s_mov_b32 s1, -1
	s_cbranch_vccnz .LBB515_4
; %bb.1:
	s_cmp_lg_u64 s[12:13], 0
	s_cbranch_scc0 .LBB515_3
; %bb.2:
	v_cmp_neq_f32_e64 s0, s14, 0
	v_cmp_neq_f32_e64 s1, s15, 0
	s_or_b32 s0, s0, s1
.LBB515_3:
	s_mov_b32 s1, s0
.LBB515_4:
	s_and_b32 vcc_lo, exec_lo, s1
	s_cbranch_vccz .LBB515_34
; %bb.5:
	s_mov_b32 s9, 0
	s_load_dword s28, s[4:5], 0x0
	s_lshl_b64 s[0:1], s[8:9], 3
	v_cmp_eq_f32_e64 s4, s14, 0
	s_add_u32 s2, s38, s0
	s_addc_u32 s3, s39, s1
	v_cmp_eq_f32_e64 s5, s15, 0
	s_load_dwordx2 s[2:3], s[2:3], 0x0
	v_cmp_lt_i64_e64 s8, s[12:13], 1
	v_mov_b32_e32 v23, 0
	v_mov_b32_e32 v22, 0
	s_and_b32 s4, s4, s5
	v_mov_b32_e32 v20, 0
	v_mov_b32_e32 v21, 0
	;; [unrolled: 1-line block ×6, first 2 shown]
	s_or_b32 s4, s4, s8
	s_lshl_b32 s6, s6, 5
	s_and_b32 vcc_lo, exec_lo, s4
	s_lshl_b32 s7, s7, 5
	s_cbranch_vccnz .LBB515_18
; %bb.6:
	s_add_u32 s4, s22, s0
	s_addc_u32 s5, s23, s1
	v_lshl_add_u32 v2, v1, 4, v0
	s_load_dwordx2 s[4:5], s[4:5], 0x0
	s_lshl_b64 s[8:9], s[26:27], 3
	v_and_b32_e32 v6, 7, v0
	v_lshlrev_b32_e32 v7, 3, v0
	v_lshrrev_b32_e32 v5, 3, v2
	v_and_b32_e32 v10, 31, v2
	v_lshrrev_b32_e32 v9, 5, v2
	v_lshlrev_b32_e32 v11, 3, v6
	v_lshl_add_u32 v8, v1, 6, 0x800
	v_add_nc_u32_e32 v4, s7, v5
	v_or_b32_e32 v12, s6, v10
	v_lshlrev_b32_e32 v2, 3, v10
	v_lshl_or_b32 v11, v5, 6, v11
	v_mov_b32_e32 v3, 0
	v_ashrrev_i32_e32 v5, 31, v4
	v_ashrrev_i32_e32 v13, 31, v12
	s_waitcnt lgkmcnt(0)
	v_cmp_gt_i32_e32 vcc_lo, s28, v4
	v_mov_b32_e32 v17, 0
	v_mov_b32_e32 v16, 0
	v_lshlrev_b64 v[14:15], 3, v[4:5]
	s_add_u32 s22, s4, s8
	s_addc_u32 s9, s5, s9
	s_add_u32 s0, s16, s0
	s_addc_u32 s1, s17, s1
	v_lshlrev_b64 v[4:5], 3, v[12:13]
	s_load_dwordx2 s[4:5], s[0:1], 0x0
	v_cmp_gt_i32_e64 s0, s28, v12
	v_cmp_le_i32_e64 s8, s28, v12
	s_lshl_b64 s[16:17], s[20:21], 3
	v_add_co_u32 v12, s1, s22, v14
	v_add_co_ci_u32_e64 v13, null, s9, v15, s1
	v_mov_b32_e32 v19, 0
	v_mov_b32_e32 v18, 0
	;; [unrolled: 1-line block ×5, first 2 shown]
	v_lshl_or_b32 v10, v9, 8, v2
	v_add_nc_u32_e32 v11, 0x800, v11
	v_mov_b32_e32 v23, 0
	s_waitcnt lgkmcnt(0)
	s_add_u32 s1, s4, s16
	s_addc_u32 s4, s5, s17
	v_add_co_u32 v14, s1, s1, v4
	v_add_co_ci_u32_e64 v15, null, s4, v5, s1
	s_mov_b64 s[4:5], 0
	s_xor_b32 s1, vcc_lo, -1
                                        ; implicit-def: $vgpr4_vgpr5
	s_branch .LBB515_8
.LBB515_7:                              ;   in Loop: Header=BB515_8 Depth=1
	s_or_b32 exec_lo, exec_lo, s9
	ds_write_b32 v11, v24 offset:4
	s_waitcnt lgkmcnt(0)
	s_barrier
	buffer_gl0_inv
	ds_read_b128 v[24:27], v8
	ds_read2_b64 v[28:31], v7 offset1:16
	ds_read_b128 v[32:35], v8 offset:1024
	ds_read_b128 v[36:39], v8 offset:16
	;; [unrolled: 1-line block ×4, first 2 shown]
	ds_read2_b64 v[48:51], v7 offset0:32 offset1:48
	ds_read_b128 v[52:55], v8 offset:1040
	s_add_u32 s4, s4, 8
	s_addc_u32 s5, s5, 0
	v_cmp_gt_i64_e64 s9, s[12:13], s[4:5]
	s_and_b32 vcc_lo, exec_lo, s9
	s_waitcnt lgkmcnt(6)
	v_mul_f32_e32 v2, v25, v29
	v_mul_f32_e32 v56, v24, v29
	;; [unrolled: 1-line block ×4, first 2 shown]
	s_waitcnt lgkmcnt(5)
	v_mul_f32_e32 v59, v33, v29
	v_mul_f32_e32 v29, v32, v29
	;; [unrolled: 1-line block ×3, first 2 shown]
	v_fma_f32 v2, v24, v28, -v2
	v_fmac_f32_e32 v56, v25, v28
	v_fma_f32 v24, v24, v30, -v57
	v_fmac_f32_e32 v58, v25, v30
	;; [unrolled: 2-line block ×3, first 2 shown]
	v_mul_f32_e32 v31, v32, v31
	v_fma_f32 v28, v32, v30, -v60
	v_add_f32_e32 v2, v23, v2
	v_add_f32_e32 v23, v20, v24
	;; [unrolled: 1-line block ×5, first 2 shown]
	s_waitcnt lgkmcnt(1)
	v_mul_f32_e32 v32, v27, v49
	ds_read2_b64 v[18:21], v7 offset0:64 offset1:80
	v_fmac_f32_e32 v31, v33, v30
	v_add_f32_e32 v16, v16, v28
	v_mul_f32_e32 v28, v26, v49
	v_fma_f32 v30, v26, v48, -v32
	v_mul_f32_e32 v32, v27, v51
	v_add_f32_e32 v22, v22, v56
	v_add_f32_e32 v17, v17, v31
	v_fmac_f32_e32 v28, v27, v48
	v_mul_f32_e32 v31, v26, v51
	v_add_f32_e32 v2, v2, v30
	v_fma_f32 v26, v26, v50, -v32
	v_mul_f32_e32 v30, v35, v49
	v_add_f32_e32 v28, v22, v28
	v_fmac_f32_e32 v31, v27, v50
	v_mul_f32_e32 v22, v34, v49
	v_add_f32_e32 v26, v23, v26
	v_fma_f32 v23, v34, v48, -v30
	v_mul_f32_e32 v27, v35, v51
	v_add_f32_e32 v30, v24, v31
	v_fmac_f32_e32 v22, v35, v48
	v_mul_f32_e32 v31, v34, v51
	v_add_f32_e32 v32, v25, v23
	v_fma_f32 v23, v34, v50, -v27
	s_waitcnt lgkmcnt(0)
	v_mul_f32_e32 v24, v37, v19
	v_add_f32_e32 v27, v29, v22
	v_fmac_f32_e32 v31, v35, v50
	v_mul_f32_e32 v29, v36, v19
	v_add_f32_e32 v16, v16, v23
	v_fma_f32 v33, v36, v18, -v24
	v_mul_f32_e32 v34, v37, v21
	ds_read2_b64 v[22:25], v7 offset0:96 offset1:112
	v_fmac_f32_e32 v29, v37, v18
	v_add_f32_e32 v31, v17, v31
	v_add_f32_e32 v2, v2, v33
	v_mul_f32_e32 v17, v36, v21
	v_fma_f32 v33, v36, v20, -v34
	v_add_f32_e32 v28, v28, v29
	v_mul_f32_e32 v29, v53, v19
	v_mul_f32_e32 v19, v52, v19
	v_fmac_f32_e32 v17, v37, v20
	v_add_f32_e32 v26, v26, v33
	v_mul_f32_e32 v33, v53, v21
	v_mul_f32_e32 v21, v52, v21
	v_fmac_f32_e32 v19, v53, v18
	v_add_f32_e32 v30, v30, v17
	v_fma_f32 v29, v52, v18, -v29
	v_fma_f32 v17, v52, v20, -v33
	v_fmac_f32_e32 v21, v53, v20
	v_add_f32_e32 v33, v27, v19
	s_waitcnt lgkmcnt(0)
	v_mul_f32_e32 v20, v39, v23
	v_add_f32_e32 v34, v16, v17
	ds_read2_b64 v[16:19], v7 offset0:128 offset1:144
	v_add_f32_e32 v32, v32, v29
	v_mul_f32_e32 v27, v38, v23
	v_mul_f32_e32 v29, v39, v25
	v_fma_f32 v20, v38, v22, -v20
	v_add_f32_e32 v31, v31, v21
	v_mul_f32_e32 v21, v38, v25
	v_fmac_f32_e32 v27, v39, v22
	v_fma_f32 v29, v38, v24, -v29
	v_add_f32_e32 v2, v2, v20
	v_mul_f32_e32 v20, v55, v23
	v_fmac_f32_e32 v21, v39, v24
	v_add_f32_e32 v35, v28, v27
	v_add_f32_e32 v36, v26, v29
	v_mul_f32_e32 v23, v54, v23
	v_fma_f32 v20, v54, v22, -v20
	v_mul_f32_e32 v37, v55, v25
	ds_read_b128 v[26:29], v8 offset:1056
	v_add_f32_e32 v38, v30, v21
	v_fmac_f32_e32 v23, v55, v22
	v_mul_f32_e32 v25, v54, v25
	v_fma_f32 v21, v54, v24, -v37
	v_add_f32_e32 v37, v32, v20
	s_waitcnt lgkmcnt(1)
	v_mul_f32_e32 v20, v41, v17
	v_add_f32_e32 v39, v33, v23
	v_fmac_f32_e32 v25, v55, v24
	v_add_f32_e32 v24, v34, v21
	v_mul_f32_e32 v32, v41, v19
	v_fma_f32 v30, v40, v16, -v20
	ds_read2_b64 v[20:23], v7 offset0:160 offset1:176
	v_mul_f32_e32 v34, v40, v17
	v_add_f32_e32 v25, v31, v25
	v_fma_f32 v48, v40, v18, -v32
	v_mul_f32_e32 v40, v40, v19
	v_add_f32_e32 v2, v2, v30
	v_fmac_f32_e32 v34, v41, v16
	ds_read_b128 v[30:33], v8 offset:1072
	s_waitcnt lgkmcnt(2)
	v_mul_f32_e32 v49, v27, v17
	v_mul_f32_e32 v17, v26, v17
	v_fmac_f32_e32 v40, v41, v18
	v_mul_f32_e32 v41, v27, v19
	v_add_f32_e32 v34, v35, v34
	v_add_f32_e32 v35, v36, v48
	v_fma_f32 v36, v26, v16, -v49
	v_fmac_f32_e32 v17, v27, v16
	v_add_f32_e32 v38, v38, v40
	v_mul_f32_e32 v40, v26, v19
	v_fma_f32 v16, v26, v18, -v41
	v_add_f32_e32 v36, v37, v36
	v_add_f32_e32 v26, v39, v17
	s_waitcnt lgkmcnt(1)
	v_mul_f32_e32 v37, v43, v21
	v_fmac_f32_e32 v40, v27, v18
	v_add_f32_e32 v24, v24, v16
	ds_read2_b64 v[16:19], v7 offset0:192 offset1:208
	v_mul_f32_e32 v27, v42, v21
	v_fma_f32 v37, v42, v20, -v37
	v_mul_f32_e32 v39, v43, v23
	v_add_f32_e32 v40, v25, v40
	v_mul_f32_e32 v25, v42, v23
	v_fmac_f32_e32 v27, v43, v20
	v_add_f32_e32 v2, v2, v37
	v_fma_f32 v37, v42, v22, -v39
	v_fmac_f32_e32 v25, v43, v22
	v_add_f32_e32 v34, v34, v27
	v_mul_f32_e32 v27, v29, v21
	v_mul_f32_e32 v21, v28, v21
	v_add_f32_e32 v35, v35, v37
	v_mul_f32_e32 v37, v29, v23
	v_add_f32_e32 v38, v38, v25
	v_fma_f32 v27, v28, v20, -v27
	v_fmac_f32_e32 v21, v29, v20
	v_mul_f32_e32 v20, v28, v23
	v_fma_f32 v23, v28, v22, -v37
	s_waitcnt lgkmcnt(0)
	v_mul_f32_e32 v25, v45, v17
	v_add_f32_e32 v28, v36, v27
	v_add_f32_e32 v21, v26, v21
	v_fmac_f32_e32 v20, v29, v22
	v_add_f32_e32 v22, v24, v23
	v_fma_f32 v29, v44, v16, -v25
	ds_read2_b64 v[24:27], v7 offset0:224 offset1:240
	v_mul_f32_e32 v23, v44, v17
	v_mul_f32_e32 v37, v31, v17
	;; [unrolled: 1-line block ×4, first 2 shown]
	v_add_f32_e32 v2, v2, v29
	v_fmac_f32_e32 v23, v45, v16
	v_mul_f32_e32 v29, v44, v19
	v_fmac_f32_e32 v17, v31, v16
	v_fma_f32 v36, v44, v18, -v36
	v_add_f32_e32 v20, v40, v20
	v_add_f32_e32 v34, v34, v23
	v_fma_f32 v23, v30, v16, -v37
	v_mul_f32_e32 v16, v31, v19
	v_mul_f32_e32 v19, v30, v19
	v_fmac_f32_e32 v29, v45, v18
	v_add_f32_e32 v17, v21, v17
	v_add_f32_e32 v35, v35, v36
	v_fma_f32 v16, v30, v18, -v16
	v_fmac_f32_e32 v19, v31, v18
	s_waitcnt lgkmcnt(0)
	v_mul_f32_e32 v21, v47, v25
	v_mul_f32_e32 v18, v47, v27
	v_add_f32_e32 v28, v28, v23
	v_mul_f32_e32 v30, v46, v25
	v_mul_f32_e32 v31, v46, v27
	v_fma_f32 v21, v46, v24, -v21
	v_fma_f32 v18, v46, v26, -v18
	v_add_f32_e32 v36, v20, v19
	v_mul_f32_e32 v19, v32, v25
	v_add_f32_e32 v29, v38, v29
	v_add_f32_e32 v23, v2, v21
	;; [unrolled: 1-line block ×3, first 2 shown]
	v_mul_f32_e32 v2, v33, v25
	v_mul_f32_e32 v18, v33, v27
	;; [unrolled: 1-line block ×3, first 2 shown]
	v_add_f32_e32 v16, v22, v16
	v_fmac_f32_e32 v30, v47, v24
	v_fmac_f32_e32 v31, v47, v26
	v_fma_f32 v2, v32, v24, -v2
	v_fmac_f32_e32 v19, v33, v24
	v_fma_f32 v24, v32, v26, -v18
	v_fmac_f32_e32 v25, v33, v26
	v_add_f32_e32 v22, v34, v30
	v_add_f32_e32 v21, v29, v31
	;; [unrolled: 1-line block ×6, first 2 shown]
	s_barrier
	buffer_gl0_inv
	s_cbranch_vccz .LBB515_18
.LBB515_8:                              ; =>This Inner Loop Header: Depth=1
	s_mov_b32 s17, s8
	s_mov_b32 s9, 0
	s_and_saveexec_b32 s16, s0
	s_cbranch_execnz .LBB515_16
; %bb.9:                                ;   in Loop: Header=BB515_8 Depth=1
	s_or_b32 exec_lo, exec_lo, s16
	s_and_saveexec_b32 s16, s17
	s_xor_b32 s16, exec_lo, s16
	s_cbranch_execnz .LBB515_17
.LBB515_10:                             ;   in Loop: Header=BB515_8 Depth=1
	s_or_b32 exec_lo, exec_lo, s16
	s_and_saveexec_b32 s16, s9
	s_cbranch_execz .LBB515_12
.LBB515_11:                             ;   in Loop: Header=BB515_8 Depth=1
	v_mul_lo_u32 v2, s19, v4
	v_mul_lo_u32 v26, s18, v5
	v_mad_u64_u32 v[24:25], null, s18, v4, 0
	v_add3_u32 v25, v25, v26, v2
	v_lshlrev_b64 v[24:25], 3, v[24:25]
	v_add_co_u32 v24, vcc_lo, v14, v24
	v_add_co_ci_u32_e64 v25, null, v15, v25, vcc_lo
	flat_load_dwordx2 v[24:25], v[24:25]
	s_waitcnt vmcnt(0) lgkmcnt(0)
	ds_write_b64 v10, v[24:25]
.LBB515_12:                             ;   in Loop: Header=BB515_8 Depth=1
	s_or_b32 exec_lo, exec_lo, s16
	v_add_nc_u32_e32 v2, s4, v6
	v_cmp_le_u64_e32 vcc_lo, s[12:13], v[2:3]
	s_or_b32 s9, vcc_lo, s1
	s_and_saveexec_b32 s16, s9
	s_xor_b32 s9, exec_lo, s16
; %bb.13:                               ;   in Loop: Header=BB515_8 Depth=1
	ds_write_b32 v11, v3
; %bb.14:                               ;   in Loop: Header=BB515_8 Depth=1
	s_or_saveexec_b32 s9, s9
	v_mov_b32_e32 v24, 0
	s_xor_b32 exec_lo, exec_lo, s9
	s_cbranch_execz .LBB515_7
; %bb.15:                               ;   in Loop: Header=BB515_8 Depth=1
	v_mad_u64_u32 v[24:25], null, s24, v2, 0
	v_mad_u64_u32 v[25:26], null, s25, v2, v[25:26]
	v_lshlrev_b64 v[24:25], 3, v[24:25]
	v_add_co_u32 v24, vcc_lo, v12, v24
	v_add_co_ci_u32_e64 v25, null, v13, v25, vcc_lo
	flat_load_dwordx2 v[25:26], v[24:25]
	s_waitcnt vmcnt(0) lgkmcnt(0)
	v_xor_b32_e32 v24, 0x80000000, v26
	ds_write_b32 v11, v25
	s_branch .LBB515_7
.LBB515_16:                             ;   in Loop: Header=BB515_8 Depth=1
	v_add_nc_u32_e32 v2, s4, v9
	v_mov_b32_e32 v5, v3
	s_andn2_b32 s17, s8, exec_lo
	s_mov_b32 s9, exec_lo
	v_cmp_le_u64_e32 vcc_lo, s[12:13], v[2:3]
	v_mov_b32_e32 v4, v2
	s_and_b32 s20, vcc_lo, exec_lo
	s_or_b32 s17, s17, s20
	s_or_b32 exec_lo, exec_lo, s16
	s_and_saveexec_b32 s16, s17
	s_xor_b32 s16, exec_lo, s16
	s_cbranch_execz .LBB515_10
.LBB515_17:                             ;   in Loop: Header=BB515_8 Depth=1
	v_mov_b32_e32 v2, v3
	s_andn2_b32 s9, s9, exec_lo
	ds_write_b64 v10, v[2:3]
	s_or_b32 exec_lo, exec_lo, s16
	s_and_saveexec_b32 s16, s9
	s_cbranch_execnz .LBB515_11
	s_branch .LBB515_12
.LBB515_18:
	v_add_nc_u32_e32 v9, s7, v1
	s_lshl_b64 s[0:1], s[42:43], 3
	v_add_nc_u32_e32 v0, s6, v0
	v_cmp_neq_f32_e64 s5, s10, 0
	s_waitcnt lgkmcnt(0)
	s_add_u32 s4, s2, s0
	v_ashrrev_i32_e32 v3, 31, v9
	v_mul_lo_u32 v4, s41, v9
	v_mad_u64_u32 v[1:2], null, s40, v9, 0
	s_addc_u32 s3, s3, s1
	v_mul_lo_u32 v3, s40, v3
	s_xor_b32 s2, s29, -1
	v_cmp_le_i32_e32 vcc_lo, v9, v0
	v_cmp_gt_i32_e64 s0, s28, v0
	s_or_b32 s2, s5, s2
	v_cndmask_b32_e64 v8, 0, 1, s2
	s_and_b32 s5, vcc_lo, s0
	v_add3_u32 v2, v2, v3, v4
	v_lshlrev_b64 v[2:3], 3, v[1:2]
	v_ashrrev_i32_e32 v1, 31, v0
	v_add_co_u32 v6, s1, s4, v2
	v_add_co_ci_u32_e64 v7, null, s3, v3, s1
	s_and_saveexec_b32 s1, s5
	s_cbranch_execz .LBB515_22
; %bb.19:
	v_lshlrev_b64 v[4:5], 3, v[0:1]
	v_mul_f32_e32 v2, s15, v22
	v_mul_f32_e32 v3, s14, v22
	v_fma_f32 v2, v23, s14, -v2
	v_add_co_u32 v4, vcc_lo, v6, v4
	v_fmac_f32_e32 v3, s15, v23
	v_add_co_ci_u32_e64 v5, null, v7, v5, vcc_lo
	s_andn2_b32 vcc_lo, exec_lo, s2
	s_cbranch_vccnz .LBB515_21
; %bb.20:
	flat_load_dwordx2 v[10:11], v[4:5]
	s_waitcnt vmcnt(0) lgkmcnt(0)
	v_mul_f32_e32 v12, s11, v11
	v_mul_f32_e32 v11, s10, v11
	v_fma_f32 v12, v10, s10, -v12
	v_fmac_f32_e32 v11, s11, v10
	v_add_f32_e32 v2, v2, v12
	v_add_f32_e32 v3, v3, v11
.LBB515_21:
	flat_store_dwordx2 v[4:5], v[2:3]
.LBB515_22:
	s_or_b32 exec_lo, exec_lo, s1
	v_add_nc_u32_e32 v2, 16, v0
	v_cmp_le_i32_e32 vcc_lo, v9, v2
	v_cmp_gt_i32_e64 s1, s28, v2
	v_ashrrev_i32_e32 v3, 31, v2
	s_and_b32 s2, vcc_lo, s1
	s_and_saveexec_b32 s5, s2
	s_cbranch_execz .LBB515_26
; %bb.23:
	v_lshlrev_b64 v[10:11], 3, v[2:3]
	v_mul_f32_e32 v4, s15, v21
	v_mul_f32_e32 v5, s14, v21
	v_cmp_ne_u32_e32 vcc_lo, 1, v8
	v_fma_f32 v4, v20, s14, -v4
	v_add_co_u32 v6, s2, v6, v10
	v_fmac_f32_e32 v5, s15, v20
	v_add_co_ci_u32_e64 v7, null, v7, v11, s2
	s_cbranch_vccnz .LBB515_25
; %bb.24:
	flat_load_dwordx2 v[10:11], v[6:7]
	s_waitcnt vmcnt(0) lgkmcnt(0)
	v_mul_f32_e32 v12, s11, v11
	v_mul_f32_e32 v11, s10, v11
	v_fma_f32 v12, v10, s10, -v12
	v_fmac_f32_e32 v11, s11, v10
	v_add_f32_e32 v4, v4, v12
	v_add_f32_e32 v5, v5, v11
.LBB515_25:
	flat_store_dwordx2 v[6:7], v[4:5]
.LBB515_26:
	s_or_b32 exec_lo, exec_lo, s5
	v_add_nc_u32_e32 v9, 16, v9
	v_ashrrev_i32_e32 v6, 31, v9
	v_mul_lo_u32 v7, s41, v9
	v_mad_u64_u32 v[4:5], null, s40, v9, 0
	v_cmp_le_i32_e32 vcc_lo, v9, v0
	v_mul_lo_u32 v6, s40, v6
	s_and_b32 s0, vcc_lo, s0
	v_add3_u32 v5, v5, v6, v7
	v_lshlrev_b64 v[4:5], 3, v[4:5]
	v_add_co_u32 v6, s2, s4, v4
	v_add_co_ci_u32_e64 v7, null, s3, v5, s2
	s_and_saveexec_b32 s2, s0
	s_cbranch_execz .LBB515_30
; %bb.27:
	v_lshlrev_b64 v[0:1], 3, v[0:1]
	v_mul_f32_e32 v4, s15, v19
	v_mul_f32_e32 v5, s14, v19
	v_cmp_ne_u32_e32 vcc_lo, 1, v8
	v_fma_f32 v4, v18, s14, -v4
	v_add_co_u32 v0, s0, v6, v0
	v_fmac_f32_e32 v5, s15, v18
	v_add_co_ci_u32_e64 v1, null, v7, v1, s0
	s_cbranch_vccnz .LBB515_29
; %bb.28:
	flat_load_dwordx2 v[10:11], v[0:1]
	s_waitcnt vmcnt(0) lgkmcnt(0)
	v_mul_f32_e32 v12, s11, v11
	v_mul_f32_e32 v11, s10, v11
	v_fma_f32 v12, v10, s10, -v12
	v_fmac_f32_e32 v11, s11, v10
	v_add_f32_e32 v4, v4, v12
	v_add_f32_e32 v5, v5, v11
.LBB515_29:
	flat_store_dwordx2 v[0:1], v[4:5]
.LBB515_30:
	s_or_b32 exec_lo, exec_lo, s2
	v_cmp_le_i32_e32 vcc_lo, v9, v2
	s_and_b32 s0, vcc_lo, s1
	s_and_saveexec_b32 s1, s0
	s_cbranch_execz .LBB515_34
; %bb.31:
	v_lshlrev_b64 v[2:3], 3, v[2:3]
	v_mul_f32_e32 v0, s15, v17
	v_mul_f32_e32 v1, s14, v17
	v_cmp_ne_u32_e32 vcc_lo, 1, v8
	v_fma_f32 v0, v16, s14, -v0
	v_add_co_u32 v2, s0, v6, v2
	v_fmac_f32_e32 v1, s15, v16
	v_add_co_ci_u32_e64 v3, null, v7, v3, s0
	s_cbranch_vccnz .LBB515_33
; %bb.32:
	flat_load_dwordx2 v[4:5], v[2:3]
	s_waitcnt vmcnt(0) lgkmcnt(0)
	v_mul_f32_e32 v6, s11, v5
	v_mul_f32_e32 v5, s10, v5
	v_fma_f32 v6, v4, s10, -v6
	v_fmac_f32_e32 v5, s11, v4
	v_add_f32_e32 v0, v0, v6
	v_add_f32_e32 v1, v1, v5
.LBB515_33:
	flat_store_dwordx2 v[2:3], v[0:1]
.LBB515_34:
	s_endpgm
	.section	.rodata,"a",@progbits
	.p2align	6, 0x0
	.amdhsa_kernel _ZL29rocblas_internal_gemmt_kernelIlLi16ELi32ELi8ELc78ELc67ELc76ELb0ELb1E19rocblas_complex_numIfEPKS1_PKS3_PKPS1_EviT_T9_T10_S9_lSB_S9_lSA_T11_S9_li
		.amdhsa_group_segment_fixed_size 4096
		.amdhsa_private_segment_fixed_size 0
		.amdhsa_kernarg_size 108
		.amdhsa_user_sgpr_count 6
		.amdhsa_user_sgpr_private_segment_buffer 1
		.amdhsa_user_sgpr_dispatch_ptr 0
		.amdhsa_user_sgpr_queue_ptr 0
		.amdhsa_user_sgpr_kernarg_segment_ptr 1
		.amdhsa_user_sgpr_dispatch_id 0
		.amdhsa_user_sgpr_flat_scratch_init 0
		.amdhsa_user_sgpr_private_segment_size 0
		.amdhsa_wavefront_size32 1
		.amdhsa_uses_dynamic_stack 0
		.amdhsa_system_sgpr_private_segment_wavefront_offset 0
		.amdhsa_system_sgpr_workgroup_id_x 1
		.amdhsa_system_sgpr_workgroup_id_y 1
		.amdhsa_system_sgpr_workgroup_id_z 1
		.amdhsa_system_sgpr_workgroup_info 0
		.amdhsa_system_vgpr_workitem_id 1
		.amdhsa_next_free_vgpr 61
		.amdhsa_next_free_sgpr 44
		.amdhsa_reserve_vcc 1
		.amdhsa_reserve_flat_scratch 0
		.amdhsa_float_round_mode_32 0
		.amdhsa_float_round_mode_16_64 0
		.amdhsa_float_denorm_mode_32 3
		.amdhsa_float_denorm_mode_16_64 3
		.amdhsa_dx10_clamp 1
		.amdhsa_ieee_mode 1
		.amdhsa_fp16_overflow 0
		.amdhsa_workgroup_processor_mode 1
		.amdhsa_memory_ordered 1
		.amdhsa_forward_progress 1
		.amdhsa_shared_vgpr_count 0
		.amdhsa_exception_fp_ieee_invalid_op 0
		.amdhsa_exception_fp_denorm_src 0
		.amdhsa_exception_fp_ieee_div_zero 0
		.amdhsa_exception_fp_ieee_overflow 0
		.amdhsa_exception_fp_ieee_underflow 0
		.amdhsa_exception_fp_ieee_inexact 0
		.amdhsa_exception_int_div_zero 0
	.end_amdhsa_kernel
	.section	.text._ZL29rocblas_internal_gemmt_kernelIlLi16ELi32ELi8ELc78ELc67ELc76ELb0ELb1E19rocblas_complex_numIfEPKS1_PKS3_PKPS1_EviT_T9_T10_S9_lSB_S9_lSA_T11_S9_li,"axG",@progbits,_ZL29rocblas_internal_gemmt_kernelIlLi16ELi32ELi8ELc78ELc67ELc76ELb0ELb1E19rocblas_complex_numIfEPKS1_PKS3_PKPS1_EviT_T9_T10_S9_lSB_S9_lSA_T11_S9_li,comdat
.Lfunc_end515:
	.size	_ZL29rocblas_internal_gemmt_kernelIlLi16ELi32ELi8ELc78ELc67ELc76ELb0ELb1E19rocblas_complex_numIfEPKS1_PKS3_PKPS1_EviT_T9_T10_S9_lSB_S9_lSA_T11_S9_li, .Lfunc_end515-_ZL29rocblas_internal_gemmt_kernelIlLi16ELi32ELi8ELc78ELc67ELc76ELb0ELb1E19rocblas_complex_numIfEPKS1_PKS3_PKPS1_EviT_T9_T10_S9_lSB_S9_lSA_T11_S9_li
                                        ; -- End function
	.set _ZL29rocblas_internal_gemmt_kernelIlLi16ELi32ELi8ELc78ELc67ELc76ELb0ELb1E19rocblas_complex_numIfEPKS1_PKS3_PKPS1_EviT_T9_T10_S9_lSB_S9_lSA_T11_S9_li.num_vgpr, 61
	.set _ZL29rocblas_internal_gemmt_kernelIlLi16ELi32ELi8ELc78ELc67ELc76ELb0ELb1E19rocblas_complex_numIfEPKS1_PKS3_PKPS1_EviT_T9_T10_S9_lSB_S9_lSA_T11_S9_li.num_agpr, 0
	.set _ZL29rocblas_internal_gemmt_kernelIlLi16ELi32ELi8ELc78ELc67ELc76ELb0ELb1E19rocblas_complex_numIfEPKS1_PKS3_PKPS1_EviT_T9_T10_S9_lSB_S9_lSA_T11_S9_li.numbered_sgpr, 44
	.set _ZL29rocblas_internal_gemmt_kernelIlLi16ELi32ELi8ELc78ELc67ELc76ELb0ELb1E19rocblas_complex_numIfEPKS1_PKS3_PKPS1_EviT_T9_T10_S9_lSB_S9_lSA_T11_S9_li.num_named_barrier, 0
	.set _ZL29rocblas_internal_gemmt_kernelIlLi16ELi32ELi8ELc78ELc67ELc76ELb0ELb1E19rocblas_complex_numIfEPKS1_PKS3_PKPS1_EviT_T9_T10_S9_lSB_S9_lSA_T11_S9_li.private_seg_size, 0
	.set _ZL29rocblas_internal_gemmt_kernelIlLi16ELi32ELi8ELc78ELc67ELc76ELb0ELb1E19rocblas_complex_numIfEPKS1_PKS3_PKPS1_EviT_T9_T10_S9_lSB_S9_lSA_T11_S9_li.uses_vcc, 1
	.set _ZL29rocblas_internal_gemmt_kernelIlLi16ELi32ELi8ELc78ELc67ELc76ELb0ELb1E19rocblas_complex_numIfEPKS1_PKS3_PKPS1_EviT_T9_T10_S9_lSB_S9_lSA_T11_S9_li.uses_flat_scratch, 0
	.set _ZL29rocblas_internal_gemmt_kernelIlLi16ELi32ELi8ELc78ELc67ELc76ELb0ELb1E19rocblas_complex_numIfEPKS1_PKS3_PKPS1_EviT_T9_T10_S9_lSB_S9_lSA_T11_S9_li.has_dyn_sized_stack, 0
	.set _ZL29rocblas_internal_gemmt_kernelIlLi16ELi32ELi8ELc78ELc67ELc76ELb0ELb1E19rocblas_complex_numIfEPKS1_PKS3_PKPS1_EviT_T9_T10_S9_lSB_S9_lSA_T11_S9_li.has_recursion, 0
	.set _ZL29rocblas_internal_gemmt_kernelIlLi16ELi32ELi8ELc78ELc67ELc76ELb0ELb1E19rocblas_complex_numIfEPKS1_PKS3_PKPS1_EviT_T9_T10_S9_lSB_S9_lSA_T11_S9_li.has_indirect_call, 0
	.section	.AMDGPU.csdata,"",@progbits
; Kernel info:
; codeLenInByte = 2636
; TotalNumSgprs: 46
; NumVgprs: 61
; ScratchSize: 0
; MemoryBound: 0
; FloatMode: 240
; IeeeMode: 1
; LDSByteSize: 4096 bytes/workgroup (compile time only)
; SGPRBlocks: 0
; VGPRBlocks: 7
; NumSGPRsForWavesPerEU: 46
; NumVGPRsForWavesPerEU: 61
; Occupancy: 16
; WaveLimiterHint : 1
; COMPUTE_PGM_RSRC2:SCRATCH_EN: 0
; COMPUTE_PGM_RSRC2:USER_SGPR: 6
; COMPUTE_PGM_RSRC2:TRAP_HANDLER: 0
; COMPUTE_PGM_RSRC2:TGID_X_EN: 1
; COMPUTE_PGM_RSRC2:TGID_Y_EN: 1
; COMPUTE_PGM_RSRC2:TGID_Z_EN: 1
; COMPUTE_PGM_RSRC2:TIDIG_COMP_CNT: 1
	.section	.text._ZL29rocblas_internal_gemmt_kernelIlLi16ELi32ELi8ELc84ELc78ELc76ELb0ELb0E19rocblas_complex_numIfEPKS1_PKS3_PKPS1_EviT_T9_T10_S9_lSB_S9_lSA_T11_S9_li,"axG",@progbits,_ZL29rocblas_internal_gemmt_kernelIlLi16ELi32ELi8ELc84ELc78ELc76ELb0ELb0E19rocblas_complex_numIfEPKS1_PKS3_PKPS1_EviT_T9_T10_S9_lSB_S9_lSA_T11_S9_li,comdat
	.globl	_ZL29rocblas_internal_gemmt_kernelIlLi16ELi32ELi8ELc84ELc78ELc76ELb0ELb0E19rocblas_complex_numIfEPKS1_PKS3_PKPS1_EviT_T9_T10_S9_lSB_S9_lSA_T11_S9_li ; -- Begin function _ZL29rocblas_internal_gemmt_kernelIlLi16ELi32ELi8ELc84ELc78ELc76ELb0ELb0E19rocblas_complex_numIfEPKS1_PKS3_PKPS1_EviT_T9_T10_S9_lSB_S9_lSA_T11_S9_li
	.p2align	8
	.type	_ZL29rocblas_internal_gemmt_kernelIlLi16ELi32ELi8ELc84ELc78ELc76ELb0ELb0E19rocblas_complex_numIfEPKS1_PKS3_PKPS1_EviT_T9_T10_S9_lSB_S9_lSA_T11_S9_li,@function
_ZL29rocblas_internal_gemmt_kernelIlLi16ELi32ELi8ELc84ELc78ELc76ELb0ELb0E19rocblas_complex_numIfEPKS1_PKS3_PKPS1_EviT_T9_T10_S9_lSB_S9_lSA_T11_S9_li: ; @_ZL29rocblas_internal_gemmt_kernelIlLi16ELi32ELi8ELc84ELc78ELc76ELb0ELb0E19rocblas_complex_numIfEPKS1_PKS3_PKPS1_EviT_T9_T10_S9_lSB_S9_lSA_T11_S9_li
; %bb.0:
	s_clause 0x1
	s_load_dwordx8 s[36:43], s[4:5], 0x48
	s_load_dwordx16 s[12:27], s[4:5], 0x8
	s_waitcnt lgkmcnt(0)
	s_load_dwordx2 s[10:11], s[36:37], 0x0
	s_load_dwordx2 s[14:15], s[14:15], 0x0
	s_waitcnt lgkmcnt(0)
	s_and_b32 s0, s11, 0x7fffffff
	v_cmp_eq_f32_e64 s1, s10, 1.0
	s_cmp_eq_u32 s0, 0
	s_mov_b32 s0, 0
	s_cselect_b32 s29, -1, 0
	s_and_b32 s1, s1, s29
	s_andn2_b32 vcc_lo, exec_lo, s1
	s_mov_b32 s1, -1
	s_cbranch_vccnz .LBB516_4
; %bb.1:
	s_cmp_lg_u64 s[12:13], 0
	s_cbranch_scc0 .LBB516_3
; %bb.2:
	v_cmp_neq_f32_e64 s0, s14, 0
	v_cmp_neq_f32_e64 s1, s15, 0
	s_or_b32 s0, s0, s1
.LBB516_3:
	s_mov_b32 s1, s0
.LBB516_4:
	s_and_b32 vcc_lo, exec_lo, s1
	s_cbranch_vccz .LBB516_34
; %bb.5:
	s_mov_b32 s9, 0
	s_load_dword s28, s[4:5], 0x0
	s_lshl_b64 s[0:1], s[8:9], 3
	v_cmp_eq_f32_e64 s4, s14, 0
	s_add_u32 s2, s38, s0
	s_addc_u32 s3, s39, s1
	v_cmp_eq_f32_e64 s5, s15, 0
	s_load_dwordx2 s[2:3], s[2:3], 0x0
	v_cmp_lt_i64_e64 s8, s[12:13], 1
	v_mov_b32_e32 v23, 0
	v_mov_b32_e32 v22, 0
	s_and_b32 s4, s4, s5
	v_mov_b32_e32 v20, 0
	v_mov_b32_e32 v21, 0
	;; [unrolled: 1-line block ×6, first 2 shown]
	s_or_b32 s4, s4, s8
	s_lshl_b32 s6, s6, 5
	s_and_b32 vcc_lo, exec_lo, s4
	s_lshl_b32 s7, s7, 5
	s_cbranch_vccnz .LBB516_18
; %bb.6:
	s_add_u32 s4, s22, s0
	s_addc_u32 s5, s23, s1
	s_lshl_b64 s[8:9], s[26:27], 3
	s_load_dwordx2 s[4:5], s[4:5], 0x0
	v_lshl_add_u32 v2, v1, 4, v0
	v_and_b32_e32 v6, 7, v0
	v_lshlrev_b32_e32 v7, 3, v0
	v_lshl_add_u32 v8, v1, 6, 0x800
	v_mov_b32_e32 v3, 0
	v_lshrrev_b32_e32 v10, 3, v2
	v_and_b32_e32 v12, 31, v2
	v_lshlrev_b32_e32 v13, 3, v6
	v_mov_b32_e32 v17, 0
	v_mov_b32_e32 v16, 0
	v_add_nc_u32_e32 v11, s7, v10
	v_or_b32_e32 v14, s6, v12
	v_lshl_or_b32 v24, v10, 6, v13
	v_mov_b32_e32 v19, 0
	v_mov_b32_e32 v18, 0
	v_ashrrev_i32_e32 v9, 31, v11
	v_mul_lo_u32 v15, s25, v11
	v_mad_u64_u32 v[4:5], null, s24, v11, 0
	s_waitcnt lgkmcnt(0)
	s_add_u32 s22, s4, s8
	s_addc_u32 s9, s5, s9
	s_add_u32 s0, s16, s0
	s_addc_u32 s1, s17, s1
	v_mul_lo_u32 v23, s24, v9
	s_load_dwordx2 s[0:1], s[0:1], 0x0
	v_lshrrev_b32_e32 v9, 5, v2
	v_lshlrev_b32_e32 v2, 3, v12
	v_mul_lo_u32 v10, s19, v14
	v_mad_u64_u32 v[12:13], null, s18, v14, 0
	s_lshl_b64 s[4:5], s[20:21], 3
	v_add3_u32 v5, v5, v23, v15
	v_cmp_le_i32_e64 s8, s28, v14
	v_cmp_gt_i32_e32 vcc_lo, s28, v11
	v_mov_b32_e32 v21, 0
	v_mov_b32_e32 v20, 0
	v_lshlrev_b64 v[4:5], 3, v[4:5]
	v_mov_b32_e32 v22, 0
	v_add_nc_u32_e32 v11, 0x800, v24
	v_mov_b32_e32 v23, 0
	s_waitcnt lgkmcnt(0)
	s_add_u32 s4, s0, s4
	s_addc_u32 s5, s1, s5
	s_ashr_i32 s1, s6, 31
	v_cmp_gt_i32_e64 s0, s28, v14
	s_mul_i32 s1, s18, s1
	v_add3_u32 v13, v13, s1, v10
	v_lshl_or_b32 v10, v9, 8, v2
	v_lshlrev_b64 v[14:15], 3, v[12:13]
	v_add_co_u32 v12, s1, s22, v4
	v_add_co_ci_u32_e64 v13, null, s9, v5, s1
                                        ; implicit-def: $vgpr4_vgpr5
	v_add_co_u32 v14, s1, s4, v14
	v_add_co_ci_u32_e64 v15, null, s5, v15, s1
	s_mov_b64 s[4:5], 0
	s_xor_b32 s1, vcc_lo, -1
	s_branch .LBB516_8
.LBB516_7:                              ;   in Loop: Header=BB516_8 Depth=1
	s_or_b32 exec_lo, exec_lo, s9
	s_waitcnt lgkmcnt(0)
	s_barrier
	buffer_gl0_inv
	ds_read_b128 v[24:27], v8
	ds_read2_b64 v[28:31], v7 offset1:16
	ds_read_b128 v[32:35], v8 offset:1024
	ds_read_b128 v[36:39], v8 offset:16
	;; [unrolled: 1-line block ×4, first 2 shown]
	ds_read2_b64 v[48:51], v7 offset0:32 offset1:48
	ds_read_b128 v[52:55], v8 offset:1040
	s_add_u32 s4, s4, 8
	s_addc_u32 s5, s5, 0
	v_cmp_gt_i64_e64 s9, s[12:13], s[4:5]
	s_and_b32 vcc_lo, exec_lo, s9
	s_waitcnt lgkmcnt(6)
	v_mul_f32_e32 v2, v25, v29
	v_mul_f32_e32 v56, v24, v29
	;; [unrolled: 1-line block ×4, first 2 shown]
	s_waitcnt lgkmcnt(5)
	v_mul_f32_e32 v59, v33, v29
	v_mul_f32_e32 v29, v32, v29
	;; [unrolled: 1-line block ×3, first 2 shown]
	v_fma_f32 v2, v24, v28, -v2
	v_fmac_f32_e32 v56, v25, v28
	v_fma_f32 v24, v24, v30, -v57
	v_fmac_f32_e32 v58, v25, v30
	;; [unrolled: 2-line block ×3, first 2 shown]
	v_mul_f32_e32 v31, v32, v31
	v_fma_f32 v28, v32, v30, -v60
	v_add_f32_e32 v2, v23, v2
	v_add_f32_e32 v23, v20, v24
	;; [unrolled: 1-line block ×5, first 2 shown]
	s_waitcnt lgkmcnt(1)
	v_mul_f32_e32 v32, v27, v49
	ds_read2_b64 v[18:21], v7 offset0:64 offset1:80
	v_fmac_f32_e32 v31, v33, v30
	v_add_f32_e32 v16, v16, v28
	v_mul_f32_e32 v28, v26, v49
	v_fma_f32 v30, v26, v48, -v32
	v_mul_f32_e32 v32, v27, v51
	v_add_f32_e32 v22, v22, v56
	v_add_f32_e32 v17, v17, v31
	v_fmac_f32_e32 v28, v27, v48
	v_mul_f32_e32 v31, v26, v51
	v_add_f32_e32 v2, v2, v30
	v_fma_f32 v26, v26, v50, -v32
	v_mul_f32_e32 v30, v35, v49
	v_add_f32_e32 v28, v22, v28
	v_fmac_f32_e32 v31, v27, v50
	v_mul_f32_e32 v22, v34, v49
	v_add_f32_e32 v26, v23, v26
	v_fma_f32 v23, v34, v48, -v30
	v_mul_f32_e32 v27, v35, v51
	v_add_f32_e32 v30, v24, v31
	v_fmac_f32_e32 v22, v35, v48
	v_mul_f32_e32 v31, v34, v51
	v_add_f32_e32 v32, v25, v23
	v_fma_f32 v23, v34, v50, -v27
	s_waitcnt lgkmcnt(0)
	v_mul_f32_e32 v24, v37, v19
	v_add_f32_e32 v27, v29, v22
	v_fmac_f32_e32 v31, v35, v50
	v_mul_f32_e32 v29, v36, v19
	v_add_f32_e32 v16, v16, v23
	v_fma_f32 v33, v36, v18, -v24
	v_mul_f32_e32 v34, v37, v21
	ds_read2_b64 v[22:25], v7 offset0:96 offset1:112
	v_fmac_f32_e32 v29, v37, v18
	v_add_f32_e32 v31, v17, v31
	v_add_f32_e32 v2, v2, v33
	v_mul_f32_e32 v17, v36, v21
	v_fma_f32 v33, v36, v20, -v34
	v_add_f32_e32 v28, v28, v29
	v_mul_f32_e32 v29, v53, v19
	v_mul_f32_e32 v19, v52, v19
	v_fmac_f32_e32 v17, v37, v20
	v_add_f32_e32 v26, v26, v33
	v_mul_f32_e32 v33, v53, v21
	v_mul_f32_e32 v21, v52, v21
	v_fmac_f32_e32 v19, v53, v18
	v_add_f32_e32 v30, v30, v17
	v_fma_f32 v29, v52, v18, -v29
	v_fma_f32 v17, v52, v20, -v33
	v_fmac_f32_e32 v21, v53, v20
	v_add_f32_e32 v33, v27, v19
	s_waitcnt lgkmcnt(0)
	v_mul_f32_e32 v20, v39, v23
	v_add_f32_e32 v34, v16, v17
	ds_read2_b64 v[16:19], v7 offset0:128 offset1:144
	v_add_f32_e32 v32, v32, v29
	v_mul_f32_e32 v27, v38, v23
	v_mul_f32_e32 v29, v39, v25
	v_fma_f32 v20, v38, v22, -v20
	v_add_f32_e32 v31, v31, v21
	v_mul_f32_e32 v21, v38, v25
	v_fmac_f32_e32 v27, v39, v22
	v_fma_f32 v29, v38, v24, -v29
	v_add_f32_e32 v2, v2, v20
	v_mul_f32_e32 v20, v55, v23
	v_fmac_f32_e32 v21, v39, v24
	v_add_f32_e32 v35, v28, v27
	v_add_f32_e32 v36, v26, v29
	v_mul_f32_e32 v23, v54, v23
	v_fma_f32 v20, v54, v22, -v20
	v_mul_f32_e32 v37, v55, v25
	ds_read_b128 v[26:29], v8 offset:1056
	v_add_f32_e32 v38, v30, v21
	v_fmac_f32_e32 v23, v55, v22
	v_mul_f32_e32 v25, v54, v25
	v_fma_f32 v21, v54, v24, -v37
	v_add_f32_e32 v37, v32, v20
	s_waitcnt lgkmcnt(1)
	v_mul_f32_e32 v20, v41, v17
	v_add_f32_e32 v39, v33, v23
	v_fmac_f32_e32 v25, v55, v24
	v_add_f32_e32 v24, v34, v21
	v_mul_f32_e32 v32, v41, v19
	v_fma_f32 v30, v40, v16, -v20
	ds_read2_b64 v[20:23], v7 offset0:160 offset1:176
	v_mul_f32_e32 v34, v40, v17
	v_add_f32_e32 v25, v31, v25
	v_fma_f32 v48, v40, v18, -v32
	v_mul_f32_e32 v40, v40, v19
	v_add_f32_e32 v2, v2, v30
	v_fmac_f32_e32 v34, v41, v16
	ds_read_b128 v[30:33], v8 offset:1072
	s_waitcnt lgkmcnt(2)
	v_mul_f32_e32 v49, v27, v17
	v_mul_f32_e32 v17, v26, v17
	v_fmac_f32_e32 v40, v41, v18
	v_mul_f32_e32 v41, v27, v19
	v_add_f32_e32 v34, v35, v34
	v_add_f32_e32 v35, v36, v48
	v_fma_f32 v36, v26, v16, -v49
	v_fmac_f32_e32 v17, v27, v16
	v_add_f32_e32 v38, v38, v40
	v_mul_f32_e32 v40, v26, v19
	v_fma_f32 v16, v26, v18, -v41
	v_add_f32_e32 v36, v37, v36
	v_add_f32_e32 v26, v39, v17
	s_waitcnt lgkmcnt(1)
	v_mul_f32_e32 v37, v43, v21
	v_fmac_f32_e32 v40, v27, v18
	v_add_f32_e32 v24, v24, v16
	ds_read2_b64 v[16:19], v7 offset0:192 offset1:208
	v_mul_f32_e32 v27, v42, v21
	v_fma_f32 v37, v42, v20, -v37
	v_mul_f32_e32 v39, v43, v23
	v_add_f32_e32 v40, v25, v40
	v_mul_f32_e32 v25, v42, v23
	v_fmac_f32_e32 v27, v43, v20
	v_add_f32_e32 v2, v2, v37
	v_fma_f32 v37, v42, v22, -v39
	v_fmac_f32_e32 v25, v43, v22
	v_add_f32_e32 v34, v34, v27
	v_mul_f32_e32 v27, v29, v21
	v_mul_f32_e32 v21, v28, v21
	v_add_f32_e32 v35, v35, v37
	v_mul_f32_e32 v37, v29, v23
	v_add_f32_e32 v38, v38, v25
	v_fma_f32 v27, v28, v20, -v27
	v_fmac_f32_e32 v21, v29, v20
	v_mul_f32_e32 v20, v28, v23
	v_fma_f32 v23, v28, v22, -v37
	s_waitcnt lgkmcnt(0)
	v_mul_f32_e32 v25, v45, v17
	v_add_f32_e32 v28, v36, v27
	v_add_f32_e32 v21, v26, v21
	v_fmac_f32_e32 v20, v29, v22
	v_add_f32_e32 v22, v24, v23
	v_fma_f32 v29, v44, v16, -v25
	ds_read2_b64 v[24:27], v7 offset0:224 offset1:240
	v_mul_f32_e32 v23, v44, v17
	v_mul_f32_e32 v37, v31, v17
	;; [unrolled: 1-line block ×4, first 2 shown]
	v_add_f32_e32 v2, v2, v29
	v_fmac_f32_e32 v23, v45, v16
	v_mul_f32_e32 v29, v44, v19
	v_fmac_f32_e32 v17, v31, v16
	v_fma_f32 v36, v44, v18, -v36
	v_add_f32_e32 v20, v40, v20
	v_add_f32_e32 v34, v34, v23
	v_fma_f32 v23, v30, v16, -v37
	v_mul_f32_e32 v16, v31, v19
	v_mul_f32_e32 v19, v30, v19
	v_fmac_f32_e32 v29, v45, v18
	v_add_f32_e32 v17, v21, v17
	v_add_f32_e32 v35, v35, v36
	v_fma_f32 v16, v30, v18, -v16
	v_fmac_f32_e32 v19, v31, v18
	s_waitcnt lgkmcnt(0)
	v_mul_f32_e32 v21, v47, v25
	v_mul_f32_e32 v18, v47, v27
	v_add_f32_e32 v28, v28, v23
	v_mul_f32_e32 v30, v46, v25
	v_mul_f32_e32 v31, v46, v27
	v_fma_f32 v21, v46, v24, -v21
	v_fma_f32 v18, v46, v26, -v18
	v_add_f32_e32 v36, v20, v19
	v_mul_f32_e32 v19, v32, v25
	v_add_f32_e32 v29, v38, v29
	v_add_f32_e32 v23, v2, v21
	;; [unrolled: 1-line block ×3, first 2 shown]
	v_mul_f32_e32 v2, v33, v25
	v_mul_f32_e32 v18, v33, v27
	;; [unrolled: 1-line block ×3, first 2 shown]
	v_add_f32_e32 v16, v22, v16
	v_fmac_f32_e32 v30, v47, v24
	v_fmac_f32_e32 v31, v47, v26
	v_fma_f32 v2, v32, v24, -v2
	v_fmac_f32_e32 v19, v33, v24
	v_fma_f32 v24, v32, v26, -v18
	v_fmac_f32_e32 v25, v33, v26
	v_add_f32_e32 v22, v34, v30
	v_add_f32_e32 v21, v29, v31
	v_add_f32_e32 v18, v28, v2
	v_add_f32_e32 v19, v17, v19
	v_add_f32_e32 v16, v16, v24
	v_add_f32_e32 v17, v36, v25
	s_barrier
	buffer_gl0_inv
	s_cbranch_vccz .LBB516_18
.LBB516_8:                              ; =>This Inner Loop Header: Depth=1
	s_mov_b32 s17, s8
	s_mov_b32 s9, 0
	s_and_saveexec_b32 s16, s0
	s_cbranch_execnz .LBB516_16
; %bb.9:                                ;   in Loop: Header=BB516_8 Depth=1
	s_or_b32 exec_lo, exec_lo, s16
	s_and_saveexec_b32 s16, s17
	s_xor_b32 s16, exec_lo, s16
	s_cbranch_execnz .LBB516_17
.LBB516_10:                             ;   in Loop: Header=BB516_8 Depth=1
	s_or_b32 exec_lo, exec_lo, s16
	s_and_saveexec_b32 s16, s9
	s_cbranch_execz .LBB516_12
.LBB516_11:                             ;   in Loop: Header=BB516_8 Depth=1
	v_lshlrev_b64 v[24:25], 3, v[4:5]
	v_add_co_u32 v24, vcc_lo, v14, v24
	v_add_co_ci_u32_e64 v25, null, v15, v25, vcc_lo
	flat_load_dwordx2 v[24:25], v[24:25]
	s_waitcnt vmcnt(0) lgkmcnt(0)
	ds_write_b64 v10, v[24:25]
.LBB516_12:                             ;   in Loop: Header=BB516_8 Depth=1
	s_or_b32 exec_lo, exec_lo, s16
	v_add_nc_u32_e32 v2, s4, v6
	v_cmp_le_u64_e32 vcc_lo, s[12:13], v[2:3]
	s_or_b32 s9, vcc_lo, s1
	s_and_saveexec_b32 s16, s9
	s_xor_b32 s9, exec_lo, s16
; %bb.13:                               ;   in Loop: Header=BB516_8 Depth=1
	v_mov_b32_e32 v2, v3
	ds_write_b64 v11, v[2:3]
; %bb.14:                               ;   in Loop: Header=BB516_8 Depth=1
	s_andn2_saveexec_b32 s9, s9
	s_cbranch_execz .LBB516_7
; %bb.15:                               ;   in Loop: Header=BB516_8 Depth=1
	v_lshlrev_b64 v[24:25], 3, v[2:3]
	v_add_co_u32 v24, vcc_lo, v12, v24
	v_add_co_ci_u32_e64 v25, null, v13, v25, vcc_lo
	flat_load_dwordx2 v[24:25], v[24:25]
	s_waitcnt vmcnt(0) lgkmcnt(0)
	ds_write_b64 v11, v[24:25]
	s_branch .LBB516_7
.LBB516_16:                             ;   in Loop: Header=BB516_8 Depth=1
	v_add_nc_u32_e32 v2, s4, v9
	v_mov_b32_e32 v5, v3
	s_andn2_b32 s17, s8, exec_lo
	s_mov_b32 s9, exec_lo
	v_cmp_le_u64_e32 vcc_lo, s[12:13], v[2:3]
	v_mov_b32_e32 v4, v2
	s_and_b32 s18, vcc_lo, exec_lo
	s_or_b32 s17, s17, s18
	s_or_b32 exec_lo, exec_lo, s16
	s_and_saveexec_b32 s16, s17
	s_xor_b32 s16, exec_lo, s16
	s_cbranch_execz .LBB516_10
.LBB516_17:                             ;   in Loop: Header=BB516_8 Depth=1
	v_mov_b32_e32 v2, v3
	s_andn2_b32 s9, s9, exec_lo
	ds_write_b64 v10, v[2:3]
	s_or_b32 exec_lo, exec_lo, s16
	s_and_saveexec_b32 s16, s9
	s_cbranch_execnz .LBB516_11
	s_branch .LBB516_12
.LBB516_18:
	v_add_nc_u32_e32 v9, s7, v1
	s_lshl_b64 s[0:1], s[42:43], 3
	v_add_nc_u32_e32 v0, s6, v0
	v_cmp_neq_f32_e64 s5, s10, 0
	s_waitcnt lgkmcnt(0)
	s_add_u32 s4, s2, s0
	v_ashrrev_i32_e32 v3, 31, v9
	v_mul_lo_u32 v4, s41, v9
	v_mad_u64_u32 v[1:2], null, s40, v9, 0
	s_addc_u32 s3, s3, s1
	v_mul_lo_u32 v3, s40, v3
	s_xor_b32 s2, s29, -1
	v_cmp_le_i32_e32 vcc_lo, v9, v0
	v_cmp_gt_i32_e64 s0, s28, v0
	s_or_b32 s2, s5, s2
	v_cndmask_b32_e64 v8, 0, 1, s2
	s_and_b32 s5, vcc_lo, s0
	v_add3_u32 v2, v2, v3, v4
	v_lshlrev_b64 v[2:3], 3, v[1:2]
	v_ashrrev_i32_e32 v1, 31, v0
	v_add_co_u32 v6, s1, s4, v2
	v_add_co_ci_u32_e64 v7, null, s3, v3, s1
	s_and_saveexec_b32 s1, s5
	s_cbranch_execz .LBB516_22
; %bb.19:
	v_lshlrev_b64 v[4:5], 3, v[0:1]
	v_mul_f32_e32 v2, s15, v22
	v_mul_f32_e32 v3, s14, v22
	v_fma_f32 v2, v23, s14, -v2
	v_add_co_u32 v4, vcc_lo, v6, v4
	v_fmac_f32_e32 v3, s15, v23
	v_add_co_ci_u32_e64 v5, null, v7, v5, vcc_lo
	s_andn2_b32 vcc_lo, exec_lo, s2
	s_cbranch_vccnz .LBB516_21
; %bb.20:
	flat_load_dwordx2 v[10:11], v[4:5]
	s_waitcnt vmcnt(0) lgkmcnt(0)
	v_mul_f32_e32 v12, s11, v11
	v_mul_f32_e32 v11, s10, v11
	v_fma_f32 v12, v10, s10, -v12
	v_fmac_f32_e32 v11, s11, v10
	v_add_f32_e32 v2, v2, v12
	v_add_f32_e32 v3, v3, v11
.LBB516_21:
	flat_store_dwordx2 v[4:5], v[2:3]
.LBB516_22:
	s_or_b32 exec_lo, exec_lo, s1
	v_add_nc_u32_e32 v2, 16, v0
	v_cmp_le_i32_e32 vcc_lo, v9, v2
	v_cmp_gt_i32_e64 s1, s28, v2
	v_ashrrev_i32_e32 v3, 31, v2
	s_and_b32 s2, vcc_lo, s1
	s_and_saveexec_b32 s5, s2
	s_cbranch_execz .LBB516_26
; %bb.23:
	v_lshlrev_b64 v[10:11], 3, v[2:3]
	v_mul_f32_e32 v4, s15, v21
	v_mul_f32_e32 v5, s14, v21
	v_cmp_ne_u32_e32 vcc_lo, 1, v8
	v_fma_f32 v4, v20, s14, -v4
	v_add_co_u32 v6, s2, v6, v10
	v_fmac_f32_e32 v5, s15, v20
	v_add_co_ci_u32_e64 v7, null, v7, v11, s2
	s_cbranch_vccnz .LBB516_25
; %bb.24:
	flat_load_dwordx2 v[10:11], v[6:7]
	s_waitcnt vmcnt(0) lgkmcnt(0)
	v_mul_f32_e32 v12, s11, v11
	v_mul_f32_e32 v11, s10, v11
	v_fma_f32 v12, v10, s10, -v12
	v_fmac_f32_e32 v11, s11, v10
	v_add_f32_e32 v4, v4, v12
	v_add_f32_e32 v5, v5, v11
.LBB516_25:
	flat_store_dwordx2 v[6:7], v[4:5]
.LBB516_26:
	s_or_b32 exec_lo, exec_lo, s5
	v_add_nc_u32_e32 v9, 16, v9
	v_ashrrev_i32_e32 v6, 31, v9
	v_mul_lo_u32 v7, s41, v9
	v_mad_u64_u32 v[4:5], null, s40, v9, 0
	v_cmp_le_i32_e32 vcc_lo, v9, v0
	v_mul_lo_u32 v6, s40, v6
	s_and_b32 s0, vcc_lo, s0
	v_add3_u32 v5, v5, v6, v7
	v_lshlrev_b64 v[4:5], 3, v[4:5]
	v_add_co_u32 v6, s2, s4, v4
	v_add_co_ci_u32_e64 v7, null, s3, v5, s2
	s_and_saveexec_b32 s2, s0
	s_cbranch_execz .LBB516_30
; %bb.27:
	v_lshlrev_b64 v[0:1], 3, v[0:1]
	v_mul_f32_e32 v4, s15, v19
	v_mul_f32_e32 v5, s14, v19
	v_cmp_ne_u32_e32 vcc_lo, 1, v8
	v_fma_f32 v4, v18, s14, -v4
	v_add_co_u32 v0, s0, v6, v0
	v_fmac_f32_e32 v5, s15, v18
	v_add_co_ci_u32_e64 v1, null, v7, v1, s0
	s_cbranch_vccnz .LBB516_29
; %bb.28:
	flat_load_dwordx2 v[10:11], v[0:1]
	s_waitcnt vmcnt(0) lgkmcnt(0)
	v_mul_f32_e32 v12, s11, v11
	v_mul_f32_e32 v11, s10, v11
	v_fma_f32 v12, v10, s10, -v12
	v_fmac_f32_e32 v11, s11, v10
	v_add_f32_e32 v4, v4, v12
	v_add_f32_e32 v5, v5, v11
.LBB516_29:
	flat_store_dwordx2 v[0:1], v[4:5]
.LBB516_30:
	s_or_b32 exec_lo, exec_lo, s2
	v_cmp_le_i32_e32 vcc_lo, v9, v2
	s_and_b32 s0, vcc_lo, s1
	s_and_saveexec_b32 s1, s0
	s_cbranch_execz .LBB516_34
; %bb.31:
	v_lshlrev_b64 v[2:3], 3, v[2:3]
	v_mul_f32_e32 v0, s15, v17
	v_mul_f32_e32 v1, s14, v17
	v_cmp_ne_u32_e32 vcc_lo, 1, v8
	v_fma_f32 v0, v16, s14, -v0
	v_add_co_u32 v2, s0, v6, v2
	v_fmac_f32_e32 v1, s15, v16
	v_add_co_ci_u32_e64 v3, null, v7, v3, s0
	s_cbranch_vccnz .LBB516_33
; %bb.32:
	flat_load_dwordx2 v[4:5], v[2:3]
	s_waitcnt vmcnt(0) lgkmcnt(0)
	v_mul_f32_e32 v6, s11, v5
	v_mul_f32_e32 v5, s10, v5
	v_fma_f32 v6, v4, s10, -v6
	v_fmac_f32_e32 v5, s11, v4
	v_add_f32_e32 v0, v0, v6
	v_add_f32_e32 v1, v1, v5
.LBB516_33:
	flat_store_dwordx2 v[2:3], v[0:1]
.LBB516_34:
	s_endpgm
	.section	.rodata,"a",@progbits
	.p2align	6, 0x0
	.amdhsa_kernel _ZL29rocblas_internal_gemmt_kernelIlLi16ELi32ELi8ELc84ELc78ELc76ELb0ELb0E19rocblas_complex_numIfEPKS1_PKS3_PKPS1_EviT_T9_T10_S9_lSB_S9_lSA_T11_S9_li
		.amdhsa_group_segment_fixed_size 4096
		.amdhsa_private_segment_fixed_size 0
		.amdhsa_kernarg_size 108
		.amdhsa_user_sgpr_count 6
		.amdhsa_user_sgpr_private_segment_buffer 1
		.amdhsa_user_sgpr_dispatch_ptr 0
		.amdhsa_user_sgpr_queue_ptr 0
		.amdhsa_user_sgpr_kernarg_segment_ptr 1
		.amdhsa_user_sgpr_dispatch_id 0
		.amdhsa_user_sgpr_flat_scratch_init 0
		.amdhsa_user_sgpr_private_segment_size 0
		.amdhsa_wavefront_size32 1
		.amdhsa_uses_dynamic_stack 0
		.amdhsa_system_sgpr_private_segment_wavefront_offset 0
		.amdhsa_system_sgpr_workgroup_id_x 1
		.amdhsa_system_sgpr_workgroup_id_y 1
		.amdhsa_system_sgpr_workgroup_id_z 1
		.amdhsa_system_sgpr_workgroup_info 0
		.amdhsa_system_vgpr_workitem_id 1
		.amdhsa_next_free_vgpr 61
		.amdhsa_next_free_sgpr 44
		.amdhsa_reserve_vcc 1
		.amdhsa_reserve_flat_scratch 0
		.amdhsa_float_round_mode_32 0
		.amdhsa_float_round_mode_16_64 0
		.amdhsa_float_denorm_mode_32 3
		.amdhsa_float_denorm_mode_16_64 3
		.amdhsa_dx10_clamp 1
		.amdhsa_ieee_mode 1
		.amdhsa_fp16_overflow 0
		.amdhsa_workgroup_processor_mode 1
		.amdhsa_memory_ordered 1
		.amdhsa_forward_progress 1
		.amdhsa_shared_vgpr_count 0
		.amdhsa_exception_fp_ieee_invalid_op 0
		.amdhsa_exception_fp_denorm_src 0
		.amdhsa_exception_fp_ieee_div_zero 0
		.amdhsa_exception_fp_ieee_overflow 0
		.amdhsa_exception_fp_ieee_underflow 0
		.amdhsa_exception_fp_ieee_inexact 0
		.amdhsa_exception_int_div_zero 0
	.end_amdhsa_kernel
	.section	.text._ZL29rocblas_internal_gemmt_kernelIlLi16ELi32ELi8ELc84ELc78ELc76ELb0ELb0E19rocblas_complex_numIfEPKS1_PKS3_PKPS1_EviT_T9_T10_S9_lSB_S9_lSA_T11_S9_li,"axG",@progbits,_ZL29rocblas_internal_gemmt_kernelIlLi16ELi32ELi8ELc84ELc78ELc76ELb0ELb0E19rocblas_complex_numIfEPKS1_PKS3_PKPS1_EviT_T9_T10_S9_lSB_S9_lSA_T11_S9_li,comdat
.Lfunc_end516:
	.size	_ZL29rocblas_internal_gemmt_kernelIlLi16ELi32ELi8ELc84ELc78ELc76ELb0ELb0E19rocblas_complex_numIfEPKS1_PKS3_PKPS1_EviT_T9_T10_S9_lSB_S9_lSA_T11_S9_li, .Lfunc_end516-_ZL29rocblas_internal_gemmt_kernelIlLi16ELi32ELi8ELc84ELc78ELc76ELb0ELb0E19rocblas_complex_numIfEPKS1_PKS3_PKPS1_EviT_T9_T10_S9_lSB_S9_lSA_T11_S9_li
                                        ; -- End function
	.set _ZL29rocblas_internal_gemmt_kernelIlLi16ELi32ELi8ELc84ELc78ELc76ELb0ELb0E19rocblas_complex_numIfEPKS1_PKS3_PKPS1_EviT_T9_T10_S9_lSB_S9_lSA_T11_S9_li.num_vgpr, 61
	.set _ZL29rocblas_internal_gemmt_kernelIlLi16ELi32ELi8ELc84ELc78ELc76ELb0ELb0E19rocblas_complex_numIfEPKS1_PKS3_PKPS1_EviT_T9_T10_S9_lSB_S9_lSA_T11_S9_li.num_agpr, 0
	.set _ZL29rocblas_internal_gemmt_kernelIlLi16ELi32ELi8ELc84ELc78ELc76ELb0ELb0E19rocblas_complex_numIfEPKS1_PKS3_PKPS1_EviT_T9_T10_S9_lSB_S9_lSA_T11_S9_li.numbered_sgpr, 44
	.set _ZL29rocblas_internal_gemmt_kernelIlLi16ELi32ELi8ELc84ELc78ELc76ELb0ELb0E19rocblas_complex_numIfEPKS1_PKS3_PKPS1_EviT_T9_T10_S9_lSB_S9_lSA_T11_S9_li.num_named_barrier, 0
	.set _ZL29rocblas_internal_gemmt_kernelIlLi16ELi32ELi8ELc84ELc78ELc76ELb0ELb0E19rocblas_complex_numIfEPKS1_PKS3_PKPS1_EviT_T9_T10_S9_lSB_S9_lSA_T11_S9_li.private_seg_size, 0
	.set _ZL29rocblas_internal_gemmt_kernelIlLi16ELi32ELi8ELc84ELc78ELc76ELb0ELb0E19rocblas_complex_numIfEPKS1_PKS3_PKPS1_EviT_T9_T10_S9_lSB_S9_lSA_T11_S9_li.uses_vcc, 1
	.set _ZL29rocblas_internal_gemmt_kernelIlLi16ELi32ELi8ELc84ELc78ELc76ELb0ELb0E19rocblas_complex_numIfEPKS1_PKS3_PKPS1_EviT_T9_T10_S9_lSB_S9_lSA_T11_S9_li.uses_flat_scratch, 0
	.set _ZL29rocblas_internal_gemmt_kernelIlLi16ELi32ELi8ELc84ELc78ELc76ELb0ELb0E19rocblas_complex_numIfEPKS1_PKS3_PKPS1_EviT_T9_T10_S9_lSB_S9_lSA_T11_S9_li.has_dyn_sized_stack, 0
	.set _ZL29rocblas_internal_gemmt_kernelIlLi16ELi32ELi8ELc84ELc78ELc76ELb0ELb0E19rocblas_complex_numIfEPKS1_PKS3_PKPS1_EviT_T9_T10_S9_lSB_S9_lSA_T11_S9_li.has_recursion, 0
	.set _ZL29rocblas_internal_gemmt_kernelIlLi16ELi32ELi8ELc84ELc78ELc76ELb0ELb0E19rocblas_complex_numIfEPKS1_PKS3_PKPS1_EviT_T9_T10_S9_lSB_S9_lSA_T11_S9_li.has_indirect_call, 0
	.section	.AMDGPU.csdata,"",@progbits
; Kernel info:
; codeLenInByte = 2628
; TotalNumSgprs: 46
; NumVgprs: 61
; ScratchSize: 0
; MemoryBound: 0
; FloatMode: 240
; IeeeMode: 1
; LDSByteSize: 4096 bytes/workgroup (compile time only)
; SGPRBlocks: 0
; VGPRBlocks: 7
; NumSGPRsForWavesPerEU: 46
; NumVGPRsForWavesPerEU: 61
; Occupancy: 16
; WaveLimiterHint : 1
; COMPUTE_PGM_RSRC2:SCRATCH_EN: 0
; COMPUTE_PGM_RSRC2:USER_SGPR: 6
; COMPUTE_PGM_RSRC2:TRAP_HANDLER: 0
; COMPUTE_PGM_RSRC2:TGID_X_EN: 1
; COMPUTE_PGM_RSRC2:TGID_Y_EN: 1
; COMPUTE_PGM_RSRC2:TGID_Z_EN: 1
; COMPUTE_PGM_RSRC2:TIDIG_COMP_CNT: 1
	.section	.text._ZL29rocblas_internal_gemmt_kernelIlLi16ELi32ELi8ELc84ELc84ELc76ELb0ELb0E19rocblas_complex_numIfEPKS1_PKS3_PKPS1_EviT_T9_T10_S9_lSB_S9_lSA_T11_S9_li,"axG",@progbits,_ZL29rocblas_internal_gemmt_kernelIlLi16ELi32ELi8ELc84ELc84ELc76ELb0ELb0E19rocblas_complex_numIfEPKS1_PKS3_PKPS1_EviT_T9_T10_S9_lSB_S9_lSA_T11_S9_li,comdat
	.globl	_ZL29rocblas_internal_gemmt_kernelIlLi16ELi32ELi8ELc84ELc84ELc76ELb0ELb0E19rocblas_complex_numIfEPKS1_PKS3_PKPS1_EviT_T9_T10_S9_lSB_S9_lSA_T11_S9_li ; -- Begin function _ZL29rocblas_internal_gemmt_kernelIlLi16ELi32ELi8ELc84ELc84ELc76ELb0ELb0E19rocblas_complex_numIfEPKS1_PKS3_PKPS1_EviT_T9_T10_S9_lSB_S9_lSA_T11_S9_li
	.p2align	8
	.type	_ZL29rocblas_internal_gemmt_kernelIlLi16ELi32ELi8ELc84ELc84ELc76ELb0ELb0E19rocblas_complex_numIfEPKS1_PKS3_PKPS1_EviT_T9_T10_S9_lSB_S9_lSA_T11_S9_li,@function
_ZL29rocblas_internal_gemmt_kernelIlLi16ELi32ELi8ELc84ELc84ELc76ELb0ELb0E19rocblas_complex_numIfEPKS1_PKS3_PKPS1_EviT_T9_T10_S9_lSB_S9_lSA_T11_S9_li: ; @_ZL29rocblas_internal_gemmt_kernelIlLi16ELi32ELi8ELc84ELc84ELc76ELb0ELb0E19rocblas_complex_numIfEPKS1_PKS3_PKPS1_EviT_T9_T10_S9_lSB_S9_lSA_T11_S9_li
; %bb.0:
	s_clause 0x1
	s_load_dwordx8 s[36:43], s[4:5], 0x48
	s_load_dwordx16 s[12:27], s[4:5], 0x8
	s_waitcnt lgkmcnt(0)
	s_load_dwordx2 s[10:11], s[36:37], 0x0
	s_load_dwordx2 s[14:15], s[14:15], 0x0
	s_waitcnt lgkmcnt(0)
	s_and_b32 s0, s11, 0x7fffffff
	v_cmp_eq_f32_e64 s1, s10, 1.0
	s_cmp_eq_u32 s0, 0
	s_mov_b32 s0, 0
	s_cselect_b32 s29, -1, 0
	s_and_b32 s1, s1, s29
	s_andn2_b32 vcc_lo, exec_lo, s1
	s_mov_b32 s1, -1
	s_cbranch_vccnz .LBB517_4
; %bb.1:
	s_cmp_lg_u64 s[12:13], 0
	s_cbranch_scc0 .LBB517_3
; %bb.2:
	v_cmp_neq_f32_e64 s0, s14, 0
	v_cmp_neq_f32_e64 s1, s15, 0
	s_or_b32 s0, s0, s1
.LBB517_3:
	s_mov_b32 s1, s0
.LBB517_4:
	s_and_b32 vcc_lo, exec_lo, s1
	s_cbranch_vccz .LBB517_34
; %bb.5:
	s_mov_b32 s9, 0
	s_load_dword s28, s[4:5], 0x0
	s_lshl_b64 s[0:1], s[8:9], 3
	v_cmp_eq_f32_e64 s4, s14, 0
	s_add_u32 s2, s38, s0
	s_addc_u32 s3, s39, s1
	v_cmp_eq_f32_e64 s5, s15, 0
	s_load_dwordx2 s[2:3], s[2:3], 0x0
	v_cmp_lt_i64_e64 s8, s[12:13], 1
	v_mov_b32_e32 v23, 0
	v_mov_b32_e32 v22, 0
	s_and_b32 s4, s4, s5
	v_mov_b32_e32 v20, 0
	v_mov_b32_e32 v21, 0
	;; [unrolled: 1-line block ×6, first 2 shown]
	s_or_b32 s4, s4, s8
	s_lshl_b32 s6, s6, 5
	s_and_b32 vcc_lo, exec_lo, s4
	s_lshl_b32 s7, s7, 5
	s_cbranch_vccnz .LBB517_18
; %bb.6:
	s_add_u32 s4, s22, s0
	s_addc_u32 s5, s23, s1
	s_lshl_b64 s[8:9], s[26:27], 3
	s_load_dwordx2 s[4:5], s[4:5], 0x0
	v_lshl_add_u32 v2, v1, 4, v0
	v_and_b32_e32 v6, 7, v0
	v_lshlrev_b32_e32 v7, 3, v0
	v_lshl_add_u32 v8, v1, 6, 0x800
	v_mov_b32_e32 v3, 0
	v_and_b32_e32 v5, 31, v2
	v_lshrrev_b32_e32 v10, 3, v2
	v_lshlrev_b32_e32 v11, 3, v6
	v_lshrrev_b32_e32 v9, 5, v2
	v_mov_b32_e32 v17, 0
	v_or_b32_e32 v14, s6, v5
	v_add_nc_u32_e32 v4, s7, v10
	v_lshl_or_b32 v11, v10, 6, v11
	v_lshlrev_b32_e32 v2, 3, v5
	v_mov_b32_e32 v16, 0
	v_mul_lo_u32 v10, s19, v14
	v_mad_u64_u32 v[12:13], null, s18, v14, 0
	v_ashrrev_i32_e32 v5, 31, v4
	s_waitcnt lgkmcnt(0)
	s_add_u32 s22, s4, s8
	s_addc_u32 s9, s5, s9
	s_add_u32 s0, s16, s0
	s_addc_u32 s1, s17, s1
	s_lshl_b64 s[4:5], s[20:21], 3
	s_load_dwordx2 s[0:1], s[0:1], 0x0
	v_cmp_le_i32_e64 s8, s28, v14
	v_cmp_gt_i32_e32 vcc_lo, s28, v4
	v_mov_b32_e32 v19, 0
	v_mov_b32_e32 v18, 0
	;; [unrolled: 1-line block ×5, first 2 shown]
	v_add_nc_u32_e32 v11, 0x800, v11
	v_mov_b32_e32 v23, 0
	s_waitcnt lgkmcnt(0)
	s_add_u32 s4, s0, s4
	s_addc_u32 s5, s1, s5
	s_ashr_i32 s1, s6, 31
	v_cmp_gt_i32_e64 s0, s28, v14
	s_mul_i32 s1, s18, s1
	v_lshlrev_b64 v[14:15], 3, v[4:5]
	v_add3_u32 v13, v13, s1, v10
	v_lshl_or_b32 v10, v9, 8, v2
	v_lshlrev_b64 v[4:5], 3, v[12:13]
	v_add_co_u32 v12, s1, s22, v14
	v_add_co_ci_u32_e64 v13, null, s9, v15, s1
	v_add_co_u32 v14, s1, s4, v4
	v_add_co_ci_u32_e64 v15, null, s5, v5, s1
	s_mov_b64 s[4:5], 0
	s_xor_b32 s1, vcc_lo, -1
                                        ; implicit-def: $vgpr4_vgpr5
	s_branch .LBB517_8
.LBB517_7:                              ;   in Loop: Header=BB517_8 Depth=1
	s_or_b32 exec_lo, exec_lo, s9
	s_waitcnt lgkmcnt(0)
	s_barrier
	buffer_gl0_inv
	ds_read_b128 v[24:27], v8
	ds_read2_b64 v[28:31], v7 offset1:16
	ds_read_b128 v[32:35], v8 offset:1024
	ds_read_b128 v[36:39], v8 offset:16
	;; [unrolled: 1-line block ×4, first 2 shown]
	ds_read2_b64 v[48:51], v7 offset0:32 offset1:48
	ds_read_b128 v[52:55], v8 offset:1040
	s_add_u32 s4, s4, 8
	s_addc_u32 s5, s5, 0
	v_cmp_gt_i64_e64 s9, s[12:13], s[4:5]
	s_and_b32 vcc_lo, exec_lo, s9
	s_waitcnt lgkmcnt(6)
	v_mul_f32_e32 v2, v25, v29
	v_mul_f32_e32 v56, v24, v29
	;; [unrolled: 1-line block ×4, first 2 shown]
	s_waitcnt lgkmcnt(5)
	v_mul_f32_e32 v59, v33, v29
	v_mul_f32_e32 v29, v32, v29
	;; [unrolled: 1-line block ×3, first 2 shown]
	v_fma_f32 v2, v24, v28, -v2
	v_fmac_f32_e32 v56, v25, v28
	v_fma_f32 v24, v24, v30, -v57
	v_fmac_f32_e32 v58, v25, v30
	;; [unrolled: 2-line block ×3, first 2 shown]
	v_mul_f32_e32 v31, v32, v31
	v_fma_f32 v28, v32, v30, -v60
	v_add_f32_e32 v2, v23, v2
	v_add_f32_e32 v23, v20, v24
	v_add_f32_e32 v24, v21, v58
	v_add_f32_e32 v25, v18, v25
	v_add_f32_e32 v29, v19, v29
	s_waitcnt lgkmcnt(1)
	v_mul_f32_e32 v32, v27, v49
	ds_read2_b64 v[18:21], v7 offset0:64 offset1:80
	v_fmac_f32_e32 v31, v33, v30
	v_add_f32_e32 v16, v16, v28
	v_mul_f32_e32 v28, v26, v49
	v_fma_f32 v30, v26, v48, -v32
	v_mul_f32_e32 v32, v27, v51
	v_add_f32_e32 v22, v22, v56
	v_add_f32_e32 v17, v17, v31
	v_fmac_f32_e32 v28, v27, v48
	v_mul_f32_e32 v31, v26, v51
	v_add_f32_e32 v2, v2, v30
	v_fma_f32 v26, v26, v50, -v32
	v_mul_f32_e32 v30, v35, v49
	v_add_f32_e32 v28, v22, v28
	v_fmac_f32_e32 v31, v27, v50
	v_mul_f32_e32 v22, v34, v49
	v_add_f32_e32 v26, v23, v26
	v_fma_f32 v23, v34, v48, -v30
	v_mul_f32_e32 v27, v35, v51
	v_add_f32_e32 v30, v24, v31
	v_fmac_f32_e32 v22, v35, v48
	v_mul_f32_e32 v31, v34, v51
	v_add_f32_e32 v32, v25, v23
	v_fma_f32 v23, v34, v50, -v27
	s_waitcnt lgkmcnt(0)
	v_mul_f32_e32 v24, v37, v19
	v_add_f32_e32 v27, v29, v22
	v_fmac_f32_e32 v31, v35, v50
	v_mul_f32_e32 v29, v36, v19
	v_add_f32_e32 v16, v16, v23
	v_fma_f32 v33, v36, v18, -v24
	v_mul_f32_e32 v34, v37, v21
	ds_read2_b64 v[22:25], v7 offset0:96 offset1:112
	v_fmac_f32_e32 v29, v37, v18
	v_add_f32_e32 v31, v17, v31
	v_add_f32_e32 v2, v2, v33
	v_mul_f32_e32 v17, v36, v21
	v_fma_f32 v33, v36, v20, -v34
	v_add_f32_e32 v28, v28, v29
	v_mul_f32_e32 v29, v53, v19
	v_mul_f32_e32 v19, v52, v19
	v_fmac_f32_e32 v17, v37, v20
	v_add_f32_e32 v26, v26, v33
	v_mul_f32_e32 v33, v53, v21
	v_mul_f32_e32 v21, v52, v21
	v_fmac_f32_e32 v19, v53, v18
	v_add_f32_e32 v30, v30, v17
	v_fma_f32 v29, v52, v18, -v29
	v_fma_f32 v17, v52, v20, -v33
	v_fmac_f32_e32 v21, v53, v20
	v_add_f32_e32 v33, v27, v19
	s_waitcnt lgkmcnt(0)
	v_mul_f32_e32 v20, v39, v23
	v_add_f32_e32 v34, v16, v17
	ds_read2_b64 v[16:19], v7 offset0:128 offset1:144
	v_add_f32_e32 v32, v32, v29
	v_mul_f32_e32 v27, v38, v23
	v_mul_f32_e32 v29, v39, v25
	v_fma_f32 v20, v38, v22, -v20
	v_add_f32_e32 v31, v31, v21
	v_mul_f32_e32 v21, v38, v25
	v_fmac_f32_e32 v27, v39, v22
	v_fma_f32 v29, v38, v24, -v29
	v_add_f32_e32 v2, v2, v20
	v_mul_f32_e32 v20, v55, v23
	v_fmac_f32_e32 v21, v39, v24
	v_add_f32_e32 v35, v28, v27
	v_add_f32_e32 v36, v26, v29
	v_mul_f32_e32 v23, v54, v23
	v_fma_f32 v20, v54, v22, -v20
	v_mul_f32_e32 v37, v55, v25
	ds_read_b128 v[26:29], v8 offset:1056
	v_add_f32_e32 v38, v30, v21
	v_fmac_f32_e32 v23, v55, v22
	v_mul_f32_e32 v25, v54, v25
	v_fma_f32 v21, v54, v24, -v37
	v_add_f32_e32 v37, v32, v20
	s_waitcnt lgkmcnt(1)
	v_mul_f32_e32 v20, v41, v17
	v_add_f32_e32 v39, v33, v23
	v_fmac_f32_e32 v25, v55, v24
	v_add_f32_e32 v24, v34, v21
	v_mul_f32_e32 v32, v41, v19
	v_fma_f32 v30, v40, v16, -v20
	ds_read2_b64 v[20:23], v7 offset0:160 offset1:176
	v_mul_f32_e32 v34, v40, v17
	v_add_f32_e32 v25, v31, v25
	v_fma_f32 v48, v40, v18, -v32
	v_mul_f32_e32 v40, v40, v19
	v_add_f32_e32 v2, v2, v30
	v_fmac_f32_e32 v34, v41, v16
	ds_read_b128 v[30:33], v8 offset:1072
	s_waitcnt lgkmcnt(2)
	v_mul_f32_e32 v49, v27, v17
	v_mul_f32_e32 v17, v26, v17
	v_fmac_f32_e32 v40, v41, v18
	v_mul_f32_e32 v41, v27, v19
	v_add_f32_e32 v34, v35, v34
	v_add_f32_e32 v35, v36, v48
	v_fma_f32 v36, v26, v16, -v49
	v_fmac_f32_e32 v17, v27, v16
	v_add_f32_e32 v38, v38, v40
	v_mul_f32_e32 v40, v26, v19
	v_fma_f32 v16, v26, v18, -v41
	v_add_f32_e32 v36, v37, v36
	v_add_f32_e32 v26, v39, v17
	s_waitcnt lgkmcnt(1)
	v_mul_f32_e32 v37, v43, v21
	v_fmac_f32_e32 v40, v27, v18
	v_add_f32_e32 v24, v24, v16
	ds_read2_b64 v[16:19], v7 offset0:192 offset1:208
	v_mul_f32_e32 v27, v42, v21
	v_fma_f32 v37, v42, v20, -v37
	v_mul_f32_e32 v39, v43, v23
	v_add_f32_e32 v40, v25, v40
	v_mul_f32_e32 v25, v42, v23
	v_fmac_f32_e32 v27, v43, v20
	v_add_f32_e32 v2, v2, v37
	v_fma_f32 v37, v42, v22, -v39
	v_fmac_f32_e32 v25, v43, v22
	v_add_f32_e32 v34, v34, v27
	v_mul_f32_e32 v27, v29, v21
	v_mul_f32_e32 v21, v28, v21
	v_add_f32_e32 v35, v35, v37
	v_mul_f32_e32 v37, v29, v23
	v_add_f32_e32 v38, v38, v25
	v_fma_f32 v27, v28, v20, -v27
	v_fmac_f32_e32 v21, v29, v20
	v_mul_f32_e32 v20, v28, v23
	v_fma_f32 v23, v28, v22, -v37
	s_waitcnt lgkmcnt(0)
	v_mul_f32_e32 v25, v45, v17
	v_add_f32_e32 v28, v36, v27
	v_add_f32_e32 v21, v26, v21
	v_fmac_f32_e32 v20, v29, v22
	v_add_f32_e32 v22, v24, v23
	v_fma_f32 v29, v44, v16, -v25
	ds_read2_b64 v[24:27], v7 offset0:224 offset1:240
	v_mul_f32_e32 v23, v44, v17
	v_mul_f32_e32 v37, v31, v17
	;; [unrolled: 1-line block ×4, first 2 shown]
	v_add_f32_e32 v2, v2, v29
	v_fmac_f32_e32 v23, v45, v16
	v_mul_f32_e32 v29, v44, v19
	v_fmac_f32_e32 v17, v31, v16
	v_fma_f32 v36, v44, v18, -v36
	v_add_f32_e32 v20, v40, v20
	v_add_f32_e32 v34, v34, v23
	v_fma_f32 v23, v30, v16, -v37
	v_mul_f32_e32 v16, v31, v19
	v_mul_f32_e32 v19, v30, v19
	v_fmac_f32_e32 v29, v45, v18
	v_add_f32_e32 v17, v21, v17
	v_add_f32_e32 v35, v35, v36
	v_fma_f32 v16, v30, v18, -v16
	v_fmac_f32_e32 v19, v31, v18
	s_waitcnt lgkmcnt(0)
	v_mul_f32_e32 v21, v47, v25
	v_mul_f32_e32 v18, v47, v27
	v_add_f32_e32 v28, v28, v23
	v_mul_f32_e32 v30, v46, v25
	v_mul_f32_e32 v31, v46, v27
	v_fma_f32 v21, v46, v24, -v21
	v_fma_f32 v18, v46, v26, -v18
	v_add_f32_e32 v36, v20, v19
	v_mul_f32_e32 v19, v32, v25
	v_add_f32_e32 v29, v38, v29
	v_add_f32_e32 v23, v2, v21
	;; [unrolled: 1-line block ×3, first 2 shown]
	v_mul_f32_e32 v2, v33, v25
	v_mul_f32_e32 v18, v33, v27
	;; [unrolled: 1-line block ×3, first 2 shown]
	v_add_f32_e32 v16, v22, v16
	v_fmac_f32_e32 v30, v47, v24
	v_fmac_f32_e32 v31, v47, v26
	v_fma_f32 v2, v32, v24, -v2
	v_fmac_f32_e32 v19, v33, v24
	v_fma_f32 v24, v32, v26, -v18
	v_fmac_f32_e32 v25, v33, v26
	v_add_f32_e32 v22, v34, v30
	v_add_f32_e32 v21, v29, v31
	v_add_f32_e32 v18, v28, v2
	v_add_f32_e32 v19, v17, v19
	v_add_f32_e32 v16, v16, v24
	v_add_f32_e32 v17, v36, v25
	s_barrier
	buffer_gl0_inv
	s_cbranch_vccz .LBB517_18
.LBB517_8:                              ; =>This Inner Loop Header: Depth=1
	s_mov_b32 s17, s8
	s_mov_b32 s9, 0
	s_and_saveexec_b32 s16, s0
	s_cbranch_execnz .LBB517_16
; %bb.9:                                ;   in Loop: Header=BB517_8 Depth=1
	s_or_b32 exec_lo, exec_lo, s16
	s_and_saveexec_b32 s16, s17
	s_xor_b32 s16, exec_lo, s16
	s_cbranch_execnz .LBB517_17
.LBB517_10:                             ;   in Loop: Header=BB517_8 Depth=1
	s_or_b32 exec_lo, exec_lo, s16
	s_and_saveexec_b32 s16, s9
	s_cbranch_execz .LBB517_12
.LBB517_11:                             ;   in Loop: Header=BB517_8 Depth=1
	v_lshlrev_b64 v[24:25], 3, v[4:5]
	v_add_co_u32 v24, vcc_lo, v14, v24
	v_add_co_ci_u32_e64 v25, null, v15, v25, vcc_lo
	flat_load_dwordx2 v[24:25], v[24:25]
	s_waitcnt vmcnt(0) lgkmcnt(0)
	ds_write_b64 v10, v[24:25]
.LBB517_12:                             ;   in Loop: Header=BB517_8 Depth=1
	s_or_b32 exec_lo, exec_lo, s16
	v_add_nc_u32_e32 v2, s4, v6
	v_cmp_le_u64_e32 vcc_lo, s[12:13], v[2:3]
	s_or_b32 s9, vcc_lo, s1
	s_and_saveexec_b32 s16, s9
	s_xor_b32 s9, exec_lo, s16
; %bb.13:                               ;   in Loop: Header=BB517_8 Depth=1
	v_mov_b32_e32 v2, v3
	ds_write_b64 v11, v[2:3]
; %bb.14:                               ;   in Loop: Header=BB517_8 Depth=1
	s_andn2_saveexec_b32 s9, s9
	s_cbranch_execz .LBB517_7
; %bb.15:                               ;   in Loop: Header=BB517_8 Depth=1
	v_mad_u64_u32 v[24:25], null, s24, v2, 0
	v_mad_u64_u32 v[25:26], null, s25, v2, v[25:26]
	v_lshlrev_b64 v[24:25], 3, v[24:25]
	v_add_co_u32 v24, vcc_lo, v12, v24
	v_add_co_ci_u32_e64 v25, null, v13, v25, vcc_lo
	flat_load_dwordx2 v[24:25], v[24:25]
	s_waitcnt vmcnt(0) lgkmcnt(0)
	ds_write_b64 v11, v[24:25]
	s_branch .LBB517_7
.LBB517_16:                             ;   in Loop: Header=BB517_8 Depth=1
	v_add_nc_u32_e32 v2, s4, v9
	v_mov_b32_e32 v5, v3
	s_andn2_b32 s17, s8, exec_lo
	s_mov_b32 s9, exec_lo
	v_cmp_le_u64_e32 vcc_lo, s[12:13], v[2:3]
	v_mov_b32_e32 v4, v2
	s_and_b32 s18, vcc_lo, exec_lo
	s_or_b32 s17, s17, s18
	s_or_b32 exec_lo, exec_lo, s16
	s_and_saveexec_b32 s16, s17
	s_xor_b32 s16, exec_lo, s16
	s_cbranch_execz .LBB517_10
.LBB517_17:                             ;   in Loop: Header=BB517_8 Depth=1
	v_mov_b32_e32 v2, v3
	s_andn2_b32 s9, s9, exec_lo
	ds_write_b64 v10, v[2:3]
	s_or_b32 exec_lo, exec_lo, s16
	s_and_saveexec_b32 s16, s9
	s_cbranch_execnz .LBB517_11
	s_branch .LBB517_12
.LBB517_18:
	v_add_nc_u32_e32 v9, s7, v1
	s_lshl_b64 s[0:1], s[42:43], 3
	v_add_nc_u32_e32 v0, s6, v0
	v_cmp_neq_f32_e64 s5, s10, 0
	s_waitcnt lgkmcnt(0)
	s_add_u32 s4, s2, s0
	v_ashrrev_i32_e32 v3, 31, v9
	v_mul_lo_u32 v4, s41, v9
	v_mad_u64_u32 v[1:2], null, s40, v9, 0
	s_addc_u32 s3, s3, s1
	v_mul_lo_u32 v3, s40, v3
	s_xor_b32 s2, s29, -1
	v_cmp_le_i32_e32 vcc_lo, v9, v0
	v_cmp_gt_i32_e64 s0, s28, v0
	s_or_b32 s2, s5, s2
	v_cndmask_b32_e64 v8, 0, 1, s2
	s_and_b32 s5, vcc_lo, s0
	v_add3_u32 v2, v2, v3, v4
	v_lshlrev_b64 v[2:3], 3, v[1:2]
	v_ashrrev_i32_e32 v1, 31, v0
	v_add_co_u32 v6, s1, s4, v2
	v_add_co_ci_u32_e64 v7, null, s3, v3, s1
	s_and_saveexec_b32 s1, s5
	s_cbranch_execz .LBB517_22
; %bb.19:
	v_lshlrev_b64 v[4:5], 3, v[0:1]
	v_mul_f32_e32 v2, s15, v22
	v_mul_f32_e32 v3, s14, v22
	v_fma_f32 v2, v23, s14, -v2
	v_add_co_u32 v4, vcc_lo, v6, v4
	v_fmac_f32_e32 v3, s15, v23
	v_add_co_ci_u32_e64 v5, null, v7, v5, vcc_lo
	s_andn2_b32 vcc_lo, exec_lo, s2
	s_cbranch_vccnz .LBB517_21
; %bb.20:
	flat_load_dwordx2 v[10:11], v[4:5]
	s_waitcnt vmcnt(0) lgkmcnt(0)
	v_mul_f32_e32 v12, s11, v11
	v_mul_f32_e32 v11, s10, v11
	v_fma_f32 v12, v10, s10, -v12
	v_fmac_f32_e32 v11, s11, v10
	v_add_f32_e32 v2, v2, v12
	v_add_f32_e32 v3, v3, v11
.LBB517_21:
	flat_store_dwordx2 v[4:5], v[2:3]
.LBB517_22:
	s_or_b32 exec_lo, exec_lo, s1
	v_add_nc_u32_e32 v2, 16, v0
	v_cmp_le_i32_e32 vcc_lo, v9, v2
	v_cmp_gt_i32_e64 s1, s28, v2
	v_ashrrev_i32_e32 v3, 31, v2
	s_and_b32 s2, vcc_lo, s1
	s_and_saveexec_b32 s5, s2
	s_cbranch_execz .LBB517_26
; %bb.23:
	v_lshlrev_b64 v[10:11], 3, v[2:3]
	v_mul_f32_e32 v4, s15, v21
	v_mul_f32_e32 v5, s14, v21
	v_cmp_ne_u32_e32 vcc_lo, 1, v8
	v_fma_f32 v4, v20, s14, -v4
	v_add_co_u32 v6, s2, v6, v10
	v_fmac_f32_e32 v5, s15, v20
	v_add_co_ci_u32_e64 v7, null, v7, v11, s2
	s_cbranch_vccnz .LBB517_25
; %bb.24:
	flat_load_dwordx2 v[10:11], v[6:7]
	s_waitcnt vmcnt(0) lgkmcnt(0)
	v_mul_f32_e32 v12, s11, v11
	v_mul_f32_e32 v11, s10, v11
	v_fma_f32 v12, v10, s10, -v12
	v_fmac_f32_e32 v11, s11, v10
	v_add_f32_e32 v4, v4, v12
	v_add_f32_e32 v5, v5, v11
.LBB517_25:
	flat_store_dwordx2 v[6:7], v[4:5]
.LBB517_26:
	s_or_b32 exec_lo, exec_lo, s5
	v_add_nc_u32_e32 v9, 16, v9
	v_ashrrev_i32_e32 v6, 31, v9
	v_mul_lo_u32 v7, s41, v9
	v_mad_u64_u32 v[4:5], null, s40, v9, 0
	v_cmp_le_i32_e32 vcc_lo, v9, v0
	v_mul_lo_u32 v6, s40, v6
	s_and_b32 s0, vcc_lo, s0
	v_add3_u32 v5, v5, v6, v7
	v_lshlrev_b64 v[4:5], 3, v[4:5]
	v_add_co_u32 v6, s2, s4, v4
	v_add_co_ci_u32_e64 v7, null, s3, v5, s2
	s_and_saveexec_b32 s2, s0
	s_cbranch_execz .LBB517_30
; %bb.27:
	v_lshlrev_b64 v[0:1], 3, v[0:1]
	v_mul_f32_e32 v4, s15, v19
	v_mul_f32_e32 v5, s14, v19
	v_cmp_ne_u32_e32 vcc_lo, 1, v8
	v_fma_f32 v4, v18, s14, -v4
	v_add_co_u32 v0, s0, v6, v0
	v_fmac_f32_e32 v5, s15, v18
	v_add_co_ci_u32_e64 v1, null, v7, v1, s0
	s_cbranch_vccnz .LBB517_29
; %bb.28:
	flat_load_dwordx2 v[10:11], v[0:1]
	s_waitcnt vmcnt(0) lgkmcnt(0)
	v_mul_f32_e32 v12, s11, v11
	v_mul_f32_e32 v11, s10, v11
	v_fma_f32 v12, v10, s10, -v12
	v_fmac_f32_e32 v11, s11, v10
	v_add_f32_e32 v4, v4, v12
	v_add_f32_e32 v5, v5, v11
.LBB517_29:
	flat_store_dwordx2 v[0:1], v[4:5]
.LBB517_30:
	s_or_b32 exec_lo, exec_lo, s2
	v_cmp_le_i32_e32 vcc_lo, v9, v2
	s_and_b32 s0, vcc_lo, s1
	s_and_saveexec_b32 s1, s0
	s_cbranch_execz .LBB517_34
; %bb.31:
	v_lshlrev_b64 v[2:3], 3, v[2:3]
	v_mul_f32_e32 v0, s15, v17
	v_mul_f32_e32 v1, s14, v17
	v_cmp_ne_u32_e32 vcc_lo, 1, v8
	v_fma_f32 v0, v16, s14, -v0
	v_add_co_u32 v2, s0, v6, v2
	v_fmac_f32_e32 v1, s15, v16
	v_add_co_ci_u32_e64 v3, null, v7, v3, s0
	s_cbranch_vccnz .LBB517_33
; %bb.32:
	flat_load_dwordx2 v[4:5], v[2:3]
	s_waitcnt vmcnt(0) lgkmcnt(0)
	v_mul_f32_e32 v6, s11, v5
	v_mul_f32_e32 v5, s10, v5
	v_fma_f32 v6, v4, s10, -v6
	v_fmac_f32_e32 v5, s11, v4
	v_add_f32_e32 v0, v0, v6
	v_add_f32_e32 v1, v1, v5
.LBB517_33:
	flat_store_dwordx2 v[2:3], v[0:1]
.LBB517_34:
	s_endpgm
	.section	.rodata,"a",@progbits
	.p2align	6, 0x0
	.amdhsa_kernel _ZL29rocblas_internal_gemmt_kernelIlLi16ELi32ELi8ELc84ELc84ELc76ELb0ELb0E19rocblas_complex_numIfEPKS1_PKS3_PKPS1_EviT_T9_T10_S9_lSB_S9_lSA_T11_S9_li
		.amdhsa_group_segment_fixed_size 4096
		.amdhsa_private_segment_fixed_size 0
		.amdhsa_kernarg_size 108
		.amdhsa_user_sgpr_count 6
		.amdhsa_user_sgpr_private_segment_buffer 1
		.amdhsa_user_sgpr_dispatch_ptr 0
		.amdhsa_user_sgpr_queue_ptr 0
		.amdhsa_user_sgpr_kernarg_segment_ptr 1
		.amdhsa_user_sgpr_dispatch_id 0
		.amdhsa_user_sgpr_flat_scratch_init 0
		.amdhsa_user_sgpr_private_segment_size 0
		.amdhsa_wavefront_size32 1
		.amdhsa_uses_dynamic_stack 0
		.amdhsa_system_sgpr_private_segment_wavefront_offset 0
		.amdhsa_system_sgpr_workgroup_id_x 1
		.amdhsa_system_sgpr_workgroup_id_y 1
		.amdhsa_system_sgpr_workgroup_id_z 1
		.amdhsa_system_sgpr_workgroup_info 0
		.amdhsa_system_vgpr_workitem_id 1
		.amdhsa_next_free_vgpr 61
		.amdhsa_next_free_sgpr 44
		.amdhsa_reserve_vcc 1
		.amdhsa_reserve_flat_scratch 0
		.amdhsa_float_round_mode_32 0
		.amdhsa_float_round_mode_16_64 0
		.amdhsa_float_denorm_mode_32 3
		.amdhsa_float_denorm_mode_16_64 3
		.amdhsa_dx10_clamp 1
		.amdhsa_ieee_mode 1
		.amdhsa_fp16_overflow 0
		.amdhsa_workgroup_processor_mode 1
		.amdhsa_memory_ordered 1
		.amdhsa_forward_progress 1
		.amdhsa_shared_vgpr_count 0
		.amdhsa_exception_fp_ieee_invalid_op 0
		.amdhsa_exception_fp_denorm_src 0
		.amdhsa_exception_fp_ieee_div_zero 0
		.amdhsa_exception_fp_ieee_overflow 0
		.amdhsa_exception_fp_ieee_underflow 0
		.amdhsa_exception_fp_ieee_inexact 0
		.amdhsa_exception_int_div_zero 0
	.end_amdhsa_kernel
	.section	.text._ZL29rocblas_internal_gemmt_kernelIlLi16ELi32ELi8ELc84ELc84ELc76ELb0ELb0E19rocblas_complex_numIfEPKS1_PKS3_PKPS1_EviT_T9_T10_S9_lSB_S9_lSA_T11_S9_li,"axG",@progbits,_ZL29rocblas_internal_gemmt_kernelIlLi16ELi32ELi8ELc84ELc84ELc76ELb0ELb0E19rocblas_complex_numIfEPKS1_PKS3_PKPS1_EviT_T9_T10_S9_lSB_S9_lSA_T11_S9_li,comdat
.Lfunc_end517:
	.size	_ZL29rocblas_internal_gemmt_kernelIlLi16ELi32ELi8ELc84ELc84ELc76ELb0ELb0E19rocblas_complex_numIfEPKS1_PKS3_PKPS1_EviT_T9_T10_S9_lSB_S9_lSA_T11_S9_li, .Lfunc_end517-_ZL29rocblas_internal_gemmt_kernelIlLi16ELi32ELi8ELc84ELc84ELc76ELb0ELb0E19rocblas_complex_numIfEPKS1_PKS3_PKPS1_EviT_T9_T10_S9_lSB_S9_lSA_T11_S9_li
                                        ; -- End function
	.set _ZL29rocblas_internal_gemmt_kernelIlLi16ELi32ELi8ELc84ELc84ELc76ELb0ELb0E19rocblas_complex_numIfEPKS1_PKS3_PKPS1_EviT_T9_T10_S9_lSB_S9_lSA_T11_S9_li.num_vgpr, 61
	.set _ZL29rocblas_internal_gemmt_kernelIlLi16ELi32ELi8ELc84ELc84ELc76ELb0ELb0E19rocblas_complex_numIfEPKS1_PKS3_PKPS1_EviT_T9_T10_S9_lSB_S9_lSA_T11_S9_li.num_agpr, 0
	.set _ZL29rocblas_internal_gemmt_kernelIlLi16ELi32ELi8ELc84ELc84ELc76ELb0ELb0E19rocblas_complex_numIfEPKS1_PKS3_PKPS1_EviT_T9_T10_S9_lSB_S9_lSA_T11_S9_li.numbered_sgpr, 44
	.set _ZL29rocblas_internal_gemmt_kernelIlLi16ELi32ELi8ELc84ELc84ELc76ELb0ELb0E19rocblas_complex_numIfEPKS1_PKS3_PKPS1_EviT_T9_T10_S9_lSB_S9_lSA_T11_S9_li.num_named_barrier, 0
	.set _ZL29rocblas_internal_gemmt_kernelIlLi16ELi32ELi8ELc84ELc84ELc76ELb0ELb0E19rocblas_complex_numIfEPKS1_PKS3_PKPS1_EviT_T9_T10_S9_lSB_S9_lSA_T11_S9_li.private_seg_size, 0
	.set _ZL29rocblas_internal_gemmt_kernelIlLi16ELi32ELi8ELc84ELc84ELc76ELb0ELb0E19rocblas_complex_numIfEPKS1_PKS3_PKPS1_EviT_T9_T10_S9_lSB_S9_lSA_T11_S9_li.uses_vcc, 1
	.set _ZL29rocblas_internal_gemmt_kernelIlLi16ELi32ELi8ELc84ELc84ELc76ELb0ELb0E19rocblas_complex_numIfEPKS1_PKS3_PKPS1_EviT_T9_T10_S9_lSB_S9_lSA_T11_S9_li.uses_flat_scratch, 0
	.set _ZL29rocblas_internal_gemmt_kernelIlLi16ELi32ELi8ELc84ELc84ELc76ELb0ELb0E19rocblas_complex_numIfEPKS1_PKS3_PKPS1_EviT_T9_T10_S9_lSB_S9_lSA_T11_S9_li.has_dyn_sized_stack, 0
	.set _ZL29rocblas_internal_gemmt_kernelIlLi16ELi32ELi8ELc84ELc84ELc76ELb0ELb0E19rocblas_complex_numIfEPKS1_PKS3_PKPS1_EviT_T9_T10_S9_lSB_S9_lSA_T11_S9_li.has_recursion, 0
	.set _ZL29rocblas_internal_gemmt_kernelIlLi16ELi32ELi8ELc84ELc84ELc76ELb0ELb0E19rocblas_complex_numIfEPKS1_PKS3_PKPS1_EviT_T9_T10_S9_lSB_S9_lSA_T11_S9_li.has_indirect_call, 0
	.section	.AMDGPU.csdata,"",@progbits
; Kernel info:
; codeLenInByte = 2612
; TotalNumSgprs: 46
; NumVgprs: 61
; ScratchSize: 0
; MemoryBound: 0
; FloatMode: 240
; IeeeMode: 1
; LDSByteSize: 4096 bytes/workgroup (compile time only)
; SGPRBlocks: 0
; VGPRBlocks: 7
; NumSGPRsForWavesPerEU: 46
; NumVGPRsForWavesPerEU: 61
; Occupancy: 16
; WaveLimiterHint : 1
; COMPUTE_PGM_RSRC2:SCRATCH_EN: 0
; COMPUTE_PGM_RSRC2:USER_SGPR: 6
; COMPUTE_PGM_RSRC2:TRAP_HANDLER: 0
; COMPUTE_PGM_RSRC2:TGID_X_EN: 1
; COMPUTE_PGM_RSRC2:TGID_Y_EN: 1
; COMPUTE_PGM_RSRC2:TGID_Z_EN: 1
; COMPUTE_PGM_RSRC2:TIDIG_COMP_CNT: 1
	.section	.text._ZL29rocblas_internal_gemmt_kernelIlLi16ELi32ELi8ELc84ELc67ELc76ELb0ELb1E19rocblas_complex_numIfEPKS1_PKS3_PKPS1_EviT_T9_T10_S9_lSB_S9_lSA_T11_S9_li,"axG",@progbits,_ZL29rocblas_internal_gemmt_kernelIlLi16ELi32ELi8ELc84ELc67ELc76ELb0ELb1E19rocblas_complex_numIfEPKS1_PKS3_PKPS1_EviT_T9_T10_S9_lSB_S9_lSA_T11_S9_li,comdat
	.globl	_ZL29rocblas_internal_gemmt_kernelIlLi16ELi32ELi8ELc84ELc67ELc76ELb0ELb1E19rocblas_complex_numIfEPKS1_PKS3_PKPS1_EviT_T9_T10_S9_lSB_S9_lSA_T11_S9_li ; -- Begin function _ZL29rocblas_internal_gemmt_kernelIlLi16ELi32ELi8ELc84ELc67ELc76ELb0ELb1E19rocblas_complex_numIfEPKS1_PKS3_PKPS1_EviT_T9_T10_S9_lSB_S9_lSA_T11_S9_li
	.p2align	8
	.type	_ZL29rocblas_internal_gemmt_kernelIlLi16ELi32ELi8ELc84ELc67ELc76ELb0ELb1E19rocblas_complex_numIfEPKS1_PKS3_PKPS1_EviT_T9_T10_S9_lSB_S9_lSA_T11_S9_li,@function
_ZL29rocblas_internal_gemmt_kernelIlLi16ELi32ELi8ELc84ELc67ELc76ELb0ELb1E19rocblas_complex_numIfEPKS1_PKS3_PKPS1_EviT_T9_T10_S9_lSB_S9_lSA_T11_S9_li: ; @_ZL29rocblas_internal_gemmt_kernelIlLi16ELi32ELi8ELc84ELc67ELc76ELb0ELb1E19rocblas_complex_numIfEPKS1_PKS3_PKPS1_EviT_T9_T10_S9_lSB_S9_lSA_T11_S9_li
; %bb.0:
	s_clause 0x1
	s_load_dwordx8 s[36:43], s[4:5], 0x48
	s_load_dwordx16 s[12:27], s[4:5], 0x8
	s_waitcnt lgkmcnt(0)
	s_load_dwordx2 s[10:11], s[36:37], 0x0
	s_load_dwordx2 s[14:15], s[14:15], 0x0
	s_waitcnt lgkmcnt(0)
	s_and_b32 s0, s11, 0x7fffffff
	v_cmp_eq_f32_e64 s1, s10, 1.0
	s_cmp_eq_u32 s0, 0
	s_mov_b32 s0, 0
	s_cselect_b32 s29, -1, 0
	s_and_b32 s1, s1, s29
	s_andn2_b32 vcc_lo, exec_lo, s1
	s_mov_b32 s1, -1
	s_cbranch_vccnz .LBB518_4
; %bb.1:
	s_cmp_lg_u64 s[12:13], 0
	s_cbranch_scc0 .LBB518_3
; %bb.2:
	v_cmp_neq_f32_e64 s0, s14, 0
	v_cmp_neq_f32_e64 s1, s15, 0
	s_or_b32 s0, s0, s1
.LBB518_3:
	s_mov_b32 s1, s0
.LBB518_4:
	s_and_b32 vcc_lo, exec_lo, s1
	s_cbranch_vccz .LBB518_34
; %bb.5:
	s_mov_b32 s9, 0
	s_load_dword s28, s[4:5], 0x0
	s_lshl_b64 s[0:1], s[8:9], 3
	v_cmp_eq_f32_e64 s4, s14, 0
	s_add_u32 s2, s38, s0
	s_addc_u32 s3, s39, s1
	v_cmp_eq_f32_e64 s5, s15, 0
	s_load_dwordx2 s[2:3], s[2:3], 0x0
	v_cmp_lt_i64_e64 s8, s[12:13], 1
	v_mov_b32_e32 v23, 0
	v_mov_b32_e32 v22, 0
	s_and_b32 s4, s4, s5
	v_mov_b32_e32 v20, 0
	v_mov_b32_e32 v21, 0
	;; [unrolled: 1-line block ×6, first 2 shown]
	s_or_b32 s4, s4, s8
	s_lshl_b32 s6, s6, 5
	s_and_b32 vcc_lo, exec_lo, s4
	s_lshl_b32 s7, s7, 5
	s_cbranch_vccnz .LBB518_18
; %bb.6:
	s_add_u32 s4, s22, s0
	s_addc_u32 s5, s23, s1
	s_lshl_b64 s[8:9], s[26:27], 3
	s_load_dwordx2 s[4:5], s[4:5], 0x0
	v_lshl_add_u32 v2, v1, 4, v0
	v_and_b32_e32 v6, 7, v0
	v_lshlrev_b32_e32 v7, 3, v0
	v_lshl_add_u32 v8, v1, 6, 0x800
	v_mov_b32_e32 v3, 0
	v_and_b32_e32 v5, 31, v2
	v_lshrrev_b32_e32 v10, 3, v2
	v_lshlrev_b32_e32 v11, 3, v6
	v_lshrrev_b32_e32 v9, 5, v2
	v_mov_b32_e32 v17, 0
	v_or_b32_e32 v14, s6, v5
	v_add_nc_u32_e32 v4, s7, v10
	v_lshl_or_b32 v11, v10, 6, v11
	v_lshlrev_b32_e32 v2, 3, v5
	v_mov_b32_e32 v16, 0
	v_mul_lo_u32 v10, s19, v14
	v_mad_u64_u32 v[12:13], null, s18, v14, 0
	v_ashrrev_i32_e32 v5, 31, v4
	s_waitcnt lgkmcnt(0)
	s_add_u32 s22, s4, s8
	s_addc_u32 s9, s5, s9
	s_add_u32 s0, s16, s0
	s_addc_u32 s1, s17, s1
	s_lshl_b64 s[4:5], s[20:21], 3
	s_load_dwordx2 s[0:1], s[0:1], 0x0
	v_cmp_le_i32_e64 s8, s28, v14
	v_cmp_gt_i32_e32 vcc_lo, s28, v4
	v_mov_b32_e32 v19, 0
	v_mov_b32_e32 v18, 0
	v_mov_b32_e32 v21, 0
	v_mov_b32_e32 v20, 0
	v_mov_b32_e32 v22, 0
	v_add_nc_u32_e32 v11, 0x800, v11
	v_mov_b32_e32 v23, 0
	s_waitcnt lgkmcnt(0)
	s_add_u32 s4, s0, s4
	s_addc_u32 s5, s1, s5
	s_ashr_i32 s1, s6, 31
	v_cmp_gt_i32_e64 s0, s28, v14
	s_mul_i32 s1, s18, s1
	v_lshlrev_b64 v[14:15], 3, v[4:5]
	v_add3_u32 v13, v13, s1, v10
	v_lshl_or_b32 v10, v9, 8, v2
	v_lshlrev_b64 v[4:5], 3, v[12:13]
	v_add_co_u32 v12, s1, s22, v14
	v_add_co_ci_u32_e64 v13, null, s9, v15, s1
	v_add_co_u32 v14, s1, s4, v4
	v_add_co_ci_u32_e64 v15, null, s5, v5, s1
	s_mov_b64 s[4:5], 0
	s_xor_b32 s1, vcc_lo, -1
                                        ; implicit-def: $vgpr4_vgpr5
	s_branch .LBB518_8
.LBB518_7:                              ;   in Loop: Header=BB518_8 Depth=1
	s_or_b32 exec_lo, exec_lo, s9
	ds_write_b32 v11, v24 offset:4
	s_waitcnt lgkmcnt(0)
	s_barrier
	buffer_gl0_inv
	ds_read_b128 v[24:27], v8
	ds_read2_b64 v[28:31], v7 offset1:16
	ds_read_b128 v[32:35], v8 offset:1024
	ds_read_b128 v[36:39], v8 offset:16
	;; [unrolled: 1-line block ×4, first 2 shown]
	ds_read2_b64 v[48:51], v7 offset0:32 offset1:48
	ds_read_b128 v[52:55], v8 offset:1040
	s_add_u32 s4, s4, 8
	s_addc_u32 s5, s5, 0
	v_cmp_gt_i64_e64 s9, s[12:13], s[4:5]
	s_and_b32 vcc_lo, exec_lo, s9
	s_waitcnt lgkmcnt(6)
	v_mul_f32_e32 v2, v25, v29
	v_mul_f32_e32 v56, v24, v29
	;; [unrolled: 1-line block ×4, first 2 shown]
	s_waitcnt lgkmcnt(5)
	v_mul_f32_e32 v59, v33, v29
	v_mul_f32_e32 v29, v32, v29
	;; [unrolled: 1-line block ×3, first 2 shown]
	v_fma_f32 v2, v24, v28, -v2
	v_fmac_f32_e32 v56, v25, v28
	v_fma_f32 v24, v24, v30, -v57
	v_fmac_f32_e32 v58, v25, v30
	;; [unrolled: 2-line block ×3, first 2 shown]
	v_mul_f32_e32 v31, v32, v31
	v_fma_f32 v28, v32, v30, -v60
	v_add_f32_e32 v2, v23, v2
	v_add_f32_e32 v23, v20, v24
	;; [unrolled: 1-line block ×5, first 2 shown]
	s_waitcnt lgkmcnt(1)
	v_mul_f32_e32 v32, v27, v49
	ds_read2_b64 v[18:21], v7 offset0:64 offset1:80
	v_fmac_f32_e32 v31, v33, v30
	v_add_f32_e32 v16, v16, v28
	v_mul_f32_e32 v28, v26, v49
	v_fma_f32 v30, v26, v48, -v32
	v_mul_f32_e32 v32, v27, v51
	v_add_f32_e32 v22, v22, v56
	v_add_f32_e32 v17, v17, v31
	v_fmac_f32_e32 v28, v27, v48
	v_mul_f32_e32 v31, v26, v51
	v_add_f32_e32 v2, v2, v30
	v_fma_f32 v26, v26, v50, -v32
	v_mul_f32_e32 v30, v35, v49
	v_add_f32_e32 v28, v22, v28
	v_fmac_f32_e32 v31, v27, v50
	v_mul_f32_e32 v22, v34, v49
	v_add_f32_e32 v26, v23, v26
	v_fma_f32 v23, v34, v48, -v30
	v_mul_f32_e32 v27, v35, v51
	v_add_f32_e32 v30, v24, v31
	v_fmac_f32_e32 v22, v35, v48
	v_mul_f32_e32 v31, v34, v51
	v_add_f32_e32 v32, v25, v23
	v_fma_f32 v23, v34, v50, -v27
	s_waitcnt lgkmcnt(0)
	v_mul_f32_e32 v24, v37, v19
	v_add_f32_e32 v27, v29, v22
	v_fmac_f32_e32 v31, v35, v50
	v_mul_f32_e32 v29, v36, v19
	v_add_f32_e32 v16, v16, v23
	v_fma_f32 v33, v36, v18, -v24
	v_mul_f32_e32 v34, v37, v21
	ds_read2_b64 v[22:25], v7 offset0:96 offset1:112
	v_fmac_f32_e32 v29, v37, v18
	v_add_f32_e32 v31, v17, v31
	v_add_f32_e32 v2, v2, v33
	v_mul_f32_e32 v17, v36, v21
	v_fma_f32 v33, v36, v20, -v34
	v_add_f32_e32 v28, v28, v29
	v_mul_f32_e32 v29, v53, v19
	v_mul_f32_e32 v19, v52, v19
	v_fmac_f32_e32 v17, v37, v20
	v_add_f32_e32 v26, v26, v33
	v_mul_f32_e32 v33, v53, v21
	v_mul_f32_e32 v21, v52, v21
	v_fmac_f32_e32 v19, v53, v18
	v_add_f32_e32 v30, v30, v17
	v_fma_f32 v29, v52, v18, -v29
	v_fma_f32 v17, v52, v20, -v33
	v_fmac_f32_e32 v21, v53, v20
	v_add_f32_e32 v33, v27, v19
	s_waitcnt lgkmcnt(0)
	v_mul_f32_e32 v20, v39, v23
	v_add_f32_e32 v34, v16, v17
	ds_read2_b64 v[16:19], v7 offset0:128 offset1:144
	v_add_f32_e32 v32, v32, v29
	v_mul_f32_e32 v27, v38, v23
	v_mul_f32_e32 v29, v39, v25
	v_fma_f32 v20, v38, v22, -v20
	v_add_f32_e32 v31, v31, v21
	v_mul_f32_e32 v21, v38, v25
	v_fmac_f32_e32 v27, v39, v22
	v_fma_f32 v29, v38, v24, -v29
	v_add_f32_e32 v2, v2, v20
	v_mul_f32_e32 v20, v55, v23
	v_fmac_f32_e32 v21, v39, v24
	v_add_f32_e32 v35, v28, v27
	v_add_f32_e32 v36, v26, v29
	v_mul_f32_e32 v23, v54, v23
	v_fma_f32 v20, v54, v22, -v20
	v_mul_f32_e32 v37, v55, v25
	ds_read_b128 v[26:29], v8 offset:1056
	v_add_f32_e32 v38, v30, v21
	v_fmac_f32_e32 v23, v55, v22
	v_mul_f32_e32 v25, v54, v25
	v_fma_f32 v21, v54, v24, -v37
	v_add_f32_e32 v37, v32, v20
	s_waitcnt lgkmcnt(1)
	v_mul_f32_e32 v20, v41, v17
	v_add_f32_e32 v39, v33, v23
	v_fmac_f32_e32 v25, v55, v24
	v_add_f32_e32 v24, v34, v21
	v_mul_f32_e32 v32, v41, v19
	v_fma_f32 v30, v40, v16, -v20
	ds_read2_b64 v[20:23], v7 offset0:160 offset1:176
	v_mul_f32_e32 v34, v40, v17
	v_add_f32_e32 v25, v31, v25
	v_fma_f32 v48, v40, v18, -v32
	v_mul_f32_e32 v40, v40, v19
	v_add_f32_e32 v2, v2, v30
	v_fmac_f32_e32 v34, v41, v16
	ds_read_b128 v[30:33], v8 offset:1072
	s_waitcnt lgkmcnt(2)
	v_mul_f32_e32 v49, v27, v17
	v_mul_f32_e32 v17, v26, v17
	v_fmac_f32_e32 v40, v41, v18
	v_mul_f32_e32 v41, v27, v19
	v_add_f32_e32 v34, v35, v34
	v_add_f32_e32 v35, v36, v48
	v_fma_f32 v36, v26, v16, -v49
	v_fmac_f32_e32 v17, v27, v16
	v_add_f32_e32 v38, v38, v40
	v_mul_f32_e32 v40, v26, v19
	v_fma_f32 v16, v26, v18, -v41
	v_add_f32_e32 v36, v37, v36
	v_add_f32_e32 v26, v39, v17
	s_waitcnt lgkmcnt(1)
	v_mul_f32_e32 v37, v43, v21
	v_fmac_f32_e32 v40, v27, v18
	v_add_f32_e32 v24, v24, v16
	ds_read2_b64 v[16:19], v7 offset0:192 offset1:208
	v_mul_f32_e32 v27, v42, v21
	v_fma_f32 v37, v42, v20, -v37
	v_mul_f32_e32 v39, v43, v23
	v_add_f32_e32 v40, v25, v40
	v_mul_f32_e32 v25, v42, v23
	v_fmac_f32_e32 v27, v43, v20
	v_add_f32_e32 v2, v2, v37
	v_fma_f32 v37, v42, v22, -v39
	v_fmac_f32_e32 v25, v43, v22
	v_add_f32_e32 v34, v34, v27
	v_mul_f32_e32 v27, v29, v21
	v_mul_f32_e32 v21, v28, v21
	v_add_f32_e32 v35, v35, v37
	v_mul_f32_e32 v37, v29, v23
	v_add_f32_e32 v38, v38, v25
	v_fma_f32 v27, v28, v20, -v27
	v_fmac_f32_e32 v21, v29, v20
	v_mul_f32_e32 v20, v28, v23
	v_fma_f32 v23, v28, v22, -v37
	s_waitcnt lgkmcnt(0)
	v_mul_f32_e32 v25, v45, v17
	v_add_f32_e32 v28, v36, v27
	v_add_f32_e32 v21, v26, v21
	v_fmac_f32_e32 v20, v29, v22
	v_add_f32_e32 v22, v24, v23
	v_fma_f32 v29, v44, v16, -v25
	ds_read2_b64 v[24:27], v7 offset0:224 offset1:240
	v_mul_f32_e32 v23, v44, v17
	v_mul_f32_e32 v37, v31, v17
	v_mul_f32_e32 v17, v30, v17
	v_mul_f32_e32 v36, v45, v19
	v_add_f32_e32 v2, v2, v29
	v_fmac_f32_e32 v23, v45, v16
	v_mul_f32_e32 v29, v44, v19
	v_fmac_f32_e32 v17, v31, v16
	v_fma_f32 v36, v44, v18, -v36
	v_add_f32_e32 v20, v40, v20
	v_add_f32_e32 v34, v34, v23
	v_fma_f32 v23, v30, v16, -v37
	v_mul_f32_e32 v16, v31, v19
	v_mul_f32_e32 v19, v30, v19
	v_fmac_f32_e32 v29, v45, v18
	v_add_f32_e32 v17, v21, v17
	v_add_f32_e32 v35, v35, v36
	v_fma_f32 v16, v30, v18, -v16
	v_fmac_f32_e32 v19, v31, v18
	s_waitcnt lgkmcnt(0)
	v_mul_f32_e32 v21, v47, v25
	v_mul_f32_e32 v18, v47, v27
	v_add_f32_e32 v28, v28, v23
	v_mul_f32_e32 v30, v46, v25
	v_mul_f32_e32 v31, v46, v27
	v_fma_f32 v21, v46, v24, -v21
	v_fma_f32 v18, v46, v26, -v18
	v_add_f32_e32 v36, v20, v19
	v_mul_f32_e32 v19, v32, v25
	v_add_f32_e32 v29, v38, v29
	v_add_f32_e32 v23, v2, v21
	;; [unrolled: 1-line block ×3, first 2 shown]
	v_mul_f32_e32 v2, v33, v25
	v_mul_f32_e32 v18, v33, v27
	;; [unrolled: 1-line block ×3, first 2 shown]
	v_add_f32_e32 v16, v22, v16
	v_fmac_f32_e32 v30, v47, v24
	v_fmac_f32_e32 v31, v47, v26
	v_fma_f32 v2, v32, v24, -v2
	v_fmac_f32_e32 v19, v33, v24
	v_fma_f32 v24, v32, v26, -v18
	v_fmac_f32_e32 v25, v33, v26
	v_add_f32_e32 v22, v34, v30
	v_add_f32_e32 v21, v29, v31
	;; [unrolled: 1-line block ×6, first 2 shown]
	s_barrier
	buffer_gl0_inv
	s_cbranch_vccz .LBB518_18
.LBB518_8:                              ; =>This Inner Loop Header: Depth=1
	s_mov_b32 s17, s8
	s_mov_b32 s9, 0
	s_and_saveexec_b32 s16, s0
	s_cbranch_execnz .LBB518_16
; %bb.9:                                ;   in Loop: Header=BB518_8 Depth=1
	s_or_b32 exec_lo, exec_lo, s16
	s_and_saveexec_b32 s16, s17
	s_xor_b32 s16, exec_lo, s16
	s_cbranch_execnz .LBB518_17
.LBB518_10:                             ;   in Loop: Header=BB518_8 Depth=1
	s_or_b32 exec_lo, exec_lo, s16
	s_and_saveexec_b32 s16, s9
	s_cbranch_execz .LBB518_12
.LBB518_11:                             ;   in Loop: Header=BB518_8 Depth=1
	v_lshlrev_b64 v[24:25], 3, v[4:5]
	v_add_co_u32 v24, vcc_lo, v14, v24
	v_add_co_ci_u32_e64 v25, null, v15, v25, vcc_lo
	flat_load_dwordx2 v[24:25], v[24:25]
	s_waitcnt vmcnt(0) lgkmcnt(0)
	ds_write_b64 v10, v[24:25]
.LBB518_12:                             ;   in Loop: Header=BB518_8 Depth=1
	s_or_b32 exec_lo, exec_lo, s16
	v_add_nc_u32_e32 v2, s4, v6
	v_cmp_le_u64_e32 vcc_lo, s[12:13], v[2:3]
	s_or_b32 s9, vcc_lo, s1
	s_and_saveexec_b32 s16, s9
	s_xor_b32 s9, exec_lo, s16
; %bb.13:                               ;   in Loop: Header=BB518_8 Depth=1
	ds_write_b32 v11, v3
; %bb.14:                               ;   in Loop: Header=BB518_8 Depth=1
	s_or_saveexec_b32 s9, s9
	v_mov_b32_e32 v24, 0
	s_xor_b32 exec_lo, exec_lo, s9
	s_cbranch_execz .LBB518_7
; %bb.15:                               ;   in Loop: Header=BB518_8 Depth=1
	v_mad_u64_u32 v[24:25], null, s24, v2, 0
	v_mad_u64_u32 v[25:26], null, s25, v2, v[25:26]
	v_lshlrev_b64 v[24:25], 3, v[24:25]
	v_add_co_u32 v24, vcc_lo, v12, v24
	v_add_co_ci_u32_e64 v25, null, v13, v25, vcc_lo
	flat_load_dwordx2 v[25:26], v[24:25]
	s_waitcnt vmcnt(0) lgkmcnt(0)
	v_xor_b32_e32 v24, 0x80000000, v26
	ds_write_b32 v11, v25
	s_branch .LBB518_7
.LBB518_16:                             ;   in Loop: Header=BB518_8 Depth=1
	v_add_nc_u32_e32 v2, s4, v9
	v_mov_b32_e32 v5, v3
	s_andn2_b32 s17, s8, exec_lo
	s_mov_b32 s9, exec_lo
	v_cmp_le_u64_e32 vcc_lo, s[12:13], v[2:3]
	v_mov_b32_e32 v4, v2
	s_and_b32 s18, vcc_lo, exec_lo
	s_or_b32 s17, s17, s18
	s_or_b32 exec_lo, exec_lo, s16
	s_and_saveexec_b32 s16, s17
	s_xor_b32 s16, exec_lo, s16
	s_cbranch_execz .LBB518_10
.LBB518_17:                             ;   in Loop: Header=BB518_8 Depth=1
	v_mov_b32_e32 v2, v3
	s_andn2_b32 s9, s9, exec_lo
	ds_write_b64 v10, v[2:3]
	s_or_b32 exec_lo, exec_lo, s16
	s_and_saveexec_b32 s16, s9
	s_cbranch_execnz .LBB518_11
	s_branch .LBB518_12
.LBB518_18:
	v_add_nc_u32_e32 v9, s7, v1
	s_lshl_b64 s[0:1], s[42:43], 3
	v_add_nc_u32_e32 v0, s6, v0
	v_cmp_neq_f32_e64 s5, s10, 0
	s_waitcnt lgkmcnt(0)
	s_add_u32 s4, s2, s0
	v_ashrrev_i32_e32 v3, 31, v9
	v_mul_lo_u32 v4, s41, v9
	v_mad_u64_u32 v[1:2], null, s40, v9, 0
	s_addc_u32 s3, s3, s1
	v_mul_lo_u32 v3, s40, v3
	s_xor_b32 s2, s29, -1
	v_cmp_le_i32_e32 vcc_lo, v9, v0
	v_cmp_gt_i32_e64 s0, s28, v0
	s_or_b32 s2, s5, s2
	v_cndmask_b32_e64 v8, 0, 1, s2
	s_and_b32 s5, vcc_lo, s0
	v_add3_u32 v2, v2, v3, v4
	v_lshlrev_b64 v[2:3], 3, v[1:2]
	v_ashrrev_i32_e32 v1, 31, v0
	v_add_co_u32 v6, s1, s4, v2
	v_add_co_ci_u32_e64 v7, null, s3, v3, s1
	s_and_saveexec_b32 s1, s5
	s_cbranch_execz .LBB518_22
; %bb.19:
	v_lshlrev_b64 v[4:5], 3, v[0:1]
	v_mul_f32_e32 v2, s15, v22
	v_mul_f32_e32 v3, s14, v22
	v_fma_f32 v2, v23, s14, -v2
	v_add_co_u32 v4, vcc_lo, v6, v4
	v_fmac_f32_e32 v3, s15, v23
	v_add_co_ci_u32_e64 v5, null, v7, v5, vcc_lo
	s_andn2_b32 vcc_lo, exec_lo, s2
	s_cbranch_vccnz .LBB518_21
; %bb.20:
	flat_load_dwordx2 v[10:11], v[4:5]
	s_waitcnt vmcnt(0) lgkmcnt(0)
	v_mul_f32_e32 v12, s11, v11
	v_mul_f32_e32 v11, s10, v11
	v_fma_f32 v12, v10, s10, -v12
	v_fmac_f32_e32 v11, s11, v10
	v_add_f32_e32 v2, v2, v12
	v_add_f32_e32 v3, v3, v11
.LBB518_21:
	flat_store_dwordx2 v[4:5], v[2:3]
.LBB518_22:
	s_or_b32 exec_lo, exec_lo, s1
	v_add_nc_u32_e32 v2, 16, v0
	v_cmp_le_i32_e32 vcc_lo, v9, v2
	v_cmp_gt_i32_e64 s1, s28, v2
	v_ashrrev_i32_e32 v3, 31, v2
	s_and_b32 s2, vcc_lo, s1
	s_and_saveexec_b32 s5, s2
	s_cbranch_execz .LBB518_26
; %bb.23:
	v_lshlrev_b64 v[10:11], 3, v[2:3]
	v_mul_f32_e32 v4, s15, v21
	v_mul_f32_e32 v5, s14, v21
	v_cmp_ne_u32_e32 vcc_lo, 1, v8
	v_fma_f32 v4, v20, s14, -v4
	v_add_co_u32 v6, s2, v6, v10
	v_fmac_f32_e32 v5, s15, v20
	v_add_co_ci_u32_e64 v7, null, v7, v11, s2
	s_cbranch_vccnz .LBB518_25
; %bb.24:
	flat_load_dwordx2 v[10:11], v[6:7]
	s_waitcnt vmcnt(0) lgkmcnt(0)
	v_mul_f32_e32 v12, s11, v11
	v_mul_f32_e32 v11, s10, v11
	v_fma_f32 v12, v10, s10, -v12
	v_fmac_f32_e32 v11, s11, v10
	v_add_f32_e32 v4, v4, v12
	v_add_f32_e32 v5, v5, v11
.LBB518_25:
	flat_store_dwordx2 v[6:7], v[4:5]
.LBB518_26:
	s_or_b32 exec_lo, exec_lo, s5
	v_add_nc_u32_e32 v9, 16, v9
	v_ashrrev_i32_e32 v6, 31, v9
	v_mul_lo_u32 v7, s41, v9
	v_mad_u64_u32 v[4:5], null, s40, v9, 0
	v_cmp_le_i32_e32 vcc_lo, v9, v0
	v_mul_lo_u32 v6, s40, v6
	s_and_b32 s0, vcc_lo, s0
	v_add3_u32 v5, v5, v6, v7
	v_lshlrev_b64 v[4:5], 3, v[4:5]
	v_add_co_u32 v6, s2, s4, v4
	v_add_co_ci_u32_e64 v7, null, s3, v5, s2
	s_and_saveexec_b32 s2, s0
	s_cbranch_execz .LBB518_30
; %bb.27:
	v_lshlrev_b64 v[0:1], 3, v[0:1]
	v_mul_f32_e32 v4, s15, v19
	v_mul_f32_e32 v5, s14, v19
	v_cmp_ne_u32_e32 vcc_lo, 1, v8
	v_fma_f32 v4, v18, s14, -v4
	v_add_co_u32 v0, s0, v6, v0
	v_fmac_f32_e32 v5, s15, v18
	v_add_co_ci_u32_e64 v1, null, v7, v1, s0
	s_cbranch_vccnz .LBB518_29
; %bb.28:
	flat_load_dwordx2 v[10:11], v[0:1]
	s_waitcnt vmcnt(0) lgkmcnt(0)
	v_mul_f32_e32 v12, s11, v11
	v_mul_f32_e32 v11, s10, v11
	v_fma_f32 v12, v10, s10, -v12
	v_fmac_f32_e32 v11, s11, v10
	v_add_f32_e32 v4, v4, v12
	v_add_f32_e32 v5, v5, v11
.LBB518_29:
	flat_store_dwordx2 v[0:1], v[4:5]
.LBB518_30:
	s_or_b32 exec_lo, exec_lo, s2
	v_cmp_le_i32_e32 vcc_lo, v9, v2
	s_and_b32 s0, vcc_lo, s1
	s_and_saveexec_b32 s1, s0
	s_cbranch_execz .LBB518_34
; %bb.31:
	v_lshlrev_b64 v[2:3], 3, v[2:3]
	v_mul_f32_e32 v0, s15, v17
	v_mul_f32_e32 v1, s14, v17
	v_cmp_ne_u32_e32 vcc_lo, 1, v8
	v_fma_f32 v0, v16, s14, -v0
	v_add_co_u32 v2, s0, v6, v2
	v_fmac_f32_e32 v1, s15, v16
	v_add_co_ci_u32_e64 v3, null, v7, v3, s0
	s_cbranch_vccnz .LBB518_33
; %bb.32:
	flat_load_dwordx2 v[4:5], v[2:3]
	s_waitcnt vmcnt(0) lgkmcnt(0)
	v_mul_f32_e32 v6, s11, v5
	v_mul_f32_e32 v5, s10, v5
	v_fma_f32 v6, v4, s10, -v6
	v_fmac_f32_e32 v5, s11, v4
	v_add_f32_e32 v0, v0, v6
	v_add_f32_e32 v1, v1, v5
.LBB518_33:
	flat_store_dwordx2 v[2:3], v[0:1]
.LBB518_34:
	s_endpgm
	.section	.rodata,"a",@progbits
	.p2align	6, 0x0
	.amdhsa_kernel _ZL29rocblas_internal_gemmt_kernelIlLi16ELi32ELi8ELc84ELc67ELc76ELb0ELb1E19rocblas_complex_numIfEPKS1_PKS3_PKPS1_EviT_T9_T10_S9_lSB_S9_lSA_T11_S9_li
		.amdhsa_group_segment_fixed_size 4096
		.amdhsa_private_segment_fixed_size 0
		.amdhsa_kernarg_size 108
		.amdhsa_user_sgpr_count 6
		.amdhsa_user_sgpr_private_segment_buffer 1
		.amdhsa_user_sgpr_dispatch_ptr 0
		.amdhsa_user_sgpr_queue_ptr 0
		.amdhsa_user_sgpr_kernarg_segment_ptr 1
		.amdhsa_user_sgpr_dispatch_id 0
		.amdhsa_user_sgpr_flat_scratch_init 0
		.amdhsa_user_sgpr_private_segment_size 0
		.amdhsa_wavefront_size32 1
		.amdhsa_uses_dynamic_stack 0
		.amdhsa_system_sgpr_private_segment_wavefront_offset 0
		.amdhsa_system_sgpr_workgroup_id_x 1
		.amdhsa_system_sgpr_workgroup_id_y 1
		.amdhsa_system_sgpr_workgroup_id_z 1
		.amdhsa_system_sgpr_workgroup_info 0
		.amdhsa_system_vgpr_workitem_id 1
		.amdhsa_next_free_vgpr 61
		.amdhsa_next_free_sgpr 44
		.amdhsa_reserve_vcc 1
		.amdhsa_reserve_flat_scratch 0
		.amdhsa_float_round_mode_32 0
		.amdhsa_float_round_mode_16_64 0
		.amdhsa_float_denorm_mode_32 3
		.amdhsa_float_denorm_mode_16_64 3
		.amdhsa_dx10_clamp 1
		.amdhsa_ieee_mode 1
		.amdhsa_fp16_overflow 0
		.amdhsa_workgroup_processor_mode 1
		.amdhsa_memory_ordered 1
		.amdhsa_forward_progress 1
		.amdhsa_shared_vgpr_count 0
		.amdhsa_exception_fp_ieee_invalid_op 0
		.amdhsa_exception_fp_denorm_src 0
		.amdhsa_exception_fp_ieee_div_zero 0
		.amdhsa_exception_fp_ieee_overflow 0
		.amdhsa_exception_fp_ieee_underflow 0
		.amdhsa_exception_fp_ieee_inexact 0
		.amdhsa_exception_int_div_zero 0
	.end_amdhsa_kernel
	.section	.text._ZL29rocblas_internal_gemmt_kernelIlLi16ELi32ELi8ELc84ELc67ELc76ELb0ELb1E19rocblas_complex_numIfEPKS1_PKS3_PKPS1_EviT_T9_T10_S9_lSB_S9_lSA_T11_S9_li,"axG",@progbits,_ZL29rocblas_internal_gemmt_kernelIlLi16ELi32ELi8ELc84ELc67ELc76ELb0ELb1E19rocblas_complex_numIfEPKS1_PKS3_PKPS1_EviT_T9_T10_S9_lSB_S9_lSA_T11_S9_li,comdat
.Lfunc_end518:
	.size	_ZL29rocblas_internal_gemmt_kernelIlLi16ELi32ELi8ELc84ELc67ELc76ELb0ELb1E19rocblas_complex_numIfEPKS1_PKS3_PKPS1_EviT_T9_T10_S9_lSB_S9_lSA_T11_S9_li, .Lfunc_end518-_ZL29rocblas_internal_gemmt_kernelIlLi16ELi32ELi8ELc84ELc67ELc76ELb0ELb1E19rocblas_complex_numIfEPKS1_PKS3_PKPS1_EviT_T9_T10_S9_lSB_S9_lSA_T11_S9_li
                                        ; -- End function
	.set _ZL29rocblas_internal_gemmt_kernelIlLi16ELi32ELi8ELc84ELc67ELc76ELb0ELb1E19rocblas_complex_numIfEPKS1_PKS3_PKPS1_EviT_T9_T10_S9_lSB_S9_lSA_T11_S9_li.num_vgpr, 61
	.set _ZL29rocblas_internal_gemmt_kernelIlLi16ELi32ELi8ELc84ELc67ELc76ELb0ELb1E19rocblas_complex_numIfEPKS1_PKS3_PKPS1_EviT_T9_T10_S9_lSB_S9_lSA_T11_S9_li.num_agpr, 0
	.set _ZL29rocblas_internal_gemmt_kernelIlLi16ELi32ELi8ELc84ELc67ELc76ELb0ELb1E19rocblas_complex_numIfEPKS1_PKS3_PKPS1_EviT_T9_T10_S9_lSB_S9_lSA_T11_S9_li.numbered_sgpr, 44
	.set _ZL29rocblas_internal_gemmt_kernelIlLi16ELi32ELi8ELc84ELc67ELc76ELb0ELb1E19rocblas_complex_numIfEPKS1_PKS3_PKPS1_EviT_T9_T10_S9_lSB_S9_lSA_T11_S9_li.num_named_barrier, 0
	.set _ZL29rocblas_internal_gemmt_kernelIlLi16ELi32ELi8ELc84ELc67ELc76ELb0ELb1E19rocblas_complex_numIfEPKS1_PKS3_PKPS1_EviT_T9_T10_S9_lSB_S9_lSA_T11_S9_li.private_seg_size, 0
	.set _ZL29rocblas_internal_gemmt_kernelIlLi16ELi32ELi8ELc84ELc67ELc76ELb0ELb1E19rocblas_complex_numIfEPKS1_PKS3_PKPS1_EviT_T9_T10_S9_lSB_S9_lSA_T11_S9_li.uses_vcc, 1
	.set _ZL29rocblas_internal_gemmt_kernelIlLi16ELi32ELi8ELc84ELc67ELc76ELb0ELb1E19rocblas_complex_numIfEPKS1_PKS3_PKPS1_EviT_T9_T10_S9_lSB_S9_lSA_T11_S9_li.uses_flat_scratch, 0
	.set _ZL29rocblas_internal_gemmt_kernelIlLi16ELi32ELi8ELc84ELc67ELc76ELb0ELb1E19rocblas_complex_numIfEPKS1_PKS3_PKPS1_EviT_T9_T10_S9_lSB_S9_lSA_T11_S9_li.has_dyn_sized_stack, 0
	.set _ZL29rocblas_internal_gemmt_kernelIlLi16ELi32ELi8ELc84ELc67ELc76ELb0ELb1E19rocblas_complex_numIfEPKS1_PKS3_PKPS1_EviT_T9_T10_S9_lSB_S9_lSA_T11_S9_li.has_recursion, 0
	.set _ZL29rocblas_internal_gemmt_kernelIlLi16ELi32ELi8ELc84ELc67ELc76ELb0ELb1E19rocblas_complex_numIfEPKS1_PKS3_PKPS1_EviT_T9_T10_S9_lSB_S9_lSA_T11_S9_li.has_indirect_call, 0
	.section	.AMDGPU.csdata,"",@progbits
; Kernel info:
; codeLenInByte = 2632
; TotalNumSgprs: 46
; NumVgprs: 61
; ScratchSize: 0
; MemoryBound: 0
; FloatMode: 240
; IeeeMode: 1
; LDSByteSize: 4096 bytes/workgroup (compile time only)
; SGPRBlocks: 0
; VGPRBlocks: 7
; NumSGPRsForWavesPerEU: 46
; NumVGPRsForWavesPerEU: 61
; Occupancy: 16
; WaveLimiterHint : 1
; COMPUTE_PGM_RSRC2:SCRATCH_EN: 0
; COMPUTE_PGM_RSRC2:USER_SGPR: 6
; COMPUTE_PGM_RSRC2:TRAP_HANDLER: 0
; COMPUTE_PGM_RSRC2:TGID_X_EN: 1
; COMPUTE_PGM_RSRC2:TGID_Y_EN: 1
; COMPUTE_PGM_RSRC2:TGID_Z_EN: 1
; COMPUTE_PGM_RSRC2:TIDIG_COMP_CNT: 1
	.section	.text._ZL29rocblas_internal_gemmt_kernelIlLi16ELi32ELi8ELc67ELc78ELc76ELb1ELb0E19rocblas_complex_numIfEPKS1_PKS3_PKPS1_EviT_T9_T10_S9_lSB_S9_lSA_T11_S9_li,"axG",@progbits,_ZL29rocblas_internal_gemmt_kernelIlLi16ELi32ELi8ELc67ELc78ELc76ELb1ELb0E19rocblas_complex_numIfEPKS1_PKS3_PKPS1_EviT_T9_T10_S9_lSB_S9_lSA_T11_S9_li,comdat
	.globl	_ZL29rocblas_internal_gemmt_kernelIlLi16ELi32ELi8ELc67ELc78ELc76ELb1ELb0E19rocblas_complex_numIfEPKS1_PKS3_PKPS1_EviT_T9_T10_S9_lSB_S9_lSA_T11_S9_li ; -- Begin function _ZL29rocblas_internal_gemmt_kernelIlLi16ELi32ELi8ELc67ELc78ELc76ELb1ELb0E19rocblas_complex_numIfEPKS1_PKS3_PKPS1_EviT_T9_T10_S9_lSB_S9_lSA_T11_S9_li
	.p2align	8
	.type	_ZL29rocblas_internal_gemmt_kernelIlLi16ELi32ELi8ELc67ELc78ELc76ELb1ELb0E19rocblas_complex_numIfEPKS1_PKS3_PKPS1_EviT_T9_T10_S9_lSB_S9_lSA_T11_S9_li,@function
_ZL29rocblas_internal_gemmt_kernelIlLi16ELi32ELi8ELc67ELc78ELc76ELb1ELb0E19rocblas_complex_numIfEPKS1_PKS3_PKPS1_EviT_T9_T10_S9_lSB_S9_lSA_T11_S9_li: ; @_ZL29rocblas_internal_gemmt_kernelIlLi16ELi32ELi8ELc67ELc78ELc76ELb1ELb0E19rocblas_complex_numIfEPKS1_PKS3_PKPS1_EviT_T9_T10_S9_lSB_S9_lSA_T11_S9_li
; %bb.0:
	s_clause 0x1
	s_load_dwordx8 s[36:43], s[4:5], 0x48
	s_load_dwordx16 s[12:27], s[4:5], 0x8
	s_waitcnt lgkmcnt(0)
	s_load_dwordx2 s[10:11], s[36:37], 0x0
	s_load_dwordx2 s[14:15], s[14:15], 0x0
	s_waitcnt lgkmcnt(0)
	s_and_b32 s0, s11, 0x7fffffff
	v_cmp_eq_f32_e64 s1, s10, 1.0
	s_cmp_eq_u32 s0, 0
	s_mov_b32 s0, 0
	s_cselect_b32 s29, -1, 0
	s_and_b32 s1, s1, s29
	s_andn2_b32 vcc_lo, exec_lo, s1
	s_mov_b32 s1, -1
	s_cbranch_vccnz .LBB519_4
; %bb.1:
	s_cmp_lg_u64 s[12:13], 0
	s_cbranch_scc0 .LBB519_3
; %bb.2:
	v_cmp_neq_f32_e64 s0, s14, 0
	v_cmp_neq_f32_e64 s1, s15, 0
	s_or_b32 s0, s0, s1
.LBB519_3:
	s_mov_b32 s1, s0
.LBB519_4:
	s_and_b32 vcc_lo, exec_lo, s1
	s_cbranch_vccz .LBB519_34
; %bb.5:
	s_mov_b32 s9, 0
	s_load_dword s28, s[4:5], 0x0
	s_lshl_b64 s[0:1], s[8:9], 3
	v_cmp_eq_f32_e64 s4, s14, 0
	s_add_u32 s2, s38, s0
	s_addc_u32 s3, s39, s1
	v_cmp_eq_f32_e64 s5, s15, 0
	s_load_dwordx2 s[2:3], s[2:3], 0x0
	v_cmp_lt_i64_e64 s8, s[12:13], 1
	v_mov_b32_e32 v23, 0
	v_mov_b32_e32 v22, 0
	s_and_b32 s4, s4, s5
	v_mov_b32_e32 v20, 0
	v_mov_b32_e32 v21, 0
	;; [unrolled: 1-line block ×6, first 2 shown]
	s_or_b32 s4, s4, s8
	s_lshl_b32 s6, s6, 5
	s_and_b32 vcc_lo, exec_lo, s4
	s_lshl_b32 s7, s7, 5
	s_cbranch_vccnz .LBB519_18
; %bb.6:
	s_add_u32 s4, s22, s0
	s_addc_u32 s5, s23, s1
	s_lshl_b64 s[8:9], s[26:27], 3
	s_load_dwordx2 s[4:5], s[4:5], 0x0
	v_lshl_add_u32 v2, v1, 4, v0
	v_and_b32_e32 v6, 7, v0
	v_lshlrev_b32_e32 v7, 3, v0
	v_lshl_add_u32 v8, v1, 6, 0x800
	v_mov_b32_e32 v3, 0
	v_lshrrev_b32_e32 v10, 3, v2
	v_and_b32_e32 v12, 31, v2
	v_lshlrev_b32_e32 v13, 3, v6
	v_mov_b32_e32 v17, 0
	v_mov_b32_e32 v16, 0
	v_add_nc_u32_e32 v11, s7, v10
	v_or_b32_e32 v14, s6, v12
	v_lshl_or_b32 v24, v10, 6, v13
	v_mov_b32_e32 v19, 0
	v_mov_b32_e32 v18, 0
	v_ashrrev_i32_e32 v9, 31, v11
	v_mul_lo_u32 v15, s25, v11
	v_mad_u64_u32 v[4:5], null, s24, v11, 0
	s_waitcnt lgkmcnt(0)
	s_add_u32 s22, s4, s8
	s_addc_u32 s9, s5, s9
	s_add_u32 s0, s16, s0
	s_addc_u32 s1, s17, s1
	v_mul_lo_u32 v23, s24, v9
	s_load_dwordx2 s[0:1], s[0:1], 0x0
	v_lshrrev_b32_e32 v9, 5, v2
	v_lshlrev_b32_e32 v2, 3, v12
	v_mul_lo_u32 v10, s19, v14
	v_mad_u64_u32 v[12:13], null, s18, v14, 0
	s_lshl_b64 s[4:5], s[20:21], 3
	v_add3_u32 v5, v5, v23, v15
	v_cmp_le_i32_e64 s8, s28, v14
	v_cmp_gt_i32_e32 vcc_lo, s28, v11
	v_mov_b32_e32 v21, 0
	v_mov_b32_e32 v20, 0
	v_lshlrev_b64 v[4:5], 3, v[4:5]
	v_mov_b32_e32 v22, 0
	v_add_nc_u32_e32 v11, 0x800, v24
	v_mov_b32_e32 v23, 0
	s_waitcnt lgkmcnt(0)
	s_add_u32 s4, s0, s4
	s_addc_u32 s5, s1, s5
	s_ashr_i32 s1, s6, 31
	v_cmp_gt_i32_e64 s0, s28, v14
	s_mul_i32 s1, s18, s1
	v_add3_u32 v13, v13, s1, v10
	v_lshl_or_b32 v10, v9, 8, v2
	v_lshlrev_b64 v[14:15], 3, v[12:13]
	v_add_co_u32 v12, s1, s22, v4
	v_add_co_ci_u32_e64 v13, null, s9, v5, s1
                                        ; implicit-def: $vgpr4_vgpr5
	v_add_co_u32 v14, s1, s4, v14
	v_add_co_ci_u32_e64 v15, null, s5, v15, s1
	s_mov_b64 s[4:5], 0
	s_xor_b32 s1, vcc_lo, -1
	s_branch .LBB519_8
.LBB519_7:                              ;   in Loop: Header=BB519_8 Depth=1
	s_or_b32 exec_lo, exec_lo, s9
	s_waitcnt lgkmcnt(0)
	s_barrier
	buffer_gl0_inv
	ds_read_b128 v[24:27], v8
	ds_read2_b64 v[28:31], v7 offset1:16
	ds_read_b128 v[32:35], v8 offset:1024
	ds_read_b128 v[36:39], v8 offset:16
	;; [unrolled: 1-line block ×4, first 2 shown]
	ds_read2_b64 v[48:51], v7 offset0:32 offset1:48
	ds_read_b128 v[52:55], v8 offset:1040
	s_add_u32 s4, s4, 8
	s_addc_u32 s5, s5, 0
	v_cmp_gt_i64_e64 s9, s[12:13], s[4:5]
	s_and_b32 vcc_lo, exec_lo, s9
	s_waitcnt lgkmcnt(6)
	v_mul_f32_e32 v2, v25, v29
	v_mul_f32_e32 v56, v24, v29
	;; [unrolled: 1-line block ×4, first 2 shown]
	s_waitcnt lgkmcnt(5)
	v_mul_f32_e32 v59, v33, v29
	v_mul_f32_e32 v29, v32, v29
	;; [unrolled: 1-line block ×3, first 2 shown]
	v_fma_f32 v2, v24, v28, -v2
	v_fmac_f32_e32 v56, v25, v28
	v_fma_f32 v24, v24, v30, -v57
	v_fmac_f32_e32 v58, v25, v30
	;; [unrolled: 2-line block ×3, first 2 shown]
	v_mul_f32_e32 v31, v32, v31
	v_fma_f32 v28, v32, v30, -v60
	v_add_f32_e32 v2, v23, v2
	v_add_f32_e32 v23, v20, v24
	;; [unrolled: 1-line block ×5, first 2 shown]
	s_waitcnt lgkmcnt(1)
	v_mul_f32_e32 v32, v27, v49
	ds_read2_b64 v[18:21], v7 offset0:64 offset1:80
	v_fmac_f32_e32 v31, v33, v30
	v_add_f32_e32 v16, v16, v28
	v_mul_f32_e32 v28, v26, v49
	v_fma_f32 v30, v26, v48, -v32
	v_mul_f32_e32 v32, v27, v51
	v_add_f32_e32 v22, v22, v56
	v_add_f32_e32 v17, v17, v31
	v_fmac_f32_e32 v28, v27, v48
	v_mul_f32_e32 v31, v26, v51
	v_add_f32_e32 v2, v2, v30
	v_fma_f32 v26, v26, v50, -v32
	v_mul_f32_e32 v30, v35, v49
	v_add_f32_e32 v28, v22, v28
	v_fmac_f32_e32 v31, v27, v50
	v_mul_f32_e32 v22, v34, v49
	v_add_f32_e32 v26, v23, v26
	v_fma_f32 v23, v34, v48, -v30
	v_mul_f32_e32 v27, v35, v51
	v_add_f32_e32 v30, v24, v31
	v_fmac_f32_e32 v22, v35, v48
	v_mul_f32_e32 v31, v34, v51
	v_add_f32_e32 v32, v25, v23
	v_fma_f32 v23, v34, v50, -v27
	s_waitcnt lgkmcnt(0)
	v_mul_f32_e32 v24, v37, v19
	v_add_f32_e32 v27, v29, v22
	v_fmac_f32_e32 v31, v35, v50
	v_mul_f32_e32 v29, v36, v19
	v_add_f32_e32 v16, v16, v23
	v_fma_f32 v33, v36, v18, -v24
	v_mul_f32_e32 v34, v37, v21
	ds_read2_b64 v[22:25], v7 offset0:96 offset1:112
	v_fmac_f32_e32 v29, v37, v18
	v_add_f32_e32 v31, v17, v31
	v_add_f32_e32 v2, v2, v33
	v_mul_f32_e32 v17, v36, v21
	v_fma_f32 v33, v36, v20, -v34
	v_add_f32_e32 v28, v28, v29
	v_mul_f32_e32 v29, v53, v19
	v_mul_f32_e32 v19, v52, v19
	v_fmac_f32_e32 v17, v37, v20
	v_add_f32_e32 v26, v26, v33
	v_mul_f32_e32 v33, v53, v21
	v_mul_f32_e32 v21, v52, v21
	v_fmac_f32_e32 v19, v53, v18
	v_add_f32_e32 v30, v30, v17
	v_fma_f32 v29, v52, v18, -v29
	v_fma_f32 v17, v52, v20, -v33
	v_fmac_f32_e32 v21, v53, v20
	v_add_f32_e32 v33, v27, v19
	s_waitcnt lgkmcnt(0)
	v_mul_f32_e32 v20, v39, v23
	v_add_f32_e32 v34, v16, v17
	ds_read2_b64 v[16:19], v7 offset0:128 offset1:144
	v_add_f32_e32 v32, v32, v29
	v_mul_f32_e32 v27, v38, v23
	v_mul_f32_e32 v29, v39, v25
	v_fma_f32 v20, v38, v22, -v20
	v_add_f32_e32 v31, v31, v21
	v_mul_f32_e32 v21, v38, v25
	v_fmac_f32_e32 v27, v39, v22
	v_fma_f32 v29, v38, v24, -v29
	v_add_f32_e32 v2, v2, v20
	v_mul_f32_e32 v20, v55, v23
	v_fmac_f32_e32 v21, v39, v24
	v_add_f32_e32 v35, v28, v27
	v_add_f32_e32 v36, v26, v29
	v_mul_f32_e32 v23, v54, v23
	v_fma_f32 v20, v54, v22, -v20
	v_mul_f32_e32 v37, v55, v25
	ds_read_b128 v[26:29], v8 offset:1056
	v_add_f32_e32 v38, v30, v21
	v_fmac_f32_e32 v23, v55, v22
	v_mul_f32_e32 v25, v54, v25
	v_fma_f32 v21, v54, v24, -v37
	v_add_f32_e32 v37, v32, v20
	s_waitcnt lgkmcnt(1)
	v_mul_f32_e32 v20, v41, v17
	v_add_f32_e32 v39, v33, v23
	v_fmac_f32_e32 v25, v55, v24
	v_add_f32_e32 v24, v34, v21
	v_mul_f32_e32 v32, v41, v19
	v_fma_f32 v30, v40, v16, -v20
	ds_read2_b64 v[20:23], v7 offset0:160 offset1:176
	v_mul_f32_e32 v34, v40, v17
	v_add_f32_e32 v25, v31, v25
	v_fma_f32 v48, v40, v18, -v32
	v_mul_f32_e32 v40, v40, v19
	v_add_f32_e32 v2, v2, v30
	v_fmac_f32_e32 v34, v41, v16
	ds_read_b128 v[30:33], v8 offset:1072
	s_waitcnt lgkmcnt(2)
	v_mul_f32_e32 v49, v27, v17
	v_mul_f32_e32 v17, v26, v17
	v_fmac_f32_e32 v40, v41, v18
	v_mul_f32_e32 v41, v27, v19
	v_add_f32_e32 v34, v35, v34
	v_add_f32_e32 v35, v36, v48
	v_fma_f32 v36, v26, v16, -v49
	v_fmac_f32_e32 v17, v27, v16
	v_add_f32_e32 v38, v38, v40
	v_mul_f32_e32 v40, v26, v19
	v_fma_f32 v16, v26, v18, -v41
	v_add_f32_e32 v36, v37, v36
	v_add_f32_e32 v26, v39, v17
	s_waitcnt lgkmcnt(1)
	v_mul_f32_e32 v37, v43, v21
	v_fmac_f32_e32 v40, v27, v18
	v_add_f32_e32 v24, v24, v16
	ds_read2_b64 v[16:19], v7 offset0:192 offset1:208
	v_mul_f32_e32 v27, v42, v21
	v_fma_f32 v37, v42, v20, -v37
	v_mul_f32_e32 v39, v43, v23
	v_add_f32_e32 v40, v25, v40
	v_mul_f32_e32 v25, v42, v23
	v_fmac_f32_e32 v27, v43, v20
	v_add_f32_e32 v2, v2, v37
	v_fma_f32 v37, v42, v22, -v39
	v_fmac_f32_e32 v25, v43, v22
	v_add_f32_e32 v34, v34, v27
	v_mul_f32_e32 v27, v29, v21
	v_mul_f32_e32 v21, v28, v21
	v_add_f32_e32 v35, v35, v37
	v_mul_f32_e32 v37, v29, v23
	v_add_f32_e32 v38, v38, v25
	v_fma_f32 v27, v28, v20, -v27
	v_fmac_f32_e32 v21, v29, v20
	v_mul_f32_e32 v20, v28, v23
	v_fma_f32 v23, v28, v22, -v37
	s_waitcnt lgkmcnt(0)
	v_mul_f32_e32 v25, v45, v17
	v_add_f32_e32 v28, v36, v27
	v_add_f32_e32 v21, v26, v21
	v_fmac_f32_e32 v20, v29, v22
	v_add_f32_e32 v22, v24, v23
	v_fma_f32 v29, v44, v16, -v25
	ds_read2_b64 v[24:27], v7 offset0:224 offset1:240
	v_mul_f32_e32 v23, v44, v17
	v_mul_f32_e32 v37, v31, v17
	;; [unrolled: 1-line block ×4, first 2 shown]
	v_add_f32_e32 v2, v2, v29
	v_fmac_f32_e32 v23, v45, v16
	v_mul_f32_e32 v29, v44, v19
	v_fmac_f32_e32 v17, v31, v16
	v_fma_f32 v36, v44, v18, -v36
	v_add_f32_e32 v20, v40, v20
	v_add_f32_e32 v34, v34, v23
	v_fma_f32 v23, v30, v16, -v37
	v_mul_f32_e32 v16, v31, v19
	v_mul_f32_e32 v19, v30, v19
	v_fmac_f32_e32 v29, v45, v18
	v_add_f32_e32 v17, v21, v17
	v_add_f32_e32 v35, v35, v36
	v_fma_f32 v16, v30, v18, -v16
	v_fmac_f32_e32 v19, v31, v18
	s_waitcnt lgkmcnt(0)
	v_mul_f32_e32 v21, v47, v25
	v_mul_f32_e32 v18, v47, v27
	v_add_f32_e32 v28, v28, v23
	v_mul_f32_e32 v30, v46, v25
	v_mul_f32_e32 v31, v46, v27
	v_fma_f32 v21, v46, v24, -v21
	v_fma_f32 v18, v46, v26, -v18
	v_add_f32_e32 v36, v20, v19
	v_mul_f32_e32 v19, v32, v25
	v_add_f32_e32 v29, v38, v29
	v_add_f32_e32 v23, v2, v21
	;; [unrolled: 1-line block ×3, first 2 shown]
	v_mul_f32_e32 v2, v33, v25
	v_mul_f32_e32 v18, v33, v27
	;; [unrolled: 1-line block ×3, first 2 shown]
	v_add_f32_e32 v16, v22, v16
	v_fmac_f32_e32 v30, v47, v24
	v_fmac_f32_e32 v31, v47, v26
	v_fma_f32 v2, v32, v24, -v2
	v_fmac_f32_e32 v19, v33, v24
	v_fma_f32 v24, v32, v26, -v18
	v_fmac_f32_e32 v25, v33, v26
	v_add_f32_e32 v22, v34, v30
	v_add_f32_e32 v21, v29, v31
	;; [unrolled: 1-line block ×6, first 2 shown]
	s_barrier
	buffer_gl0_inv
	s_cbranch_vccz .LBB519_18
.LBB519_8:                              ; =>This Inner Loop Header: Depth=1
	s_mov_b32 s17, s8
	s_mov_b32 s9, 0
	s_and_saveexec_b32 s16, s0
	s_cbranch_execnz .LBB519_16
; %bb.9:                                ;   in Loop: Header=BB519_8 Depth=1
	s_or_b32 exec_lo, exec_lo, s16
	s_and_saveexec_b32 s16, s17
	s_xor_b32 s16, exec_lo, s16
	s_cbranch_execnz .LBB519_17
.LBB519_10:                             ;   in Loop: Header=BB519_8 Depth=1
	s_or_b32 exec_lo, exec_lo, s16
	v_mov_b32_e32 v24, 0
	s_and_saveexec_b32 s16, s9
	s_cbranch_execz .LBB519_12
.LBB519_11:                             ;   in Loop: Header=BB519_8 Depth=1
	v_lshlrev_b64 v[24:25], 3, v[4:5]
	v_add_co_u32 v24, vcc_lo, v14, v24
	v_add_co_ci_u32_e64 v25, null, v15, v25, vcc_lo
	flat_load_dwordx2 v[25:26], v[24:25]
	s_waitcnt vmcnt(0) lgkmcnt(0)
	v_xor_b32_e32 v24, 0x80000000, v26
	ds_write_b32 v10, v25
.LBB519_12:                             ;   in Loop: Header=BB519_8 Depth=1
	s_or_b32 exec_lo, exec_lo, s16
	v_add_nc_u32_e32 v2, s4, v6
	ds_write_b32 v10, v24 offset:4
	v_cmp_le_u64_e32 vcc_lo, s[12:13], v[2:3]
	s_or_b32 s9, vcc_lo, s1
	s_and_saveexec_b32 s16, s9
	s_xor_b32 s9, exec_lo, s16
; %bb.13:                               ;   in Loop: Header=BB519_8 Depth=1
	v_mov_b32_e32 v2, v3
	ds_write_b64 v11, v[2:3]
; %bb.14:                               ;   in Loop: Header=BB519_8 Depth=1
	s_andn2_saveexec_b32 s9, s9
	s_cbranch_execz .LBB519_7
; %bb.15:                               ;   in Loop: Header=BB519_8 Depth=1
	v_lshlrev_b64 v[24:25], 3, v[2:3]
	v_add_co_u32 v24, vcc_lo, v12, v24
	v_add_co_ci_u32_e64 v25, null, v13, v25, vcc_lo
	flat_load_dwordx2 v[24:25], v[24:25]
	s_waitcnt vmcnt(0) lgkmcnt(0)
	ds_write_b64 v11, v[24:25]
	s_branch .LBB519_7
.LBB519_16:                             ;   in Loop: Header=BB519_8 Depth=1
	v_add_nc_u32_e32 v2, s4, v9
	v_mov_b32_e32 v5, v3
	s_andn2_b32 s17, s8, exec_lo
	s_mov_b32 s9, exec_lo
	v_cmp_le_u64_e32 vcc_lo, s[12:13], v[2:3]
	v_mov_b32_e32 v4, v2
	s_and_b32 s18, vcc_lo, exec_lo
	s_or_b32 s17, s17, s18
	s_or_b32 exec_lo, exec_lo, s16
	s_and_saveexec_b32 s16, s17
	s_xor_b32 s16, exec_lo, s16
	s_cbranch_execz .LBB519_10
.LBB519_17:                             ;   in Loop: Header=BB519_8 Depth=1
	s_andn2_b32 s9, s9, exec_lo
	ds_write_b32 v10, v3
	s_or_b32 exec_lo, exec_lo, s16
	v_mov_b32_e32 v24, 0
	s_and_saveexec_b32 s16, s9
	s_cbranch_execnz .LBB519_11
	s_branch .LBB519_12
.LBB519_18:
	v_add_nc_u32_e32 v9, s7, v1
	s_lshl_b64 s[0:1], s[42:43], 3
	v_add_nc_u32_e32 v0, s6, v0
	v_cmp_neq_f32_e64 s5, s10, 0
	s_waitcnt lgkmcnt(0)
	s_add_u32 s4, s2, s0
	v_ashrrev_i32_e32 v3, 31, v9
	v_mul_lo_u32 v4, s41, v9
	v_mad_u64_u32 v[1:2], null, s40, v9, 0
	s_addc_u32 s3, s3, s1
	v_mul_lo_u32 v3, s40, v3
	s_xor_b32 s2, s29, -1
	v_cmp_le_i32_e32 vcc_lo, v9, v0
	v_cmp_gt_i32_e64 s0, s28, v0
	s_or_b32 s2, s5, s2
	v_cndmask_b32_e64 v8, 0, 1, s2
	s_and_b32 s5, vcc_lo, s0
	v_add3_u32 v2, v2, v3, v4
	v_lshlrev_b64 v[2:3], 3, v[1:2]
	v_ashrrev_i32_e32 v1, 31, v0
	v_add_co_u32 v6, s1, s4, v2
	v_add_co_ci_u32_e64 v7, null, s3, v3, s1
	s_and_saveexec_b32 s1, s5
	s_cbranch_execz .LBB519_22
; %bb.19:
	v_lshlrev_b64 v[4:5], 3, v[0:1]
	v_mul_f32_e32 v2, s15, v22
	v_mul_f32_e32 v3, s14, v22
	v_fma_f32 v2, v23, s14, -v2
	v_add_co_u32 v4, vcc_lo, v6, v4
	v_fmac_f32_e32 v3, s15, v23
	v_add_co_ci_u32_e64 v5, null, v7, v5, vcc_lo
	s_andn2_b32 vcc_lo, exec_lo, s2
	s_cbranch_vccnz .LBB519_21
; %bb.20:
	flat_load_dwordx2 v[10:11], v[4:5]
	s_waitcnt vmcnt(0) lgkmcnt(0)
	v_mul_f32_e32 v12, s11, v11
	v_mul_f32_e32 v11, s10, v11
	v_fma_f32 v12, v10, s10, -v12
	v_fmac_f32_e32 v11, s11, v10
	v_add_f32_e32 v2, v2, v12
	v_add_f32_e32 v3, v3, v11
.LBB519_21:
	flat_store_dwordx2 v[4:5], v[2:3]
.LBB519_22:
	s_or_b32 exec_lo, exec_lo, s1
	v_add_nc_u32_e32 v2, 16, v0
	v_cmp_le_i32_e32 vcc_lo, v9, v2
	v_cmp_gt_i32_e64 s1, s28, v2
	v_ashrrev_i32_e32 v3, 31, v2
	s_and_b32 s2, vcc_lo, s1
	s_and_saveexec_b32 s5, s2
	s_cbranch_execz .LBB519_26
; %bb.23:
	v_lshlrev_b64 v[10:11], 3, v[2:3]
	v_mul_f32_e32 v4, s15, v21
	v_mul_f32_e32 v5, s14, v21
	v_cmp_ne_u32_e32 vcc_lo, 1, v8
	v_fma_f32 v4, v20, s14, -v4
	v_add_co_u32 v6, s2, v6, v10
	v_fmac_f32_e32 v5, s15, v20
	v_add_co_ci_u32_e64 v7, null, v7, v11, s2
	s_cbranch_vccnz .LBB519_25
; %bb.24:
	flat_load_dwordx2 v[10:11], v[6:7]
	s_waitcnt vmcnt(0) lgkmcnt(0)
	v_mul_f32_e32 v12, s11, v11
	v_mul_f32_e32 v11, s10, v11
	v_fma_f32 v12, v10, s10, -v12
	v_fmac_f32_e32 v11, s11, v10
	v_add_f32_e32 v4, v4, v12
	v_add_f32_e32 v5, v5, v11
.LBB519_25:
	flat_store_dwordx2 v[6:7], v[4:5]
.LBB519_26:
	s_or_b32 exec_lo, exec_lo, s5
	v_add_nc_u32_e32 v9, 16, v9
	v_ashrrev_i32_e32 v6, 31, v9
	v_mul_lo_u32 v7, s41, v9
	v_mad_u64_u32 v[4:5], null, s40, v9, 0
	v_cmp_le_i32_e32 vcc_lo, v9, v0
	v_mul_lo_u32 v6, s40, v6
	s_and_b32 s0, vcc_lo, s0
	v_add3_u32 v5, v5, v6, v7
	v_lshlrev_b64 v[4:5], 3, v[4:5]
	v_add_co_u32 v6, s2, s4, v4
	v_add_co_ci_u32_e64 v7, null, s3, v5, s2
	s_and_saveexec_b32 s2, s0
	s_cbranch_execz .LBB519_30
; %bb.27:
	v_lshlrev_b64 v[0:1], 3, v[0:1]
	v_mul_f32_e32 v4, s15, v19
	v_mul_f32_e32 v5, s14, v19
	v_cmp_ne_u32_e32 vcc_lo, 1, v8
	v_fma_f32 v4, v18, s14, -v4
	v_add_co_u32 v0, s0, v6, v0
	v_fmac_f32_e32 v5, s15, v18
	v_add_co_ci_u32_e64 v1, null, v7, v1, s0
	s_cbranch_vccnz .LBB519_29
; %bb.28:
	flat_load_dwordx2 v[10:11], v[0:1]
	s_waitcnt vmcnt(0) lgkmcnt(0)
	v_mul_f32_e32 v12, s11, v11
	v_mul_f32_e32 v11, s10, v11
	v_fma_f32 v12, v10, s10, -v12
	v_fmac_f32_e32 v11, s11, v10
	v_add_f32_e32 v4, v4, v12
	v_add_f32_e32 v5, v5, v11
.LBB519_29:
	flat_store_dwordx2 v[0:1], v[4:5]
.LBB519_30:
	s_or_b32 exec_lo, exec_lo, s2
	v_cmp_le_i32_e32 vcc_lo, v9, v2
	s_and_b32 s0, vcc_lo, s1
	s_and_saveexec_b32 s1, s0
	s_cbranch_execz .LBB519_34
; %bb.31:
	v_lshlrev_b64 v[2:3], 3, v[2:3]
	v_mul_f32_e32 v0, s15, v17
	v_mul_f32_e32 v1, s14, v17
	v_cmp_ne_u32_e32 vcc_lo, 1, v8
	v_fma_f32 v0, v16, s14, -v0
	v_add_co_u32 v2, s0, v6, v2
	v_fmac_f32_e32 v1, s15, v16
	v_add_co_ci_u32_e64 v3, null, v7, v3, s0
	s_cbranch_vccnz .LBB519_33
; %bb.32:
	flat_load_dwordx2 v[4:5], v[2:3]
	s_waitcnt vmcnt(0) lgkmcnt(0)
	v_mul_f32_e32 v6, s11, v5
	v_mul_f32_e32 v5, s10, v5
	v_fma_f32 v6, v4, s10, -v6
	v_fmac_f32_e32 v5, s11, v4
	v_add_f32_e32 v0, v0, v6
	v_add_f32_e32 v1, v1, v5
.LBB519_33:
	flat_store_dwordx2 v[2:3], v[0:1]
.LBB519_34:
	s_endpgm
	.section	.rodata,"a",@progbits
	.p2align	6, 0x0
	.amdhsa_kernel _ZL29rocblas_internal_gemmt_kernelIlLi16ELi32ELi8ELc67ELc78ELc76ELb1ELb0E19rocblas_complex_numIfEPKS1_PKS3_PKPS1_EviT_T9_T10_S9_lSB_S9_lSA_T11_S9_li
		.amdhsa_group_segment_fixed_size 4096
		.amdhsa_private_segment_fixed_size 0
		.amdhsa_kernarg_size 108
		.amdhsa_user_sgpr_count 6
		.amdhsa_user_sgpr_private_segment_buffer 1
		.amdhsa_user_sgpr_dispatch_ptr 0
		.amdhsa_user_sgpr_queue_ptr 0
		.amdhsa_user_sgpr_kernarg_segment_ptr 1
		.amdhsa_user_sgpr_dispatch_id 0
		.amdhsa_user_sgpr_flat_scratch_init 0
		.amdhsa_user_sgpr_private_segment_size 0
		.amdhsa_wavefront_size32 1
		.amdhsa_uses_dynamic_stack 0
		.amdhsa_system_sgpr_private_segment_wavefront_offset 0
		.amdhsa_system_sgpr_workgroup_id_x 1
		.amdhsa_system_sgpr_workgroup_id_y 1
		.amdhsa_system_sgpr_workgroup_id_z 1
		.amdhsa_system_sgpr_workgroup_info 0
		.amdhsa_system_vgpr_workitem_id 1
		.amdhsa_next_free_vgpr 61
		.amdhsa_next_free_sgpr 44
		.amdhsa_reserve_vcc 1
		.amdhsa_reserve_flat_scratch 0
		.amdhsa_float_round_mode_32 0
		.amdhsa_float_round_mode_16_64 0
		.amdhsa_float_denorm_mode_32 3
		.amdhsa_float_denorm_mode_16_64 3
		.amdhsa_dx10_clamp 1
		.amdhsa_ieee_mode 1
		.amdhsa_fp16_overflow 0
		.amdhsa_workgroup_processor_mode 1
		.amdhsa_memory_ordered 1
		.amdhsa_forward_progress 1
		.amdhsa_shared_vgpr_count 0
		.amdhsa_exception_fp_ieee_invalid_op 0
		.amdhsa_exception_fp_denorm_src 0
		.amdhsa_exception_fp_ieee_div_zero 0
		.amdhsa_exception_fp_ieee_overflow 0
		.amdhsa_exception_fp_ieee_underflow 0
		.amdhsa_exception_fp_ieee_inexact 0
		.amdhsa_exception_int_div_zero 0
	.end_amdhsa_kernel
	.section	.text._ZL29rocblas_internal_gemmt_kernelIlLi16ELi32ELi8ELc67ELc78ELc76ELb1ELb0E19rocblas_complex_numIfEPKS1_PKS3_PKPS1_EviT_T9_T10_S9_lSB_S9_lSA_T11_S9_li,"axG",@progbits,_ZL29rocblas_internal_gemmt_kernelIlLi16ELi32ELi8ELc67ELc78ELc76ELb1ELb0E19rocblas_complex_numIfEPKS1_PKS3_PKPS1_EviT_T9_T10_S9_lSB_S9_lSA_T11_S9_li,comdat
.Lfunc_end519:
	.size	_ZL29rocblas_internal_gemmt_kernelIlLi16ELi32ELi8ELc67ELc78ELc76ELb1ELb0E19rocblas_complex_numIfEPKS1_PKS3_PKPS1_EviT_T9_T10_S9_lSB_S9_lSA_T11_S9_li, .Lfunc_end519-_ZL29rocblas_internal_gemmt_kernelIlLi16ELi32ELi8ELc67ELc78ELc76ELb1ELb0E19rocblas_complex_numIfEPKS1_PKS3_PKPS1_EviT_T9_T10_S9_lSB_S9_lSA_T11_S9_li
                                        ; -- End function
	.set _ZL29rocblas_internal_gemmt_kernelIlLi16ELi32ELi8ELc67ELc78ELc76ELb1ELb0E19rocblas_complex_numIfEPKS1_PKS3_PKPS1_EviT_T9_T10_S9_lSB_S9_lSA_T11_S9_li.num_vgpr, 61
	.set _ZL29rocblas_internal_gemmt_kernelIlLi16ELi32ELi8ELc67ELc78ELc76ELb1ELb0E19rocblas_complex_numIfEPKS1_PKS3_PKPS1_EviT_T9_T10_S9_lSB_S9_lSA_T11_S9_li.num_agpr, 0
	.set _ZL29rocblas_internal_gemmt_kernelIlLi16ELi32ELi8ELc67ELc78ELc76ELb1ELb0E19rocblas_complex_numIfEPKS1_PKS3_PKPS1_EviT_T9_T10_S9_lSB_S9_lSA_T11_S9_li.numbered_sgpr, 44
	.set _ZL29rocblas_internal_gemmt_kernelIlLi16ELi32ELi8ELc67ELc78ELc76ELb1ELb0E19rocblas_complex_numIfEPKS1_PKS3_PKPS1_EviT_T9_T10_S9_lSB_S9_lSA_T11_S9_li.num_named_barrier, 0
	.set _ZL29rocblas_internal_gemmt_kernelIlLi16ELi32ELi8ELc67ELc78ELc76ELb1ELb0E19rocblas_complex_numIfEPKS1_PKS3_PKPS1_EviT_T9_T10_S9_lSB_S9_lSA_T11_S9_li.private_seg_size, 0
	.set _ZL29rocblas_internal_gemmt_kernelIlLi16ELi32ELi8ELc67ELc78ELc76ELb1ELb0E19rocblas_complex_numIfEPKS1_PKS3_PKPS1_EviT_T9_T10_S9_lSB_S9_lSA_T11_S9_li.uses_vcc, 1
	.set _ZL29rocblas_internal_gemmt_kernelIlLi16ELi32ELi8ELc67ELc78ELc76ELb1ELb0E19rocblas_complex_numIfEPKS1_PKS3_PKPS1_EviT_T9_T10_S9_lSB_S9_lSA_T11_S9_li.uses_flat_scratch, 0
	.set _ZL29rocblas_internal_gemmt_kernelIlLi16ELi32ELi8ELc67ELc78ELc76ELb1ELb0E19rocblas_complex_numIfEPKS1_PKS3_PKPS1_EviT_T9_T10_S9_lSB_S9_lSA_T11_S9_li.has_dyn_sized_stack, 0
	.set _ZL29rocblas_internal_gemmt_kernelIlLi16ELi32ELi8ELc67ELc78ELc76ELb1ELb0E19rocblas_complex_numIfEPKS1_PKS3_PKPS1_EviT_T9_T10_S9_lSB_S9_lSA_T11_S9_li.has_recursion, 0
	.set _ZL29rocblas_internal_gemmt_kernelIlLi16ELi32ELi8ELc67ELc78ELc76ELb1ELb0E19rocblas_complex_numIfEPKS1_PKS3_PKPS1_EviT_T9_T10_S9_lSB_S9_lSA_T11_S9_li.has_indirect_call, 0
	.section	.AMDGPU.csdata,"",@progbits
; Kernel info:
; codeLenInByte = 2648
; TotalNumSgprs: 46
; NumVgprs: 61
; ScratchSize: 0
; MemoryBound: 0
; FloatMode: 240
; IeeeMode: 1
; LDSByteSize: 4096 bytes/workgroup (compile time only)
; SGPRBlocks: 0
; VGPRBlocks: 7
; NumSGPRsForWavesPerEU: 46
; NumVGPRsForWavesPerEU: 61
; Occupancy: 16
; WaveLimiterHint : 1
; COMPUTE_PGM_RSRC2:SCRATCH_EN: 0
; COMPUTE_PGM_RSRC2:USER_SGPR: 6
; COMPUTE_PGM_RSRC2:TRAP_HANDLER: 0
; COMPUTE_PGM_RSRC2:TGID_X_EN: 1
; COMPUTE_PGM_RSRC2:TGID_Y_EN: 1
; COMPUTE_PGM_RSRC2:TGID_Z_EN: 1
; COMPUTE_PGM_RSRC2:TIDIG_COMP_CNT: 1
	.section	.text._ZL29rocblas_internal_gemmt_kernelIlLi16ELi32ELi8ELc67ELc84ELc76ELb1ELb0E19rocblas_complex_numIfEPKS1_PKS3_PKPS1_EviT_T9_T10_S9_lSB_S9_lSA_T11_S9_li,"axG",@progbits,_ZL29rocblas_internal_gemmt_kernelIlLi16ELi32ELi8ELc67ELc84ELc76ELb1ELb0E19rocblas_complex_numIfEPKS1_PKS3_PKPS1_EviT_T9_T10_S9_lSB_S9_lSA_T11_S9_li,comdat
	.globl	_ZL29rocblas_internal_gemmt_kernelIlLi16ELi32ELi8ELc67ELc84ELc76ELb1ELb0E19rocblas_complex_numIfEPKS1_PKS3_PKPS1_EviT_T9_T10_S9_lSB_S9_lSA_T11_S9_li ; -- Begin function _ZL29rocblas_internal_gemmt_kernelIlLi16ELi32ELi8ELc67ELc84ELc76ELb1ELb0E19rocblas_complex_numIfEPKS1_PKS3_PKPS1_EviT_T9_T10_S9_lSB_S9_lSA_T11_S9_li
	.p2align	8
	.type	_ZL29rocblas_internal_gemmt_kernelIlLi16ELi32ELi8ELc67ELc84ELc76ELb1ELb0E19rocblas_complex_numIfEPKS1_PKS3_PKPS1_EviT_T9_T10_S9_lSB_S9_lSA_T11_S9_li,@function
_ZL29rocblas_internal_gemmt_kernelIlLi16ELi32ELi8ELc67ELc84ELc76ELb1ELb0E19rocblas_complex_numIfEPKS1_PKS3_PKPS1_EviT_T9_T10_S9_lSB_S9_lSA_T11_S9_li: ; @_ZL29rocblas_internal_gemmt_kernelIlLi16ELi32ELi8ELc67ELc84ELc76ELb1ELb0E19rocblas_complex_numIfEPKS1_PKS3_PKPS1_EviT_T9_T10_S9_lSB_S9_lSA_T11_S9_li
; %bb.0:
	s_clause 0x1
	s_load_dwordx8 s[36:43], s[4:5], 0x48
	s_load_dwordx16 s[12:27], s[4:5], 0x8
	s_waitcnt lgkmcnt(0)
	s_load_dwordx2 s[10:11], s[36:37], 0x0
	s_load_dwordx2 s[14:15], s[14:15], 0x0
	s_waitcnt lgkmcnt(0)
	s_and_b32 s0, s11, 0x7fffffff
	v_cmp_eq_f32_e64 s1, s10, 1.0
	s_cmp_eq_u32 s0, 0
	s_mov_b32 s0, 0
	s_cselect_b32 s29, -1, 0
	s_and_b32 s1, s1, s29
	s_andn2_b32 vcc_lo, exec_lo, s1
	s_mov_b32 s1, -1
	s_cbranch_vccnz .LBB520_4
; %bb.1:
	s_cmp_lg_u64 s[12:13], 0
	s_cbranch_scc0 .LBB520_3
; %bb.2:
	v_cmp_neq_f32_e64 s0, s14, 0
	v_cmp_neq_f32_e64 s1, s15, 0
	s_or_b32 s0, s0, s1
.LBB520_3:
	s_mov_b32 s1, s0
.LBB520_4:
	s_and_b32 vcc_lo, exec_lo, s1
	s_cbranch_vccz .LBB520_34
; %bb.5:
	s_mov_b32 s9, 0
	s_load_dword s28, s[4:5], 0x0
	s_lshl_b64 s[0:1], s[8:9], 3
	v_cmp_eq_f32_e64 s4, s14, 0
	s_add_u32 s2, s38, s0
	s_addc_u32 s3, s39, s1
	v_cmp_eq_f32_e64 s5, s15, 0
	s_load_dwordx2 s[2:3], s[2:3], 0x0
	v_cmp_lt_i64_e64 s8, s[12:13], 1
	v_mov_b32_e32 v23, 0
	v_mov_b32_e32 v22, 0
	s_and_b32 s4, s4, s5
	v_mov_b32_e32 v20, 0
	v_mov_b32_e32 v21, 0
	;; [unrolled: 1-line block ×6, first 2 shown]
	s_or_b32 s4, s4, s8
	s_lshl_b32 s6, s6, 5
	s_and_b32 vcc_lo, exec_lo, s4
	s_lshl_b32 s7, s7, 5
	s_cbranch_vccnz .LBB520_18
; %bb.6:
	s_add_u32 s4, s22, s0
	s_addc_u32 s5, s23, s1
	s_lshl_b64 s[8:9], s[26:27], 3
	s_load_dwordx2 s[4:5], s[4:5], 0x0
	v_lshl_add_u32 v2, v1, 4, v0
	v_and_b32_e32 v6, 7, v0
	v_lshlrev_b32_e32 v7, 3, v0
	v_lshl_add_u32 v8, v1, 6, 0x800
	v_mov_b32_e32 v3, 0
	v_and_b32_e32 v5, 31, v2
	v_lshrrev_b32_e32 v10, 3, v2
	v_lshlrev_b32_e32 v11, 3, v6
	v_lshrrev_b32_e32 v9, 5, v2
	v_mov_b32_e32 v17, 0
	v_or_b32_e32 v14, s6, v5
	v_add_nc_u32_e32 v4, s7, v10
	v_lshl_or_b32 v11, v10, 6, v11
	v_lshlrev_b32_e32 v2, 3, v5
	v_mov_b32_e32 v16, 0
	v_mul_lo_u32 v10, s19, v14
	v_mad_u64_u32 v[12:13], null, s18, v14, 0
	v_ashrrev_i32_e32 v5, 31, v4
	s_waitcnt lgkmcnt(0)
	s_add_u32 s22, s4, s8
	s_addc_u32 s9, s5, s9
	s_add_u32 s0, s16, s0
	s_addc_u32 s1, s17, s1
	s_lshl_b64 s[4:5], s[20:21], 3
	s_load_dwordx2 s[0:1], s[0:1], 0x0
	v_cmp_le_i32_e64 s8, s28, v14
	v_cmp_gt_i32_e32 vcc_lo, s28, v4
	v_mov_b32_e32 v19, 0
	v_mov_b32_e32 v18, 0
	;; [unrolled: 1-line block ×5, first 2 shown]
	v_add_nc_u32_e32 v11, 0x800, v11
	v_mov_b32_e32 v23, 0
	s_waitcnt lgkmcnt(0)
	s_add_u32 s4, s0, s4
	s_addc_u32 s5, s1, s5
	s_ashr_i32 s1, s6, 31
	v_cmp_gt_i32_e64 s0, s28, v14
	s_mul_i32 s1, s18, s1
	v_lshlrev_b64 v[14:15], 3, v[4:5]
	v_add3_u32 v13, v13, s1, v10
	v_lshl_or_b32 v10, v9, 8, v2
	v_lshlrev_b64 v[4:5], 3, v[12:13]
	v_add_co_u32 v12, s1, s22, v14
	v_add_co_ci_u32_e64 v13, null, s9, v15, s1
	v_add_co_u32 v14, s1, s4, v4
	v_add_co_ci_u32_e64 v15, null, s5, v5, s1
	s_mov_b64 s[4:5], 0
	s_xor_b32 s1, vcc_lo, -1
                                        ; implicit-def: $vgpr4_vgpr5
	s_branch .LBB520_8
.LBB520_7:                              ;   in Loop: Header=BB520_8 Depth=1
	s_or_b32 exec_lo, exec_lo, s9
	s_waitcnt lgkmcnt(0)
	s_barrier
	buffer_gl0_inv
	ds_read_b128 v[24:27], v8
	ds_read2_b64 v[28:31], v7 offset1:16
	ds_read_b128 v[32:35], v8 offset:1024
	ds_read_b128 v[36:39], v8 offset:16
	;; [unrolled: 1-line block ×4, first 2 shown]
	ds_read2_b64 v[48:51], v7 offset0:32 offset1:48
	ds_read_b128 v[52:55], v8 offset:1040
	s_add_u32 s4, s4, 8
	s_addc_u32 s5, s5, 0
	v_cmp_gt_i64_e64 s9, s[12:13], s[4:5]
	s_and_b32 vcc_lo, exec_lo, s9
	s_waitcnt lgkmcnt(6)
	v_mul_f32_e32 v2, v25, v29
	v_mul_f32_e32 v56, v24, v29
	v_mul_f32_e32 v57, v25, v31
	v_mul_f32_e32 v58, v24, v31
	s_waitcnt lgkmcnt(5)
	v_mul_f32_e32 v59, v33, v29
	v_mul_f32_e32 v29, v32, v29
	;; [unrolled: 1-line block ×3, first 2 shown]
	v_fma_f32 v2, v24, v28, -v2
	v_fmac_f32_e32 v56, v25, v28
	v_fma_f32 v24, v24, v30, -v57
	v_fmac_f32_e32 v58, v25, v30
	;; [unrolled: 2-line block ×3, first 2 shown]
	v_mul_f32_e32 v31, v32, v31
	v_fma_f32 v28, v32, v30, -v60
	v_add_f32_e32 v2, v23, v2
	v_add_f32_e32 v23, v20, v24
	;; [unrolled: 1-line block ×5, first 2 shown]
	s_waitcnt lgkmcnt(1)
	v_mul_f32_e32 v32, v27, v49
	ds_read2_b64 v[18:21], v7 offset0:64 offset1:80
	v_fmac_f32_e32 v31, v33, v30
	v_add_f32_e32 v16, v16, v28
	v_mul_f32_e32 v28, v26, v49
	v_fma_f32 v30, v26, v48, -v32
	v_mul_f32_e32 v32, v27, v51
	v_add_f32_e32 v22, v22, v56
	v_add_f32_e32 v17, v17, v31
	v_fmac_f32_e32 v28, v27, v48
	v_mul_f32_e32 v31, v26, v51
	v_add_f32_e32 v2, v2, v30
	v_fma_f32 v26, v26, v50, -v32
	v_mul_f32_e32 v30, v35, v49
	v_add_f32_e32 v28, v22, v28
	v_fmac_f32_e32 v31, v27, v50
	v_mul_f32_e32 v22, v34, v49
	v_add_f32_e32 v26, v23, v26
	v_fma_f32 v23, v34, v48, -v30
	v_mul_f32_e32 v27, v35, v51
	v_add_f32_e32 v30, v24, v31
	v_fmac_f32_e32 v22, v35, v48
	v_mul_f32_e32 v31, v34, v51
	v_add_f32_e32 v32, v25, v23
	v_fma_f32 v23, v34, v50, -v27
	s_waitcnt lgkmcnt(0)
	v_mul_f32_e32 v24, v37, v19
	v_add_f32_e32 v27, v29, v22
	v_fmac_f32_e32 v31, v35, v50
	v_mul_f32_e32 v29, v36, v19
	v_add_f32_e32 v16, v16, v23
	v_fma_f32 v33, v36, v18, -v24
	v_mul_f32_e32 v34, v37, v21
	ds_read2_b64 v[22:25], v7 offset0:96 offset1:112
	v_fmac_f32_e32 v29, v37, v18
	v_add_f32_e32 v31, v17, v31
	v_add_f32_e32 v2, v2, v33
	v_mul_f32_e32 v17, v36, v21
	v_fma_f32 v33, v36, v20, -v34
	v_add_f32_e32 v28, v28, v29
	v_mul_f32_e32 v29, v53, v19
	v_mul_f32_e32 v19, v52, v19
	v_fmac_f32_e32 v17, v37, v20
	v_add_f32_e32 v26, v26, v33
	v_mul_f32_e32 v33, v53, v21
	v_mul_f32_e32 v21, v52, v21
	v_fmac_f32_e32 v19, v53, v18
	v_add_f32_e32 v30, v30, v17
	v_fma_f32 v29, v52, v18, -v29
	v_fma_f32 v17, v52, v20, -v33
	v_fmac_f32_e32 v21, v53, v20
	v_add_f32_e32 v33, v27, v19
	s_waitcnt lgkmcnt(0)
	v_mul_f32_e32 v20, v39, v23
	v_add_f32_e32 v34, v16, v17
	ds_read2_b64 v[16:19], v7 offset0:128 offset1:144
	v_add_f32_e32 v32, v32, v29
	v_mul_f32_e32 v27, v38, v23
	v_mul_f32_e32 v29, v39, v25
	v_fma_f32 v20, v38, v22, -v20
	v_add_f32_e32 v31, v31, v21
	v_mul_f32_e32 v21, v38, v25
	v_fmac_f32_e32 v27, v39, v22
	v_fma_f32 v29, v38, v24, -v29
	v_add_f32_e32 v2, v2, v20
	v_mul_f32_e32 v20, v55, v23
	v_fmac_f32_e32 v21, v39, v24
	v_add_f32_e32 v35, v28, v27
	v_add_f32_e32 v36, v26, v29
	v_mul_f32_e32 v23, v54, v23
	v_fma_f32 v20, v54, v22, -v20
	v_mul_f32_e32 v37, v55, v25
	ds_read_b128 v[26:29], v8 offset:1056
	v_add_f32_e32 v38, v30, v21
	v_fmac_f32_e32 v23, v55, v22
	v_mul_f32_e32 v25, v54, v25
	v_fma_f32 v21, v54, v24, -v37
	v_add_f32_e32 v37, v32, v20
	s_waitcnt lgkmcnt(1)
	v_mul_f32_e32 v20, v41, v17
	v_add_f32_e32 v39, v33, v23
	v_fmac_f32_e32 v25, v55, v24
	v_add_f32_e32 v24, v34, v21
	v_mul_f32_e32 v32, v41, v19
	v_fma_f32 v30, v40, v16, -v20
	ds_read2_b64 v[20:23], v7 offset0:160 offset1:176
	v_mul_f32_e32 v34, v40, v17
	v_add_f32_e32 v25, v31, v25
	v_fma_f32 v48, v40, v18, -v32
	v_mul_f32_e32 v40, v40, v19
	v_add_f32_e32 v2, v2, v30
	v_fmac_f32_e32 v34, v41, v16
	ds_read_b128 v[30:33], v8 offset:1072
	s_waitcnt lgkmcnt(2)
	v_mul_f32_e32 v49, v27, v17
	v_mul_f32_e32 v17, v26, v17
	v_fmac_f32_e32 v40, v41, v18
	v_mul_f32_e32 v41, v27, v19
	v_add_f32_e32 v34, v35, v34
	v_add_f32_e32 v35, v36, v48
	v_fma_f32 v36, v26, v16, -v49
	v_fmac_f32_e32 v17, v27, v16
	v_add_f32_e32 v38, v38, v40
	v_mul_f32_e32 v40, v26, v19
	v_fma_f32 v16, v26, v18, -v41
	v_add_f32_e32 v36, v37, v36
	v_add_f32_e32 v26, v39, v17
	s_waitcnt lgkmcnt(1)
	v_mul_f32_e32 v37, v43, v21
	v_fmac_f32_e32 v40, v27, v18
	v_add_f32_e32 v24, v24, v16
	ds_read2_b64 v[16:19], v7 offset0:192 offset1:208
	v_mul_f32_e32 v27, v42, v21
	v_fma_f32 v37, v42, v20, -v37
	v_mul_f32_e32 v39, v43, v23
	v_add_f32_e32 v40, v25, v40
	v_mul_f32_e32 v25, v42, v23
	v_fmac_f32_e32 v27, v43, v20
	v_add_f32_e32 v2, v2, v37
	v_fma_f32 v37, v42, v22, -v39
	v_fmac_f32_e32 v25, v43, v22
	v_add_f32_e32 v34, v34, v27
	v_mul_f32_e32 v27, v29, v21
	v_mul_f32_e32 v21, v28, v21
	v_add_f32_e32 v35, v35, v37
	v_mul_f32_e32 v37, v29, v23
	v_add_f32_e32 v38, v38, v25
	v_fma_f32 v27, v28, v20, -v27
	v_fmac_f32_e32 v21, v29, v20
	v_mul_f32_e32 v20, v28, v23
	v_fma_f32 v23, v28, v22, -v37
	s_waitcnt lgkmcnt(0)
	v_mul_f32_e32 v25, v45, v17
	v_add_f32_e32 v28, v36, v27
	v_add_f32_e32 v21, v26, v21
	v_fmac_f32_e32 v20, v29, v22
	v_add_f32_e32 v22, v24, v23
	v_fma_f32 v29, v44, v16, -v25
	ds_read2_b64 v[24:27], v7 offset0:224 offset1:240
	v_mul_f32_e32 v23, v44, v17
	v_mul_f32_e32 v37, v31, v17
	;; [unrolled: 1-line block ×4, first 2 shown]
	v_add_f32_e32 v2, v2, v29
	v_fmac_f32_e32 v23, v45, v16
	v_mul_f32_e32 v29, v44, v19
	v_fmac_f32_e32 v17, v31, v16
	v_fma_f32 v36, v44, v18, -v36
	v_add_f32_e32 v20, v40, v20
	v_add_f32_e32 v34, v34, v23
	v_fma_f32 v23, v30, v16, -v37
	v_mul_f32_e32 v16, v31, v19
	v_mul_f32_e32 v19, v30, v19
	v_fmac_f32_e32 v29, v45, v18
	v_add_f32_e32 v17, v21, v17
	v_add_f32_e32 v35, v35, v36
	v_fma_f32 v16, v30, v18, -v16
	v_fmac_f32_e32 v19, v31, v18
	s_waitcnt lgkmcnt(0)
	v_mul_f32_e32 v21, v47, v25
	v_mul_f32_e32 v18, v47, v27
	v_add_f32_e32 v28, v28, v23
	v_mul_f32_e32 v30, v46, v25
	v_mul_f32_e32 v31, v46, v27
	v_fma_f32 v21, v46, v24, -v21
	v_fma_f32 v18, v46, v26, -v18
	v_add_f32_e32 v36, v20, v19
	v_mul_f32_e32 v19, v32, v25
	v_add_f32_e32 v29, v38, v29
	v_add_f32_e32 v23, v2, v21
	;; [unrolled: 1-line block ×3, first 2 shown]
	v_mul_f32_e32 v2, v33, v25
	v_mul_f32_e32 v18, v33, v27
	;; [unrolled: 1-line block ×3, first 2 shown]
	v_add_f32_e32 v16, v22, v16
	v_fmac_f32_e32 v30, v47, v24
	v_fmac_f32_e32 v31, v47, v26
	v_fma_f32 v2, v32, v24, -v2
	v_fmac_f32_e32 v19, v33, v24
	v_fma_f32 v24, v32, v26, -v18
	v_fmac_f32_e32 v25, v33, v26
	v_add_f32_e32 v22, v34, v30
	v_add_f32_e32 v21, v29, v31
	v_add_f32_e32 v18, v28, v2
	v_add_f32_e32 v19, v17, v19
	v_add_f32_e32 v16, v16, v24
	v_add_f32_e32 v17, v36, v25
	s_barrier
	buffer_gl0_inv
	s_cbranch_vccz .LBB520_18
.LBB520_8:                              ; =>This Inner Loop Header: Depth=1
	s_mov_b32 s17, s8
	s_mov_b32 s9, 0
	s_and_saveexec_b32 s16, s0
	s_cbranch_execnz .LBB520_16
; %bb.9:                                ;   in Loop: Header=BB520_8 Depth=1
	s_or_b32 exec_lo, exec_lo, s16
	s_and_saveexec_b32 s16, s17
	s_xor_b32 s16, exec_lo, s16
	s_cbranch_execnz .LBB520_17
.LBB520_10:                             ;   in Loop: Header=BB520_8 Depth=1
	s_or_b32 exec_lo, exec_lo, s16
	v_mov_b32_e32 v24, 0
	s_and_saveexec_b32 s16, s9
	s_cbranch_execz .LBB520_12
.LBB520_11:                             ;   in Loop: Header=BB520_8 Depth=1
	v_lshlrev_b64 v[24:25], 3, v[4:5]
	v_add_co_u32 v24, vcc_lo, v14, v24
	v_add_co_ci_u32_e64 v25, null, v15, v25, vcc_lo
	flat_load_dwordx2 v[25:26], v[24:25]
	s_waitcnt vmcnt(0) lgkmcnt(0)
	v_xor_b32_e32 v24, 0x80000000, v26
	ds_write_b32 v10, v25
.LBB520_12:                             ;   in Loop: Header=BB520_8 Depth=1
	s_or_b32 exec_lo, exec_lo, s16
	v_add_nc_u32_e32 v2, s4, v6
	ds_write_b32 v10, v24 offset:4
	v_cmp_le_u64_e32 vcc_lo, s[12:13], v[2:3]
	s_or_b32 s9, vcc_lo, s1
	s_and_saveexec_b32 s16, s9
	s_xor_b32 s9, exec_lo, s16
; %bb.13:                               ;   in Loop: Header=BB520_8 Depth=1
	v_mov_b32_e32 v2, v3
	ds_write_b64 v11, v[2:3]
; %bb.14:                               ;   in Loop: Header=BB520_8 Depth=1
	s_andn2_saveexec_b32 s9, s9
	s_cbranch_execz .LBB520_7
; %bb.15:                               ;   in Loop: Header=BB520_8 Depth=1
	v_mad_u64_u32 v[24:25], null, s24, v2, 0
	v_mad_u64_u32 v[25:26], null, s25, v2, v[25:26]
	v_lshlrev_b64 v[24:25], 3, v[24:25]
	v_add_co_u32 v24, vcc_lo, v12, v24
	v_add_co_ci_u32_e64 v25, null, v13, v25, vcc_lo
	flat_load_dwordx2 v[24:25], v[24:25]
	s_waitcnt vmcnt(0) lgkmcnt(0)
	ds_write_b64 v11, v[24:25]
	s_branch .LBB520_7
.LBB520_16:                             ;   in Loop: Header=BB520_8 Depth=1
	v_add_nc_u32_e32 v2, s4, v9
	v_mov_b32_e32 v5, v3
	s_andn2_b32 s17, s8, exec_lo
	s_mov_b32 s9, exec_lo
	v_cmp_le_u64_e32 vcc_lo, s[12:13], v[2:3]
	v_mov_b32_e32 v4, v2
	s_and_b32 s18, vcc_lo, exec_lo
	s_or_b32 s17, s17, s18
	s_or_b32 exec_lo, exec_lo, s16
	s_and_saveexec_b32 s16, s17
	s_xor_b32 s16, exec_lo, s16
	s_cbranch_execz .LBB520_10
.LBB520_17:                             ;   in Loop: Header=BB520_8 Depth=1
	s_andn2_b32 s9, s9, exec_lo
	ds_write_b32 v10, v3
	s_or_b32 exec_lo, exec_lo, s16
	v_mov_b32_e32 v24, 0
	s_and_saveexec_b32 s16, s9
	s_cbranch_execnz .LBB520_11
	s_branch .LBB520_12
.LBB520_18:
	v_add_nc_u32_e32 v9, s7, v1
	s_lshl_b64 s[0:1], s[42:43], 3
	v_add_nc_u32_e32 v0, s6, v0
	v_cmp_neq_f32_e64 s5, s10, 0
	s_waitcnt lgkmcnt(0)
	s_add_u32 s4, s2, s0
	v_ashrrev_i32_e32 v3, 31, v9
	v_mul_lo_u32 v4, s41, v9
	v_mad_u64_u32 v[1:2], null, s40, v9, 0
	s_addc_u32 s3, s3, s1
	v_mul_lo_u32 v3, s40, v3
	s_xor_b32 s2, s29, -1
	v_cmp_le_i32_e32 vcc_lo, v9, v0
	v_cmp_gt_i32_e64 s0, s28, v0
	s_or_b32 s2, s5, s2
	v_cndmask_b32_e64 v8, 0, 1, s2
	s_and_b32 s5, vcc_lo, s0
	v_add3_u32 v2, v2, v3, v4
	v_lshlrev_b64 v[2:3], 3, v[1:2]
	v_ashrrev_i32_e32 v1, 31, v0
	v_add_co_u32 v6, s1, s4, v2
	v_add_co_ci_u32_e64 v7, null, s3, v3, s1
	s_and_saveexec_b32 s1, s5
	s_cbranch_execz .LBB520_22
; %bb.19:
	v_lshlrev_b64 v[4:5], 3, v[0:1]
	v_mul_f32_e32 v2, s15, v22
	v_mul_f32_e32 v3, s14, v22
	v_fma_f32 v2, v23, s14, -v2
	v_add_co_u32 v4, vcc_lo, v6, v4
	v_fmac_f32_e32 v3, s15, v23
	v_add_co_ci_u32_e64 v5, null, v7, v5, vcc_lo
	s_andn2_b32 vcc_lo, exec_lo, s2
	s_cbranch_vccnz .LBB520_21
; %bb.20:
	flat_load_dwordx2 v[10:11], v[4:5]
	s_waitcnt vmcnt(0) lgkmcnt(0)
	v_mul_f32_e32 v12, s11, v11
	v_mul_f32_e32 v11, s10, v11
	v_fma_f32 v12, v10, s10, -v12
	v_fmac_f32_e32 v11, s11, v10
	v_add_f32_e32 v2, v2, v12
	v_add_f32_e32 v3, v3, v11
.LBB520_21:
	flat_store_dwordx2 v[4:5], v[2:3]
.LBB520_22:
	s_or_b32 exec_lo, exec_lo, s1
	v_add_nc_u32_e32 v2, 16, v0
	v_cmp_le_i32_e32 vcc_lo, v9, v2
	v_cmp_gt_i32_e64 s1, s28, v2
	v_ashrrev_i32_e32 v3, 31, v2
	s_and_b32 s2, vcc_lo, s1
	s_and_saveexec_b32 s5, s2
	s_cbranch_execz .LBB520_26
; %bb.23:
	v_lshlrev_b64 v[10:11], 3, v[2:3]
	v_mul_f32_e32 v4, s15, v21
	v_mul_f32_e32 v5, s14, v21
	v_cmp_ne_u32_e32 vcc_lo, 1, v8
	v_fma_f32 v4, v20, s14, -v4
	v_add_co_u32 v6, s2, v6, v10
	v_fmac_f32_e32 v5, s15, v20
	v_add_co_ci_u32_e64 v7, null, v7, v11, s2
	s_cbranch_vccnz .LBB520_25
; %bb.24:
	flat_load_dwordx2 v[10:11], v[6:7]
	s_waitcnt vmcnt(0) lgkmcnt(0)
	v_mul_f32_e32 v12, s11, v11
	v_mul_f32_e32 v11, s10, v11
	v_fma_f32 v12, v10, s10, -v12
	v_fmac_f32_e32 v11, s11, v10
	v_add_f32_e32 v4, v4, v12
	v_add_f32_e32 v5, v5, v11
.LBB520_25:
	flat_store_dwordx2 v[6:7], v[4:5]
.LBB520_26:
	s_or_b32 exec_lo, exec_lo, s5
	v_add_nc_u32_e32 v9, 16, v9
	v_ashrrev_i32_e32 v6, 31, v9
	v_mul_lo_u32 v7, s41, v9
	v_mad_u64_u32 v[4:5], null, s40, v9, 0
	v_cmp_le_i32_e32 vcc_lo, v9, v0
	v_mul_lo_u32 v6, s40, v6
	s_and_b32 s0, vcc_lo, s0
	v_add3_u32 v5, v5, v6, v7
	v_lshlrev_b64 v[4:5], 3, v[4:5]
	v_add_co_u32 v6, s2, s4, v4
	v_add_co_ci_u32_e64 v7, null, s3, v5, s2
	s_and_saveexec_b32 s2, s0
	s_cbranch_execz .LBB520_30
; %bb.27:
	v_lshlrev_b64 v[0:1], 3, v[0:1]
	v_mul_f32_e32 v4, s15, v19
	v_mul_f32_e32 v5, s14, v19
	v_cmp_ne_u32_e32 vcc_lo, 1, v8
	v_fma_f32 v4, v18, s14, -v4
	v_add_co_u32 v0, s0, v6, v0
	v_fmac_f32_e32 v5, s15, v18
	v_add_co_ci_u32_e64 v1, null, v7, v1, s0
	s_cbranch_vccnz .LBB520_29
; %bb.28:
	flat_load_dwordx2 v[10:11], v[0:1]
	s_waitcnt vmcnt(0) lgkmcnt(0)
	v_mul_f32_e32 v12, s11, v11
	v_mul_f32_e32 v11, s10, v11
	v_fma_f32 v12, v10, s10, -v12
	v_fmac_f32_e32 v11, s11, v10
	v_add_f32_e32 v4, v4, v12
	v_add_f32_e32 v5, v5, v11
.LBB520_29:
	flat_store_dwordx2 v[0:1], v[4:5]
.LBB520_30:
	s_or_b32 exec_lo, exec_lo, s2
	v_cmp_le_i32_e32 vcc_lo, v9, v2
	s_and_b32 s0, vcc_lo, s1
	s_and_saveexec_b32 s1, s0
	s_cbranch_execz .LBB520_34
; %bb.31:
	v_lshlrev_b64 v[2:3], 3, v[2:3]
	v_mul_f32_e32 v0, s15, v17
	v_mul_f32_e32 v1, s14, v17
	v_cmp_ne_u32_e32 vcc_lo, 1, v8
	v_fma_f32 v0, v16, s14, -v0
	v_add_co_u32 v2, s0, v6, v2
	v_fmac_f32_e32 v1, s15, v16
	v_add_co_ci_u32_e64 v3, null, v7, v3, s0
	s_cbranch_vccnz .LBB520_33
; %bb.32:
	flat_load_dwordx2 v[4:5], v[2:3]
	s_waitcnt vmcnt(0) lgkmcnt(0)
	v_mul_f32_e32 v6, s11, v5
	v_mul_f32_e32 v5, s10, v5
	v_fma_f32 v6, v4, s10, -v6
	v_fmac_f32_e32 v5, s11, v4
	v_add_f32_e32 v0, v0, v6
	v_add_f32_e32 v1, v1, v5
.LBB520_33:
	flat_store_dwordx2 v[2:3], v[0:1]
.LBB520_34:
	s_endpgm
	.section	.rodata,"a",@progbits
	.p2align	6, 0x0
	.amdhsa_kernel _ZL29rocblas_internal_gemmt_kernelIlLi16ELi32ELi8ELc67ELc84ELc76ELb1ELb0E19rocblas_complex_numIfEPKS1_PKS3_PKPS1_EviT_T9_T10_S9_lSB_S9_lSA_T11_S9_li
		.amdhsa_group_segment_fixed_size 4096
		.amdhsa_private_segment_fixed_size 0
		.amdhsa_kernarg_size 108
		.amdhsa_user_sgpr_count 6
		.amdhsa_user_sgpr_private_segment_buffer 1
		.amdhsa_user_sgpr_dispatch_ptr 0
		.amdhsa_user_sgpr_queue_ptr 0
		.amdhsa_user_sgpr_kernarg_segment_ptr 1
		.amdhsa_user_sgpr_dispatch_id 0
		.amdhsa_user_sgpr_flat_scratch_init 0
		.amdhsa_user_sgpr_private_segment_size 0
		.amdhsa_wavefront_size32 1
		.amdhsa_uses_dynamic_stack 0
		.amdhsa_system_sgpr_private_segment_wavefront_offset 0
		.amdhsa_system_sgpr_workgroup_id_x 1
		.amdhsa_system_sgpr_workgroup_id_y 1
		.amdhsa_system_sgpr_workgroup_id_z 1
		.amdhsa_system_sgpr_workgroup_info 0
		.amdhsa_system_vgpr_workitem_id 1
		.amdhsa_next_free_vgpr 61
		.amdhsa_next_free_sgpr 44
		.amdhsa_reserve_vcc 1
		.amdhsa_reserve_flat_scratch 0
		.amdhsa_float_round_mode_32 0
		.amdhsa_float_round_mode_16_64 0
		.amdhsa_float_denorm_mode_32 3
		.amdhsa_float_denorm_mode_16_64 3
		.amdhsa_dx10_clamp 1
		.amdhsa_ieee_mode 1
		.amdhsa_fp16_overflow 0
		.amdhsa_workgroup_processor_mode 1
		.amdhsa_memory_ordered 1
		.amdhsa_forward_progress 1
		.amdhsa_shared_vgpr_count 0
		.amdhsa_exception_fp_ieee_invalid_op 0
		.amdhsa_exception_fp_denorm_src 0
		.amdhsa_exception_fp_ieee_div_zero 0
		.amdhsa_exception_fp_ieee_overflow 0
		.amdhsa_exception_fp_ieee_underflow 0
		.amdhsa_exception_fp_ieee_inexact 0
		.amdhsa_exception_int_div_zero 0
	.end_amdhsa_kernel
	.section	.text._ZL29rocblas_internal_gemmt_kernelIlLi16ELi32ELi8ELc67ELc84ELc76ELb1ELb0E19rocblas_complex_numIfEPKS1_PKS3_PKPS1_EviT_T9_T10_S9_lSB_S9_lSA_T11_S9_li,"axG",@progbits,_ZL29rocblas_internal_gemmt_kernelIlLi16ELi32ELi8ELc67ELc84ELc76ELb1ELb0E19rocblas_complex_numIfEPKS1_PKS3_PKPS1_EviT_T9_T10_S9_lSB_S9_lSA_T11_S9_li,comdat
.Lfunc_end520:
	.size	_ZL29rocblas_internal_gemmt_kernelIlLi16ELi32ELi8ELc67ELc84ELc76ELb1ELb0E19rocblas_complex_numIfEPKS1_PKS3_PKPS1_EviT_T9_T10_S9_lSB_S9_lSA_T11_S9_li, .Lfunc_end520-_ZL29rocblas_internal_gemmt_kernelIlLi16ELi32ELi8ELc67ELc84ELc76ELb1ELb0E19rocblas_complex_numIfEPKS1_PKS3_PKPS1_EviT_T9_T10_S9_lSB_S9_lSA_T11_S9_li
                                        ; -- End function
	.set _ZL29rocblas_internal_gemmt_kernelIlLi16ELi32ELi8ELc67ELc84ELc76ELb1ELb0E19rocblas_complex_numIfEPKS1_PKS3_PKPS1_EviT_T9_T10_S9_lSB_S9_lSA_T11_S9_li.num_vgpr, 61
	.set _ZL29rocblas_internal_gemmt_kernelIlLi16ELi32ELi8ELc67ELc84ELc76ELb1ELb0E19rocblas_complex_numIfEPKS1_PKS3_PKPS1_EviT_T9_T10_S9_lSB_S9_lSA_T11_S9_li.num_agpr, 0
	.set _ZL29rocblas_internal_gemmt_kernelIlLi16ELi32ELi8ELc67ELc84ELc76ELb1ELb0E19rocblas_complex_numIfEPKS1_PKS3_PKPS1_EviT_T9_T10_S9_lSB_S9_lSA_T11_S9_li.numbered_sgpr, 44
	.set _ZL29rocblas_internal_gemmt_kernelIlLi16ELi32ELi8ELc67ELc84ELc76ELb1ELb0E19rocblas_complex_numIfEPKS1_PKS3_PKPS1_EviT_T9_T10_S9_lSB_S9_lSA_T11_S9_li.num_named_barrier, 0
	.set _ZL29rocblas_internal_gemmt_kernelIlLi16ELi32ELi8ELc67ELc84ELc76ELb1ELb0E19rocblas_complex_numIfEPKS1_PKS3_PKPS1_EviT_T9_T10_S9_lSB_S9_lSA_T11_S9_li.private_seg_size, 0
	.set _ZL29rocblas_internal_gemmt_kernelIlLi16ELi32ELi8ELc67ELc84ELc76ELb1ELb0E19rocblas_complex_numIfEPKS1_PKS3_PKPS1_EviT_T9_T10_S9_lSB_S9_lSA_T11_S9_li.uses_vcc, 1
	.set _ZL29rocblas_internal_gemmt_kernelIlLi16ELi32ELi8ELc67ELc84ELc76ELb1ELb0E19rocblas_complex_numIfEPKS1_PKS3_PKPS1_EviT_T9_T10_S9_lSB_S9_lSA_T11_S9_li.uses_flat_scratch, 0
	.set _ZL29rocblas_internal_gemmt_kernelIlLi16ELi32ELi8ELc67ELc84ELc76ELb1ELb0E19rocblas_complex_numIfEPKS1_PKS3_PKPS1_EviT_T9_T10_S9_lSB_S9_lSA_T11_S9_li.has_dyn_sized_stack, 0
	.set _ZL29rocblas_internal_gemmt_kernelIlLi16ELi32ELi8ELc67ELc84ELc76ELb1ELb0E19rocblas_complex_numIfEPKS1_PKS3_PKPS1_EviT_T9_T10_S9_lSB_S9_lSA_T11_S9_li.has_recursion, 0
	.set _ZL29rocblas_internal_gemmt_kernelIlLi16ELi32ELi8ELc67ELc84ELc76ELb1ELb0E19rocblas_complex_numIfEPKS1_PKS3_PKPS1_EviT_T9_T10_S9_lSB_S9_lSA_T11_S9_li.has_indirect_call, 0
	.section	.AMDGPU.csdata,"",@progbits
; Kernel info:
; codeLenInByte = 2632
; TotalNumSgprs: 46
; NumVgprs: 61
; ScratchSize: 0
; MemoryBound: 0
; FloatMode: 240
; IeeeMode: 1
; LDSByteSize: 4096 bytes/workgroup (compile time only)
; SGPRBlocks: 0
; VGPRBlocks: 7
; NumSGPRsForWavesPerEU: 46
; NumVGPRsForWavesPerEU: 61
; Occupancy: 16
; WaveLimiterHint : 1
; COMPUTE_PGM_RSRC2:SCRATCH_EN: 0
; COMPUTE_PGM_RSRC2:USER_SGPR: 6
; COMPUTE_PGM_RSRC2:TRAP_HANDLER: 0
; COMPUTE_PGM_RSRC2:TGID_X_EN: 1
; COMPUTE_PGM_RSRC2:TGID_Y_EN: 1
; COMPUTE_PGM_RSRC2:TGID_Z_EN: 1
; COMPUTE_PGM_RSRC2:TIDIG_COMP_CNT: 1
	.section	.text._ZL29rocblas_internal_gemmt_kernelIlLi16ELi32ELi8ELc67ELc67ELc76ELb1ELb1E19rocblas_complex_numIfEPKS1_PKS3_PKPS1_EviT_T9_T10_S9_lSB_S9_lSA_T11_S9_li,"axG",@progbits,_ZL29rocblas_internal_gemmt_kernelIlLi16ELi32ELi8ELc67ELc67ELc76ELb1ELb1E19rocblas_complex_numIfEPKS1_PKS3_PKPS1_EviT_T9_T10_S9_lSB_S9_lSA_T11_S9_li,comdat
	.globl	_ZL29rocblas_internal_gemmt_kernelIlLi16ELi32ELi8ELc67ELc67ELc76ELb1ELb1E19rocblas_complex_numIfEPKS1_PKS3_PKPS1_EviT_T9_T10_S9_lSB_S9_lSA_T11_S9_li ; -- Begin function _ZL29rocblas_internal_gemmt_kernelIlLi16ELi32ELi8ELc67ELc67ELc76ELb1ELb1E19rocblas_complex_numIfEPKS1_PKS3_PKPS1_EviT_T9_T10_S9_lSB_S9_lSA_T11_S9_li
	.p2align	8
	.type	_ZL29rocblas_internal_gemmt_kernelIlLi16ELi32ELi8ELc67ELc67ELc76ELb1ELb1E19rocblas_complex_numIfEPKS1_PKS3_PKPS1_EviT_T9_T10_S9_lSB_S9_lSA_T11_S9_li,@function
_ZL29rocblas_internal_gemmt_kernelIlLi16ELi32ELi8ELc67ELc67ELc76ELb1ELb1E19rocblas_complex_numIfEPKS1_PKS3_PKPS1_EviT_T9_T10_S9_lSB_S9_lSA_T11_S9_li: ; @_ZL29rocblas_internal_gemmt_kernelIlLi16ELi32ELi8ELc67ELc67ELc76ELb1ELb1E19rocblas_complex_numIfEPKS1_PKS3_PKPS1_EviT_T9_T10_S9_lSB_S9_lSA_T11_S9_li
; %bb.0:
	s_clause 0x1
	s_load_dwordx8 s[36:43], s[4:5], 0x48
	s_load_dwordx16 s[12:27], s[4:5], 0x8
	s_waitcnt lgkmcnt(0)
	s_load_dwordx2 s[10:11], s[36:37], 0x0
	s_load_dwordx2 s[14:15], s[14:15], 0x0
	s_waitcnt lgkmcnt(0)
	s_and_b32 s0, s11, 0x7fffffff
	v_cmp_eq_f32_e64 s1, s10, 1.0
	s_cmp_eq_u32 s0, 0
	s_mov_b32 s0, 0
	s_cselect_b32 s29, -1, 0
	s_and_b32 s1, s1, s29
	s_andn2_b32 vcc_lo, exec_lo, s1
	s_mov_b32 s1, -1
	s_cbranch_vccnz .LBB521_4
; %bb.1:
	s_cmp_lg_u64 s[12:13], 0
	s_cbranch_scc0 .LBB521_3
; %bb.2:
	v_cmp_neq_f32_e64 s0, s14, 0
	v_cmp_neq_f32_e64 s1, s15, 0
	s_or_b32 s0, s0, s1
.LBB521_3:
	s_mov_b32 s1, s0
.LBB521_4:
	s_and_b32 vcc_lo, exec_lo, s1
	s_cbranch_vccz .LBB521_34
; %bb.5:
	s_mov_b32 s9, 0
	s_load_dword s28, s[4:5], 0x0
	s_lshl_b64 s[0:1], s[8:9], 3
	v_cmp_eq_f32_e64 s4, s14, 0
	s_add_u32 s2, s38, s0
	s_addc_u32 s3, s39, s1
	v_cmp_eq_f32_e64 s5, s15, 0
	s_load_dwordx2 s[2:3], s[2:3], 0x0
	v_cmp_lt_i64_e64 s8, s[12:13], 1
	v_mov_b32_e32 v23, 0
	v_mov_b32_e32 v22, 0
	s_and_b32 s4, s4, s5
	v_mov_b32_e32 v20, 0
	v_mov_b32_e32 v21, 0
	;; [unrolled: 1-line block ×6, first 2 shown]
	s_or_b32 s4, s4, s8
	s_lshl_b32 s6, s6, 5
	s_and_b32 vcc_lo, exec_lo, s4
	s_lshl_b32 s7, s7, 5
	s_cbranch_vccnz .LBB521_18
; %bb.6:
	s_add_u32 s4, s22, s0
	s_addc_u32 s5, s23, s1
	s_lshl_b64 s[8:9], s[26:27], 3
	s_load_dwordx2 s[4:5], s[4:5], 0x0
	v_lshl_add_u32 v2, v1, 4, v0
	v_and_b32_e32 v6, 7, v0
	v_lshlrev_b32_e32 v7, 3, v0
	v_lshl_add_u32 v8, v1, 6, 0x800
	v_mov_b32_e32 v3, 0
	v_and_b32_e32 v5, 31, v2
	v_lshrrev_b32_e32 v10, 3, v2
	v_lshlrev_b32_e32 v11, 3, v6
	v_lshrrev_b32_e32 v9, 5, v2
	v_mov_b32_e32 v17, 0
	v_or_b32_e32 v14, s6, v5
	v_add_nc_u32_e32 v4, s7, v10
	v_lshl_or_b32 v11, v10, 6, v11
	v_lshlrev_b32_e32 v2, 3, v5
	v_mov_b32_e32 v16, 0
	v_mul_lo_u32 v10, s19, v14
	v_mad_u64_u32 v[12:13], null, s18, v14, 0
	v_ashrrev_i32_e32 v5, 31, v4
	s_waitcnt lgkmcnt(0)
	s_add_u32 s22, s4, s8
	s_addc_u32 s9, s5, s9
	s_add_u32 s0, s16, s0
	s_addc_u32 s1, s17, s1
	s_lshl_b64 s[4:5], s[20:21], 3
	s_load_dwordx2 s[0:1], s[0:1], 0x0
	v_cmp_le_i32_e64 s8, s28, v14
	v_cmp_gt_i32_e32 vcc_lo, s28, v4
	v_mov_b32_e32 v19, 0
	v_mov_b32_e32 v18, 0
	v_mov_b32_e32 v21, 0
	v_mov_b32_e32 v20, 0
	v_mov_b32_e32 v22, 0
	v_add_nc_u32_e32 v11, 0x800, v11
	v_mov_b32_e32 v23, 0
	s_waitcnt lgkmcnt(0)
	s_add_u32 s4, s0, s4
	s_addc_u32 s5, s1, s5
	s_ashr_i32 s1, s6, 31
	v_cmp_gt_i32_e64 s0, s28, v14
	s_mul_i32 s1, s18, s1
	v_lshlrev_b64 v[14:15], 3, v[4:5]
	v_add3_u32 v13, v13, s1, v10
	v_lshl_or_b32 v10, v9, 8, v2
	v_lshlrev_b64 v[4:5], 3, v[12:13]
	v_add_co_u32 v12, s1, s22, v14
	v_add_co_ci_u32_e64 v13, null, s9, v15, s1
	v_add_co_u32 v14, s1, s4, v4
	v_add_co_ci_u32_e64 v15, null, s5, v5, s1
	s_mov_b64 s[4:5], 0
	s_xor_b32 s1, vcc_lo, -1
                                        ; implicit-def: $vgpr4_vgpr5
	s_branch .LBB521_8
.LBB521_7:                              ;   in Loop: Header=BB521_8 Depth=1
	s_or_b32 exec_lo, exec_lo, s9
	ds_write_b32 v11, v24 offset:4
	s_waitcnt lgkmcnt(0)
	s_barrier
	buffer_gl0_inv
	ds_read_b128 v[24:27], v8
	ds_read2_b64 v[28:31], v7 offset1:16
	ds_read_b128 v[32:35], v8 offset:1024
	ds_read_b128 v[36:39], v8 offset:16
	;; [unrolled: 1-line block ×4, first 2 shown]
	ds_read2_b64 v[48:51], v7 offset0:32 offset1:48
	ds_read_b128 v[52:55], v8 offset:1040
	s_add_u32 s4, s4, 8
	s_addc_u32 s5, s5, 0
	v_cmp_gt_i64_e64 s9, s[12:13], s[4:5]
	s_and_b32 vcc_lo, exec_lo, s9
	s_waitcnt lgkmcnt(6)
	v_mul_f32_e32 v2, v25, v29
	v_mul_f32_e32 v56, v24, v29
	;; [unrolled: 1-line block ×4, first 2 shown]
	s_waitcnt lgkmcnt(5)
	v_mul_f32_e32 v59, v33, v29
	v_mul_f32_e32 v29, v32, v29
	;; [unrolled: 1-line block ×3, first 2 shown]
	v_fma_f32 v2, v24, v28, -v2
	v_fmac_f32_e32 v56, v25, v28
	v_fma_f32 v24, v24, v30, -v57
	v_fmac_f32_e32 v58, v25, v30
	;; [unrolled: 2-line block ×3, first 2 shown]
	v_mul_f32_e32 v31, v32, v31
	v_fma_f32 v28, v32, v30, -v60
	v_add_f32_e32 v2, v23, v2
	v_add_f32_e32 v23, v20, v24
	;; [unrolled: 1-line block ×5, first 2 shown]
	s_waitcnt lgkmcnt(1)
	v_mul_f32_e32 v32, v27, v49
	ds_read2_b64 v[18:21], v7 offset0:64 offset1:80
	v_fmac_f32_e32 v31, v33, v30
	v_add_f32_e32 v16, v16, v28
	v_mul_f32_e32 v28, v26, v49
	v_fma_f32 v30, v26, v48, -v32
	v_mul_f32_e32 v32, v27, v51
	v_add_f32_e32 v22, v22, v56
	v_add_f32_e32 v17, v17, v31
	v_fmac_f32_e32 v28, v27, v48
	v_mul_f32_e32 v31, v26, v51
	v_add_f32_e32 v2, v2, v30
	v_fma_f32 v26, v26, v50, -v32
	v_mul_f32_e32 v30, v35, v49
	v_add_f32_e32 v28, v22, v28
	v_fmac_f32_e32 v31, v27, v50
	v_mul_f32_e32 v22, v34, v49
	v_add_f32_e32 v26, v23, v26
	v_fma_f32 v23, v34, v48, -v30
	v_mul_f32_e32 v27, v35, v51
	v_add_f32_e32 v30, v24, v31
	v_fmac_f32_e32 v22, v35, v48
	v_mul_f32_e32 v31, v34, v51
	v_add_f32_e32 v32, v25, v23
	v_fma_f32 v23, v34, v50, -v27
	s_waitcnt lgkmcnt(0)
	v_mul_f32_e32 v24, v37, v19
	v_add_f32_e32 v27, v29, v22
	v_fmac_f32_e32 v31, v35, v50
	v_mul_f32_e32 v29, v36, v19
	v_add_f32_e32 v16, v16, v23
	v_fma_f32 v33, v36, v18, -v24
	v_mul_f32_e32 v34, v37, v21
	ds_read2_b64 v[22:25], v7 offset0:96 offset1:112
	v_fmac_f32_e32 v29, v37, v18
	v_add_f32_e32 v31, v17, v31
	v_add_f32_e32 v2, v2, v33
	v_mul_f32_e32 v17, v36, v21
	v_fma_f32 v33, v36, v20, -v34
	v_add_f32_e32 v28, v28, v29
	v_mul_f32_e32 v29, v53, v19
	v_mul_f32_e32 v19, v52, v19
	v_fmac_f32_e32 v17, v37, v20
	v_add_f32_e32 v26, v26, v33
	v_mul_f32_e32 v33, v53, v21
	v_mul_f32_e32 v21, v52, v21
	v_fmac_f32_e32 v19, v53, v18
	v_add_f32_e32 v30, v30, v17
	v_fma_f32 v29, v52, v18, -v29
	v_fma_f32 v17, v52, v20, -v33
	v_fmac_f32_e32 v21, v53, v20
	v_add_f32_e32 v33, v27, v19
	s_waitcnt lgkmcnt(0)
	v_mul_f32_e32 v20, v39, v23
	v_add_f32_e32 v34, v16, v17
	ds_read2_b64 v[16:19], v7 offset0:128 offset1:144
	v_add_f32_e32 v32, v32, v29
	v_mul_f32_e32 v27, v38, v23
	v_mul_f32_e32 v29, v39, v25
	v_fma_f32 v20, v38, v22, -v20
	v_add_f32_e32 v31, v31, v21
	v_mul_f32_e32 v21, v38, v25
	v_fmac_f32_e32 v27, v39, v22
	v_fma_f32 v29, v38, v24, -v29
	v_add_f32_e32 v2, v2, v20
	v_mul_f32_e32 v20, v55, v23
	v_fmac_f32_e32 v21, v39, v24
	v_add_f32_e32 v35, v28, v27
	v_add_f32_e32 v36, v26, v29
	v_mul_f32_e32 v23, v54, v23
	v_fma_f32 v20, v54, v22, -v20
	v_mul_f32_e32 v37, v55, v25
	ds_read_b128 v[26:29], v8 offset:1056
	v_add_f32_e32 v38, v30, v21
	v_fmac_f32_e32 v23, v55, v22
	v_mul_f32_e32 v25, v54, v25
	v_fma_f32 v21, v54, v24, -v37
	v_add_f32_e32 v37, v32, v20
	s_waitcnt lgkmcnt(1)
	v_mul_f32_e32 v20, v41, v17
	v_add_f32_e32 v39, v33, v23
	v_fmac_f32_e32 v25, v55, v24
	v_add_f32_e32 v24, v34, v21
	v_mul_f32_e32 v32, v41, v19
	v_fma_f32 v30, v40, v16, -v20
	ds_read2_b64 v[20:23], v7 offset0:160 offset1:176
	v_mul_f32_e32 v34, v40, v17
	v_add_f32_e32 v25, v31, v25
	v_fma_f32 v48, v40, v18, -v32
	v_mul_f32_e32 v40, v40, v19
	v_add_f32_e32 v2, v2, v30
	v_fmac_f32_e32 v34, v41, v16
	ds_read_b128 v[30:33], v8 offset:1072
	s_waitcnt lgkmcnt(2)
	v_mul_f32_e32 v49, v27, v17
	v_mul_f32_e32 v17, v26, v17
	v_fmac_f32_e32 v40, v41, v18
	v_mul_f32_e32 v41, v27, v19
	v_add_f32_e32 v34, v35, v34
	v_add_f32_e32 v35, v36, v48
	v_fma_f32 v36, v26, v16, -v49
	v_fmac_f32_e32 v17, v27, v16
	v_add_f32_e32 v38, v38, v40
	v_mul_f32_e32 v40, v26, v19
	v_fma_f32 v16, v26, v18, -v41
	v_add_f32_e32 v36, v37, v36
	v_add_f32_e32 v26, v39, v17
	s_waitcnt lgkmcnt(1)
	v_mul_f32_e32 v37, v43, v21
	v_fmac_f32_e32 v40, v27, v18
	v_add_f32_e32 v24, v24, v16
	ds_read2_b64 v[16:19], v7 offset0:192 offset1:208
	v_mul_f32_e32 v27, v42, v21
	v_fma_f32 v37, v42, v20, -v37
	v_mul_f32_e32 v39, v43, v23
	v_add_f32_e32 v40, v25, v40
	v_mul_f32_e32 v25, v42, v23
	v_fmac_f32_e32 v27, v43, v20
	v_add_f32_e32 v2, v2, v37
	v_fma_f32 v37, v42, v22, -v39
	v_fmac_f32_e32 v25, v43, v22
	v_add_f32_e32 v34, v34, v27
	v_mul_f32_e32 v27, v29, v21
	v_mul_f32_e32 v21, v28, v21
	v_add_f32_e32 v35, v35, v37
	v_mul_f32_e32 v37, v29, v23
	v_add_f32_e32 v38, v38, v25
	v_fma_f32 v27, v28, v20, -v27
	v_fmac_f32_e32 v21, v29, v20
	v_mul_f32_e32 v20, v28, v23
	v_fma_f32 v23, v28, v22, -v37
	s_waitcnt lgkmcnt(0)
	v_mul_f32_e32 v25, v45, v17
	v_add_f32_e32 v28, v36, v27
	v_add_f32_e32 v21, v26, v21
	v_fmac_f32_e32 v20, v29, v22
	v_add_f32_e32 v22, v24, v23
	v_fma_f32 v29, v44, v16, -v25
	ds_read2_b64 v[24:27], v7 offset0:224 offset1:240
	v_mul_f32_e32 v23, v44, v17
	v_mul_f32_e32 v37, v31, v17
	;; [unrolled: 1-line block ×4, first 2 shown]
	v_add_f32_e32 v2, v2, v29
	v_fmac_f32_e32 v23, v45, v16
	v_mul_f32_e32 v29, v44, v19
	v_fmac_f32_e32 v17, v31, v16
	v_fma_f32 v36, v44, v18, -v36
	v_add_f32_e32 v20, v40, v20
	v_add_f32_e32 v34, v34, v23
	v_fma_f32 v23, v30, v16, -v37
	v_mul_f32_e32 v16, v31, v19
	v_mul_f32_e32 v19, v30, v19
	v_fmac_f32_e32 v29, v45, v18
	v_add_f32_e32 v17, v21, v17
	v_add_f32_e32 v35, v35, v36
	v_fma_f32 v16, v30, v18, -v16
	v_fmac_f32_e32 v19, v31, v18
	s_waitcnt lgkmcnt(0)
	v_mul_f32_e32 v21, v47, v25
	v_mul_f32_e32 v18, v47, v27
	v_add_f32_e32 v28, v28, v23
	v_mul_f32_e32 v30, v46, v25
	v_mul_f32_e32 v31, v46, v27
	v_fma_f32 v21, v46, v24, -v21
	v_fma_f32 v18, v46, v26, -v18
	v_add_f32_e32 v36, v20, v19
	v_mul_f32_e32 v19, v32, v25
	v_add_f32_e32 v29, v38, v29
	v_add_f32_e32 v23, v2, v21
	;; [unrolled: 1-line block ×3, first 2 shown]
	v_mul_f32_e32 v2, v33, v25
	v_mul_f32_e32 v18, v33, v27
	;; [unrolled: 1-line block ×3, first 2 shown]
	v_add_f32_e32 v16, v22, v16
	v_fmac_f32_e32 v30, v47, v24
	v_fmac_f32_e32 v31, v47, v26
	v_fma_f32 v2, v32, v24, -v2
	v_fmac_f32_e32 v19, v33, v24
	v_fma_f32 v24, v32, v26, -v18
	v_fmac_f32_e32 v25, v33, v26
	v_add_f32_e32 v22, v34, v30
	v_add_f32_e32 v21, v29, v31
	;; [unrolled: 1-line block ×6, first 2 shown]
	s_barrier
	buffer_gl0_inv
	s_cbranch_vccz .LBB521_18
.LBB521_8:                              ; =>This Inner Loop Header: Depth=1
	s_mov_b32 s9, 0
	s_mov_b32 s17, s8
	s_and_saveexec_b32 s16, s0
	s_cbranch_execnz .LBB521_16
; %bb.9:                                ;   in Loop: Header=BB521_8 Depth=1
	s_or_b32 exec_lo, exec_lo, s16
	s_and_saveexec_b32 s16, s17
	s_xor_b32 s16, exec_lo, s16
	s_cbranch_execnz .LBB521_17
.LBB521_10:                             ;   in Loop: Header=BB521_8 Depth=1
	s_or_b32 exec_lo, exec_lo, s16
	v_mov_b32_e32 v24, 0
	s_and_saveexec_b32 s16, s9
	s_cbranch_execz .LBB521_12
.LBB521_11:                             ;   in Loop: Header=BB521_8 Depth=1
	v_lshlrev_b64 v[24:25], 3, v[4:5]
	v_add_co_u32 v24, vcc_lo, v14, v24
	v_add_co_ci_u32_e64 v25, null, v15, v25, vcc_lo
	flat_load_dwordx2 v[25:26], v[24:25]
	s_waitcnt vmcnt(0) lgkmcnt(0)
	v_xor_b32_e32 v24, 0x80000000, v26
	ds_write_b32 v10, v25
.LBB521_12:                             ;   in Loop: Header=BB521_8 Depth=1
	s_or_b32 exec_lo, exec_lo, s16
	v_add_nc_u32_e32 v2, s4, v6
	ds_write_b32 v10, v24 offset:4
	v_cmp_le_u64_e32 vcc_lo, s[12:13], v[2:3]
	s_or_b32 s9, vcc_lo, s1
	s_and_saveexec_b32 s16, s9
	s_xor_b32 s9, exec_lo, s16
; %bb.13:                               ;   in Loop: Header=BB521_8 Depth=1
	ds_write_b32 v11, v3
; %bb.14:                               ;   in Loop: Header=BB521_8 Depth=1
	s_or_saveexec_b32 s9, s9
	v_mov_b32_e32 v24, 0
	s_xor_b32 exec_lo, exec_lo, s9
	s_cbranch_execz .LBB521_7
; %bb.15:                               ;   in Loop: Header=BB521_8 Depth=1
	v_mad_u64_u32 v[24:25], null, s24, v2, 0
	v_mad_u64_u32 v[25:26], null, s25, v2, v[25:26]
	v_lshlrev_b64 v[24:25], 3, v[24:25]
	v_add_co_u32 v24, vcc_lo, v12, v24
	v_add_co_ci_u32_e64 v25, null, v13, v25, vcc_lo
	flat_load_dwordx2 v[25:26], v[24:25]
	s_waitcnt vmcnt(0) lgkmcnt(0)
	v_xor_b32_e32 v24, 0x80000000, v26
	ds_write_b32 v11, v25
	s_branch .LBB521_7
.LBB521_16:                             ;   in Loop: Header=BB521_8 Depth=1
	v_add_nc_u32_e32 v2, s4, v9
	v_mov_b32_e32 v5, v3
	s_andn2_b32 s17, s8, exec_lo
	s_mov_b32 s9, exec_lo
	v_cmp_le_u64_e32 vcc_lo, s[12:13], v[2:3]
	v_mov_b32_e32 v4, v2
	s_and_b32 s18, vcc_lo, exec_lo
	s_or_b32 s17, s17, s18
	s_or_b32 exec_lo, exec_lo, s16
	s_and_saveexec_b32 s16, s17
	s_xor_b32 s16, exec_lo, s16
	s_cbranch_execz .LBB521_10
.LBB521_17:                             ;   in Loop: Header=BB521_8 Depth=1
	s_andn2_b32 s9, s9, exec_lo
	ds_write_b32 v10, v3
	s_or_b32 exec_lo, exec_lo, s16
	v_mov_b32_e32 v24, 0
	s_and_saveexec_b32 s16, s9
	s_cbranch_execnz .LBB521_11
	s_branch .LBB521_12
.LBB521_18:
	v_add_nc_u32_e32 v9, s7, v1
	s_lshl_b64 s[0:1], s[42:43], 3
	v_add_nc_u32_e32 v0, s6, v0
	v_cmp_neq_f32_e64 s5, s10, 0
	s_waitcnt lgkmcnt(0)
	s_add_u32 s4, s2, s0
	v_ashrrev_i32_e32 v3, 31, v9
	v_mul_lo_u32 v4, s41, v9
	v_mad_u64_u32 v[1:2], null, s40, v9, 0
	s_addc_u32 s3, s3, s1
	v_mul_lo_u32 v3, s40, v3
	s_xor_b32 s2, s29, -1
	v_cmp_le_i32_e32 vcc_lo, v9, v0
	v_cmp_gt_i32_e64 s0, s28, v0
	s_or_b32 s2, s5, s2
	v_cndmask_b32_e64 v8, 0, 1, s2
	s_and_b32 s5, vcc_lo, s0
	v_add3_u32 v2, v2, v3, v4
	v_lshlrev_b64 v[2:3], 3, v[1:2]
	v_ashrrev_i32_e32 v1, 31, v0
	v_add_co_u32 v6, s1, s4, v2
	v_add_co_ci_u32_e64 v7, null, s3, v3, s1
	s_and_saveexec_b32 s1, s5
	s_cbranch_execz .LBB521_22
; %bb.19:
	v_lshlrev_b64 v[4:5], 3, v[0:1]
	v_mul_f32_e32 v2, s15, v22
	v_mul_f32_e32 v3, s14, v22
	v_fma_f32 v2, v23, s14, -v2
	v_add_co_u32 v4, vcc_lo, v6, v4
	v_fmac_f32_e32 v3, s15, v23
	v_add_co_ci_u32_e64 v5, null, v7, v5, vcc_lo
	s_andn2_b32 vcc_lo, exec_lo, s2
	s_cbranch_vccnz .LBB521_21
; %bb.20:
	flat_load_dwordx2 v[10:11], v[4:5]
	s_waitcnt vmcnt(0) lgkmcnt(0)
	v_mul_f32_e32 v12, s11, v11
	v_mul_f32_e32 v11, s10, v11
	v_fma_f32 v12, v10, s10, -v12
	v_fmac_f32_e32 v11, s11, v10
	v_add_f32_e32 v2, v2, v12
	v_add_f32_e32 v3, v3, v11
.LBB521_21:
	flat_store_dwordx2 v[4:5], v[2:3]
.LBB521_22:
	s_or_b32 exec_lo, exec_lo, s1
	v_add_nc_u32_e32 v2, 16, v0
	v_cmp_le_i32_e32 vcc_lo, v9, v2
	v_cmp_gt_i32_e64 s1, s28, v2
	v_ashrrev_i32_e32 v3, 31, v2
	s_and_b32 s2, vcc_lo, s1
	s_and_saveexec_b32 s5, s2
	s_cbranch_execz .LBB521_26
; %bb.23:
	v_lshlrev_b64 v[10:11], 3, v[2:3]
	v_mul_f32_e32 v4, s15, v21
	v_mul_f32_e32 v5, s14, v21
	v_cmp_ne_u32_e32 vcc_lo, 1, v8
	v_fma_f32 v4, v20, s14, -v4
	v_add_co_u32 v6, s2, v6, v10
	v_fmac_f32_e32 v5, s15, v20
	v_add_co_ci_u32_e64 v7, null, v7, v11, s2
	s_cbranch_vccnz .LBB521_25
; %bb.24:
	flat_load_dwordx2 v[10:11], v[6:7]
	s_waitcnt vmcnt(0) lgkmcnt(0)
	v_mul_f32_e32 v12, s11, v11
	v_mul_f32_e32 v11, s10, v11
	v_fma_f32 v12, v10, s10, -v12
	v_fmac_f32_e32 v11, s11, v10
	v_add_f32_e32 v4, v4, v12
	v_add_f32_e32 v5, v5, v11
.LBB521_25:
	flat_store_dwordx2 v[6:7], v[4:5]
.LBB521_26:
	s_or_b32 exec_lo, exec_lo, s5
	v_add_nc_u32_e32 v9, 16, v9
	v_ashrrev_i32_e32 v6, 31, v9
	v_mul_lo_u32 v7, s41, v9
	v_mad_u64_u32 v[4:5], null, s40, v9, 0
	v_cmp_le_i32_e32 vcc_lo, v9, v0
	v_mul_lo_u32 v6, s40, v6
	s_and_b32 s0, vcc_lo, s0
	v_add3_u32 v5, v5, v6, v7
	v_lshlrev_b64 v[4:5], 3, v[4:5]
	v_add_co_u32 v6, s2, s4, v4
	v_add_co_ci_u32_e64 v7, null, s3, v5, s2
	s_and_saveexec_b32 s2, s0
	s_cbranch_execz .LBB521_30
; %bb.27:
	v_lshlrev_b64 v[0:1], 3, v[0:1]
	v_mul_f32_e32 v4, s15, v19
	v_mul_f32_e32 v5, s14, v19
	v_cmp_ne_u32_e32 vcc_lo, 1, v8
	v_fma_f32 v4, v18, s14, -v4
	v_add_co_u32 v0, s0, v6, v0
	v_fmac_f32_e32 v5, s15, v18
	v_add_co_ci_u32_e64 v1, null, v7, v1, s0
	s_cbranch_vccnz .LBB521_29
; %bb.28:
	flat_load_dwordx2 v[10:11], v[0:1]
	s_waitcnt vmcnt(0) lgkmcnt(0)
	v_mul_f32_e32 v12, s11, v11
	v_mul_f32_e32 v11, s10, v11
	v_fma_f32 v12, v10, s10, -v12
	v_fmac_f32_e32 v11, s11, v10
	v_add_f32_e32 v4, v4, v12
	v_add_f32_e32 v5, v5, v11
.LBB521_29:
	flat_store_dwordx2 v[0:1], v[4:5]
.LBB521_30:
	s_or_b32 exec_lo, exec_lo, s2
	v_cmp_le_i32_e32 vcc_lo, v9, v2
	s_and_b32 s0, vcc_lo, s1
	s_and_saveexec_b32 s1, s0
	s_cbranch_execz .LBB521_34
; %bb.31:
	v_lshlrev_b64 v[2:3], 3, v[2:3]
	v_mul_f32_e32 v0, s15, v17
	v_mul_f32_e32 v1, s14, v17
	v_cmp_ne_u32_e32 vcc_lo, 1, v8
	v_fma_f32 v0, v16, s14, -v0
	v_add_co_u32 v2, s0, v6, v2
	v_fmac_f32_e32 v1, s15, v16
	v_add_co_ci_u32_e64 v3, null, v7, v3, s0
	s_cbranch_vccnz .LBB521_33
; %bb.32:
	flat_load_dwordx2 v[4:5], v[2:3]
	s_waitcnt vmcnt(0) lgkmcnt(0)
	v_mul_f32_e32 v6, s11, v5
	v_mul_f32_e32 v5, s10, v5
	v_fma_f32 v6, v4, s10, -v6
	v_fmac_f32_e32 v5, s11, v4
	v_add_f32_e32 v0, v0, v6
	v_add_f32_e32 v1, v1, v5
.LBB521_33:
	flat_store_dwordx2 v[2:3], v[0:1]
.LBB521_34:
	s_endpgm
	.section	.rodata,"a",@progbits
	.p2align	6, 0x0
	.amdhsa_kernel _ZL29rocblas_internal_gemmt_kernelIlLi16ELi32ELi8ELc67ELc67ELc76ELb1ELb1E19rocblas_complex_numIfEPKS1_PKS3_PKPS1_EviT_T9_T10_S9_lSB_S9_lSA_T11_S9_li
		.amdhsa_group_segment_fixed_size 4096
		.amdhsa_private_segment_fixed_size 0
		.amdhsa_kernarg_size 108
		.amdhsa_user_sgpr_count 6
		.amdhsa_user_sgpr_private_segment_buffer 1
		.amdhsa_user_sgpr_dispatch_ptr 0
		.amdhsa_user_sgpr_queue_ptr 0
		.amdhsa_user_sgpr_kernarg_segment_ptr 1
		.amdhsa_user_sgpr_dispatch_id 0
		.amdhsa_user_sgpr_flat_scratch_init 0
		.amdhsa_user_sgpr_private_segment_size 0
		.amdhsa_wavefront_size32 1
		.amdhsa_uses_dynamic_stack 0
		.amdhsa_system_sgpr_private_segment_wavefront_offset 0
		.amdhsa_system_sgpr_workgroup_id_x 1
		.amdhsa_system_sgpr_workgroup_id_y 1
		.amdhsa_system_sgpr_workgroup_id_z 1
		.amdhsa_system_sgpr_workgroup_info 0
		.amdhsa_system_vgpr_workitem_id 1
		.amdhsa_next_free_vgpr 61
		.amdhsa_next_free_sgpr 44
		.amdhsa_reserve_vcc 1
		.amdhsa_reserve_flat_scratch 0
		.amdhsa_float_round_mode_32 0
		.amdhsa_float_round_mode_16_64 0
		.amdhsa_float_denorm_mode_32 3
		.amdhsa_float_denorm_mode_16_64 3
		.amdhsa_dx10_clamp 1
		.amdhsa_ieee_mode 1
		.amdhsa_fp16_overflow 0
		.amdhsa_workgroup_processor_mode 1
		.amdhsa_memory_ordered 1
		.amdhsa_forward_progress 1
		.amdhsa_shared_vgpr_count 0
		.amdhsa_exception_fp_ieee_invalid_op 0
		.amdhsa_exception_fp_denorm_src 0
		.amdhsa_exception_fp_ieee_div_zero 0
		.amdhsa_exception_fp_ieee_overflow 0
		.amdhsa_exception_fp_ieee_underflow 0
		.amdhsa_exception_fp_ieee_inexact 0
		.amdhsa_exception_int_div_zero 0
	.end_amdhsa_kernel
	.section	.text._ZL29rocblas_internal_gemmt_kernelIlLi16ELi32ELi8ELc67ELc67ELc76ELb1ELb1E19rocblas_complex_numIfEPKS1_PKS3_PKPS1_EviT_T9_T10_S9_lSB_S9_lSA_T11_S9_li,"axG",@progbits,_ZL29rocblas_internal_gemmt_kernelIlLi16ELi32ELi8ELc67ELc67ELc76ELb1ELb1E19rocblas_complex_numIfEPKS1_PKS3_PKPS1_EviT_T9_T10_S9_lSB_S9_lSA_T11_S9_li,comdat
.Lfunc_end521:
	.size	_ZL29rocblas_internal_gemmt_kernelIlLi16ELi32ELi8ELc67ELc67ELc76ELb1ELb1E19rocblas_complex_numIfEPKS1_PKS3_PKPS1_EviT_T9_T10_S9_lSB_S9_lSA_T11_S9_li, .Lfunc_end521-_ZL29rocblas_internal_gemmt_kernelIlLi16ELi32ELi8ELc67ELc67ELc76ELb1ELb1E19rocblas_complex_numIfEPKS1_PKS3_PKPS1_EviT_T9_T10_S9_lSB_S9_lSA_T11_S9_li
                                        ; -- End function
	.set _ZL29rocblas_internal_gemmt_kernelIlLi16ELi32ELi8ELc67ELc67ELc76ELb1ELb1E19rocblas_complex_numIfEPKS1_PKS3_PKPS1_EviT_T9_T10_S9_lSB_S9_lSA_T11_S9_li.num_vgpr, 61
	.set _ZL29rocblas_internal_gemmt_kernelIlLi16ELi32ELi8ELc67ELc67ELc76ELb1ELb1E19rocblas_complex_numIfEPKS1_PKS3_PKPS1_EviT_T9_T10_S9_lSB_S9_lSA_T11_S9_li.num_agpr, 0
	.set _ZL29rocblas_internal_gemmt_kernelIlLi16ELi32ELi8ELc67ELc67ELc76ELb1ELb1E19rocblas_complex_numIfEPKS1_PKS3_PKPS1_EviT_T9_T10_S9_lSB_S9_lSA_T11_S9_li.numbered_sgpr, 44
	.set _ZL29rocblas_internal_gemmt_kernelIlLi16ELi32ELi8ELc67ELc67ELc76ELb1ELb1E19rocblas_complex_numIfEPKS1_PKS3_PKPS1_EviT_T9_T10_S9_lSB_S9_lSA_T11_S9_li.num_named_barrier, 0
	.set _ZL29rocblas_internal_gemmt_kernelIlLi16ELi32ELi8ELc67ELc67ELc76ELb1ELb1E19rocblas_complex_numIfEPKS1_PKS3_PKPS1_EviT_T9_T10_S9_lSB_S9_lSA_T11_S9_li.private_seg_size, 0
	.set _ZL29rocblas_internal_gemmt_kernelIlLi16ELi32ELi8ELc67ELc67ELc76ELb1ELb1E19rocblas_complex_numIfEPKS1_PKS3_PKPS1_EviT_T9_T10_S9_lSB_S9_lSA_T11_S9_li.uses_vcc, 1
	.set _ZL29rocblas_internal_gemmt_kernelIlLi16ELi32ELi8ELc67ELc67ELc76ELb1ELb1E19rocblas_complex_numIfEPKS1_PKS3_PKPS1_EviT_T9_T10_S9_lSB_S9_lSA_T11_S9_li.uses_flat_scratch, 0
	.set _ZL29rocblas_internal_gemmt_kernelIlLi16ELi32ELi8ELc67ELc67ELc76ELb1ELb1E19rocblas_complex_numIfEPKS1_PKS3_PKPS1_EviT_T9_T10_S9_lSB_S9_lSA_T11_S9_li.has_dyn_sized_stack, 0
	.set _ZL29rocblas_internal_gemmt_kernelIlLi16ELi32ELi8ELc67ELc67ELc76ELb1ELb1E19rocblas_complex_numIfEPKS1_PKS3_PKPS1_EviT_T9_T10_S9_lSB_S9_lSA_T11_S9_li.has_recursion, 0
	.set _ZL29rocblas_internal_gemmt_kernelIlLi16ELi32ELi8ELc67ELc67ELc76ELb1ELb1E19rocblas_complex_numIfEPKS1_PKS3_PKPS1_EviT_T9_T10_S9_lSB_S9_lSA_T11_S9_li.has_indirect_call, 0
	.section	.AMDGPU.csdata,"",@progbits
; Kernel info:
; codeLenInByte = 2652
; TotalNumSgprs: 46
; NumVgprs: 61
; ScratchSize: 0
; MemoryBound: 0
; FloatMode: 240
; IeeeMode: 1
; LDSByteSize: 4096 bytes/workgroup (compile time only)
; SGPRBlocks: 0
; VGPRBlocks: 7
; NumSGPRsForWavesPerEU: 46
; NumVGPRsForWavesPerEU: 61
; Occupancy: 16
; WaveLimiterHint : 1
; COMPUTE_PGM_RSRC2:SCRATCH_EN: 0
; COMPUTE_PGM_RSRC2:USER_SGPR: 6
; COMPUTE_PGM_RSRC2:TRAP_HANDLER: 0
; COMPUTE_PGM_RSRC2:TGID_X_EN: 1
; COMPUTE_PGM_RSRC2:TGID_Y_EN: 1
; COMPUTE_PGM_RSRC2:TGID_Z_EN: 1
; COMPUTE_PGM_RSRC2:TIDIG_COMP_CNT: 1
	.section	.text._ZL29rocblas_internal_gemmt_kernelIlLi16ELi32ELi8ELc78ELc78ELc85ELb0ELb0E19rocblas_complex_numIfES1_PKPKS1_PKPS1_EviT_T9_T10_S9_lSB_S9_lSA_T11_S9_li,"axG",@progbits,_ZL29rocblas_internal_gemmt_kernelIlLi16ELi32ELi8ELc78ELc78ELc85ELb0ELb0E19rocblas_complex_numIfES1_PKPKS1_PKPS1_EviT_T9_T10_S9_lSB_S9_lSA_T11_S9_li,comdat
	.globl	_ZL29rocblas_internal_gemmt_kernelIlLi16ELi32ELi8ELc78ELc78ELc85ELb0ELb0E19rocblas_complex_numIfES1_PKPKS1_PKPS1_EviT_T9_T10_S9_lSB_S9_lSA_T11_S9_li ; -- Begin function _ZL29rocblas_internal_gemmt_kernelIlLi16ELi32ELi8ELc78ELc78ELc85ELb0ELb0E19rocblas_complex_numIfES1_PKPKS1_PKPS1_EviT_T9_T10_S9_lSB_S9_lSA_T11_S9_li
	.p2align	8
	.type	_ZL29rocblas_internal_gemmt_kernelIlLi16ELi32ELi8ELc78ELc78ELc85ELb0ELb0E19rocblas_complex_numIfES1_PKPKS1_PKPS1_EviT_T9_T10_S9_lSB_S9_lSA_T11_S9_li,@function
_ZL29rocblas_internal_gemmt_kernelIlLi16ELi32ELi8ELc78ELc78ELc85ELb0ELb0E19rocblas_complex_numIfES1_PKPKS1_PKPS1_EviT_T9_T10_S9_lSB_S9_lSA_T11_S9_li: ; @_ZL29rocblas_internal_gemmt_kernelIlLi16ELi32ELi8ELc78ELc78ELc85ELb0ELb0E19rocblas_complex_numIfES1_PKPKS1_PKPS1_EviT_T9_T10_S9_lSB_S9_lSA_T11_S9_li
; %bb.0:
	s_clause 0x1
	s_load_dwordx2 s[20:21], s[4:5], 0x48
	s_load_dwordx4 s[16:19], s[4:5], 0x8
	s_waitcnt lgkmcnt(0)
	s_and_b32 s0, s21, 0x7fffffff
	v_cmp_eq_f32_e64 s1, s20, 1.0
	s_cmp_eq_u32 s0, 0
	s_mov_b32 s0, 0
	s_cselect_b32 s29, -1, 0
	s_and_b32 s1, s1, s29
	s_andn2_b32 vcc_lo, exec_lo, s1
	s_mov_b32 s1, -1
	s_cbranch_vccnz .LBB522_4
; %bb.1:
	s_cmp_lg_u64 s[16:17], 0
	s_cbranch_scc0 .LBB522_3
; %bb.2:
	v_cmp_neq_f32_e64 s0, s18, 0
	v_cmp_neq_f32_e64 s1, s19, 0
	s_or_b32 s0, s0, s1
.LBB522_3:
	s_mov_b32 s1, s0
.LBB522_4:
	s_and_b32 vcc_lo, exec_lo, s1
	s_cbranch_vccz .LBB522_34
; %bb.5:
	s_clause 0x1
	s_load_dwordx4 s[0:3], s[4:5], 0x50
	s_load_dword s28, s[4:5], 0x0
	s_mov_b32 s9, 0
	s_load_dwordx2 s[22:23], s[4:5], 0x60
	s_lshl_b64 s[26:27], s[8:9], 3
	v_cmp_eq_f32_e64 s8, s18, 0
	v_cmp_eq_f32_e64 s9, s19, 0
	v_mov_b32_e32 v23, 0
	v_mov_b32_e32 v22, 0
	;; [unrolled: 1-line block ×8, first 2 shown]
	s_waitcnt lgkmcnt(0)
	s_add_u32 s0, s0, s26
	s_addc_u32 s1, s1, s27
	s_lshl_b32 s30, s6, 5
	s_load_dwordx2 s[24:25], s[0:1], 0x0
	v_cmp_lt_i64_e64 s0, s[16:17], 1
	s_and_b32 s1, s8, s9
	s_lshl_b32 s31, s7, 5
	s_or_b32 s0, s1, s0
	s_and_b32 vcc_lo, exec_lo, s0
	s_cbranch_vccnz .LBB522_18
; %bb.6:
	s_clause 0x1
	s_load_dwordx8 s[8:15], s[4:5], 0x18
	s_load_dwordx4 s[4:7], s[4:5], 0x38
	v_lshl_add_u32 v2, v1, 4, v0
	v_and_b32_e32 v6, 7, v0
	v_lshlrev_b32_e32 v7, 3, v0
	v_lshl_add_u32 v8, v1, 6, 0x800
	v_mov_b32_e32 v3, 0
	v_lshrrev_b32_e32 v10, 3, v2
	v_and_b32_e32 v13, 31, v2
	v_lshrrev_b32_e32 v9, 5, v2
	v_lshlrev_b32_e32 v23, 3, v6
	v_mov_b32_e32 v17, 0
	v_add_nc_u32_e32 v11, s31, v10
	v_or_b32_e32 v12, s30, v13
	v_lshlrev_b32_e32 v2, 3, v13
	v_lshl_or_b32 v23, v10, 6, v23
	v_mov_b32_e32 v16, 0
	v_ashrrev_i32_e32 v4, 31, v11
	v_ashrrev_i32_e32 v13, 31, v12
	v_cmp_gt_i32_e32 vcc_lo, s28, v11
	s_waitcnt lgkmcnt(0)
	s_add_u32 s0, s14, s26
	s_addc_u32 s1, s15, s27
	s_lshl_b64 s[6:7], s[6:7], 3
	s_load_dwordx2 s[0:1], s[0:1], 0x0
	v_mul_lo_u32 v14, s4, v4
	v_mul_lo_u32 v15, s5, v11
	v_mad_u64_u32 v[4:5], null, s4, v11, 0
	v_mov_b32_e32 v19, 0
	v_mov_b32_e32 v18, 0
	;; [unrolled: 1-line block ×5, first 2 shown]
	v_lshl_or_b32 v10, v9, 8, v2
	v_add3_u32 v5, v5, v14, v15
	v_lshlrev_b64 v[14:15], 3, v[12:13]
	v_add_nc_u32_e32 v11, 0x800, v23
	v_mov_b32_e32 v23, 0
	v_lshlrev_b64 v[4:5], 3, v[4:5]
	s_waitcnt lgkmcnt(0)
	s_add_u32 s14, s0, s6
	s_addc_u32 s7, s1, s7
	s_add_u32 s0, s8, s26
	s_addc_u32 s1, s9, s27
	v_cmp_le_i32_e64 s6, s28, v12
	s_load_dwordx2 s[4:5], s[0:1], 0x0
	v_cmp_gt_i32_e64 s0, s28, v12
	s_lshl_b64 s[8:9], s[12:13], 3
	v_add_co_u32 v12, s1, s14, v4
	v_add_co_ci_u32_e64 v13, null, s7, v5, s1
                                        ; implicit-def: $vgpr4_vgpr5
	s_waitcnt lgkmcnt(0)
	s_add_u32 s1, s4, s8
	s_addc_u32 s4, s5, s9
	v_add_co_u32 v14, s1, s1, v14
	v_add_co_ci_u32_e64 v15, null, s4, v15, s1
	s_mov_b64 s[4:5], 0
	s_xor_b32 s1, vcc_lo, -1
	s_branch .LBB522_8
.LBB522_7:                              ;   in Loop: Header=BB522_8 Depth=1
	s_or_b32 exec_lo, exec_lo, s7
	s_waitcnt lgkmcnt(0)
	s_barrier
	buffer_gl0_inv
	ds_read_b128 v[24:27], v8
	ds_read2_b64 v[28:31], v7 offset1:16
	ds_read_b128 v[32:35], v8 offset:1024
	ds_read_b128 v[36:39], v8 offset:16
	;; [unrolled: 1-line block ×4, first 2 shown]
	ds_read2_b64 v[48:51], v7 offset0:32 offset1:48
	ds_read_b128 v[52:55], v8 offset:1040
	s_add_u32 s4, s4, 8
	s_addc_u32 s5, s5, 0
	v_cmp_gt_i64_e64 s7, s[16:17], s[4:5]
	s_and_b32 vcc_lo, exec_lo, s7
	s_waitcnt lgkmcnt(6)
	v_mul_f32_e32 v2, v25, v29
	v_mul_f32_e32 v56, v24, v29
	;; [unrolled: 1-line block ×4, first 2 shown]
	s_waitcnt lgkmcnt(5)
	v_mul_f32_e32 v59, v33, v29
	v_mul_f32_e32 v29, v32, v29
	;; [unrolled: 1-line block ×3, first 2 shown]
	v_fma_f32 v2, v24, v28, -v2
	v_fmac_f32_e32 v56, v25, v28
	v_fma_f32 v24, v24, v30, -v57
	v_fmac_f32_e32 v58, v25, v30
	;; [unrolled: 2-line block ×3, first 2 shown]
	v_mul_f32_e32 v31, v32, v31
	v_fma_f32 v28, v32, v30, -v60
	v_add_f32_e32 v2, v23, v2
	v_add_f32_e32 v23, v20, v24
	;; [unrolled: 1-line block ×5, first 2 shown]
	s_waitcnt lgkmcnt(1)
	v_mul_f32_e32 v32, v27, v49
	ds_read2_b64 v[18:21], v7 offset0:64 offset1:80
	v_fmac_f32_e32 v31, v33, v30
	v_add_f32_e32 v16, v16, v28
	v_mul_f32_e32 v28, v26, v49
	v_fma_f32 v30, v26, v48, -v32
	v_mul_f32_e32 v32, v27, v51
	v_add_f32_e32 v22, v22, v56
	v_add_f32_e32 v17, v17, v31
	v_fmac_f32_e32 v28, v27, v48
	v_mul_f32_e32 v31, v26, v51
	v_add_f32_e32 v2, v2, v30
	v_fma_f32 v26, v26, v50, -v32
	v_mul_f32_e32 v30, v35, v49
	v_add_f32_e32 v28, v22, v28
	v_fmac_f32_e32 v31, v27, v50
	v_mul_f32_e32 v22, v34, v49
	v_add_f32_e32 v26, v23, v26
	v_fma_f32 v23, v34, v48, -v30
	v_mul_f32_e32 v27, v35, v51
	v_add_f32_e32 v30, v24, v31
	v_fmac_f32_e32 v22, v35, v48
	v_mul_f32_e32 v31, v34, v51
	v_add_f32_e32 v32, v25, v23
	v_fma_f32 v23, v34, v50, -v27
	s_waitcnt lgkmcnt(0)
	v_mul_f32_e32 v24, v37, v19
	v_add_f32_e32 v27, v29, v22
	v_fmac_f32_e32 v31, v35, v50
	v_mul_f32_e32 v29, v36, v19
	v_add_f32_e32 v16, v16, v23
	v_fma_f32 v33, v36, v18, -v24
	v_mul_f32_e32 v34, v37, v21
	ds_read2_b64 v[22:25], v7 offset0:96 offset1:112
	v_fmac_f32_e32 v29, v37, v18
	v_add_f32_e32 v31, v17, v31
	v_add_f32_e32 v2, v2, v33
	v_mul_f32_e32 v17, v36, v21
	v_fma_f32 v33, v36, v20, -v34
	v_add_f32_e32 v28, v28, v29
	v_mul_f32_e32 v29, v53, v19
	v_mul_f32_e32 v19, v52, v19
	v_fmac_f32_e32 v17, v37, v20
	v_add_f32_e32 v26, v26, v33
	v_mul_f32_e32 v33, v53, v21
	v_mul_f32_e32 v21, v52, v21
	v_fmac_f32_e32 v19, v53, v18
	v_add_f32_e32 v30, v30, v17
	v_fma_f32 v29, v52, v18, -v29
	v_fma_f32 v17, v52, v20, -v33
	v_fmac_f32_e32 v21, v53, v20
	v_add_f32_e32 v33, v27, v19
	s_waitcnt lgkmcnt(0)
	v_mul_f32_e32 v20, v39, v23
	v_add_f32_e32 v34, v16, v17
	ds_read2_b64 v[16:19], v7 offset0:128 offset1:144
	v_add_f32_e32 v32, v32, v29
	v_mul_f32_e32 v27, v38, v23
	v_mul_f32_e32 v29, v39, v25
	v_fma_f32 v20, v38, v22, -v20
	v_add_f32_e32 v31, v31, v21
	v_mul_f32_e32 v21, v38, v25
	v_fmac_f32_e32 v27, v39, v22
	v_fma_f32 v29, v38, v24, -v29
	v_add_f32_e32 v2, v2, v20
	v_mul_f32_e32 v20, v55, v23
	v_fmac_f32_e32 v21, v39, v24
	v_add_f32_e32 v35, v28, v27
	v_add_f32_e32 v36, v26, v29
	v_mul_f32_e32 v23, v54, v23
	v_fma_f32 v20, v54, v22, -v20
	v_mul_f32_e32 v37, v55, v25
	ds_read_b128 v[26:29], v8 offset:1056
	v_add_f32_e32 v38, v30, v21
	v_fmac_f32_e32 v23, v55, v22
	v_mul_f32_e32 v25, v54, v25
	v_fma_f32 v21, v54, v24, -v37
	v_add_f32_e32 v37, v32, v20
	s_waitcnt lgkmcnt(1)
	v_mul_f32_e32 v20, v41, v17
	v_add_f32_e32 v39, v33, v23
	v_fmac_f32_e32 v25, v55, v24
	v_add_f32_e32 v24, v34, v21
	v_mul_f32_e32 v32, v41, v19
	v_fma_f32 v30, v40, v16, -v20
	ds_read2_b64 v[20:23], v7 offset0:160 offset1:176
	v_mul_f32_e32 v34, v40, v17
	v_add_f32_e32 v25, v31, v25
	v_fma_f32 v48, v40, v18, -v32
	v_mul_f32_e32 v40, v40, v19
	v_add_f32_e32 v2, v2, v30
	v_fmac_f32_e32 v34, v41, v16
	ds_read_b128 v[30:33], v8 offset:1072
	s_waitcnt lgkmcnt(2)
	v_mul_f32_e32 v49, v27, v17
	v_mul_f32_e32 v17, v26, v17
	v_fmac_f32_e32 v40, v41, v18
	v_mul_f32_e32 v41, v27, v19
	v_add_f32_e32 v34, v35, v34
	v_add_f32_e32 v35, v36, v48
	v_fma_f32 v36, v26, v16, -v49
	v_fmac_f32_e32 v17, v27, v16
	v_add_f32_e32 v38, v38, v40
	v_mul_f32_e32 v40, v26, v19
	v_fma_f32 v16, v26, v18, -v41
	v_add_f32_e32 v36, v37, v36
	v_add_f32_e32 v26, v39, v17
	s_waitcnt lgkmcnt(1)
	v_mul_f32_e32 v37, v43, v21
	v_fmac_f32_e32 v40, v27, v18
	v_add_f32_e32 v24, v24, v16
	ds_read2_b64 v[16:19], v7 offset0:192 offset1:208
	v_mul_f32_e32 v27, v42, v21
	v_fma_f32 v37, v42, v20, -v37
	v_mul_f32_e32 v39, v43, v23
	v_add_f32_e32 v40, v25, v40
	v_mul_f32_e32 v25, v42, v23
	v_fmac_f32_e32 v27, v43, v20
	v_add_f32_e32 v2, v2, v37
	v_fma_f32 v37, v42, v22, -v39
	v_fmac_f32_e32 v25, v43, v22
	v_add_f32_e32 v34, v34, v27
	v_mul_f32_e32 v27, v29, v21
	v_mul_f32_e32 v21, v28, v21
	v_add_f32_e32 v35, v35, v37
	v_mul_f32_e32 v37, v29, v23
	v_add_f32_e32 v38, v38, v25
	v_fma_f32 v27, v28, v20, -v27
	v_fmac_f32_e32 v21, v29, v20
	v_mul_f32_e32 v20, v28, v23
	v_fma_f32 v23, v28, v22, -v37
	s_waitcnt lgkmcnt(0)
	v_mul_f32_e32 v25, v45, v17
	v_add_f32_e32 v28, v36, v27
	v_add_f32_e32 v21, v26, v21
	v_fmac_f32_e32 v20, v29, v22
	v_add_f32_e32 v22, v24, v23
	v_fma_f32 v29, v44, v16, -v25
	ds_read2_b64 v[24:27], v7 offset0:224 offset1:240
	v_mul_f32_e32 v23, v44, v17
	v_mul_f32_e32 v37, v31, v17
	;; [unrolled: 1-line block ×4, first 2 shown]
	v_add_f32_e32 v2, v2, v29
	v_fmac_f32_e32 v23, v45, v16
	v_mul_f32_e32 v29, v44, v19
	v_fmac_f32_e32 v17, v31, v16
	v_fma_f32 v36, v44, v18, -v36
	v_add_f32_e32 v20, v40, v20
	v_add_f32_e32 v34, v34, v23
	v_fma_f32 v23, v30, v16, -v37
	v_mul_f32_e32 v16, v31, v19
	v_mul_f32_e32 v19, v30, v19
	v_fmac_f32_e32 v29, v45, v18
	v_add_f32_e32 v17, v21, v17
	v_add_f32_e32 v35, v35, v36
	v_fma_f32 v16, v30, v18, -v16
	v_fmac_f32_e32 v19, v31, v18
	s_waitcnt lgkmcnt(0)
	v_mul_f32_e32 v21, v47, v25
	v_mul_f32_e32 v18, v47, v27
	v_add_f32_e32 v28, v28, v23
	v_mul_f32_e32 v30, v46, v25
	v_mul_f32_e32 v31, v46, v27
	v_fma_f32 v21, v46, v24, -v21
	v_fma_f32 v18, v46, v26, -v18
	v_add_f32_e32 v36, v20, v19
	v_mul_f32_e32 v19, v32, v25
	v_add_f32_e32 v29, v38, v29
	v_add_f32_e32 v23, v2, v21
	;; [unrolled: 1-line block ×3, first 2 shown]
	v_mul_f32_e32 v2, v33, v25
	v_mul_f32_e32 v18, v33, v27
	;; [unrolled: 1-line block ×3, first 2 shown]
	v_add_f32_e32 v16, v22, v16
	v_fmac_f32_e32 v30, v47, v24
	v_fmac_f32_e32 v31, v47, v26
	v_fma_f32 v2, v32, v24, -v2
	v_fmac_f32_e32 v19, v33, v24
	v_fma_f32 v24, v32, v26, -v18
	v_fmac_f32_e32 v25, v33, v26
	v_add_f32_e32 v22, v34, v30
	v_add_f32_e32 v21, v29, v31
	;; [unrolled: 1-line block ×6, first 2 shown]
	s_barrier
	buffer_gl0_inv
	s_cbranch_vccz .LBB522_18
.LBB522_8:                              ; =>This Inner Loop Header: Depth=1
	s_mov_b32 s9, s6
	s_mov_b32 s7, 0
	s_and_saveexec_b32 s8, s0
	s_cbranch_execnz .LBB522_16
; %bb.9:                                ;   in Loop: Header=BB522_8 Depth=1
	s_or_b32 exec_lo, exec_lo, s8
	s_and_saveexec_b32 s8, s9
	s_xor_b32 s8, exec_lo, s8
	s_cbranch_execnz .LBB522_17
.LBB522_10:                             ;   in Loop: Header=BB522_8 Depth=1
	s_or_b32 exec_lo, exec_lo, s8
	s_and_saveexec_b32 s8, s7
	s_cbranch_execz .LBB522_12
.LBB522_11:                             ;   in Loop: Header=BB522_8 Depth=1
	v_mul_lo_u32 v2, s11, v4
	v_mul_lo_u32 v26, s10, v5
	v_mad_u64_u32 v[24:25], null, s10, v4, 0
	v_add3_u32 v25, v25, v26, v2
	v_lshlrev_b64 v[24:25], 3, v[24:25]
	v_add_co_u32 v24, vcc_lo, v14, v24
	v_add_co_ci_u32_e64 v25, null, v15, v25, vcc_lo
	flat_load_dwordx2 v[24:25], v[24:25]
	s_waitcnt vmcnt(0) lgkmcnt(0)
	ds_write_b64 v10, v[24:25]
.LBB522_12:                             ;   in Loop: Header=BB522_8 Depth=1
	s_or_b32 exec_lo, exec_lo, s8
	v_add_nc_u32_e32 v2, s4, v6
	v_cmp_le_u64_e32 vcc_lo, s[16:17], v[2:3]
	s_or_b32 s7, vcc_lo, s1
	s_and_saveexec_b32 s8, s7
	s_xor_b32 s7, exec_lo, s8
; %bb.13:                               ;   in Loop: Header=BB522_8 Depth=1
	v_mov_b32_e32 v2, v3
	ds_write_b64 v11, v[2:3]
; %bb.14:                               ;   in Loop: Header=BB522_8 Depth=1
	s_andn2_saveexec_b32 s7, s7
	s_cbranch_execz .LBB522_7
; %bb.15:                               ;   in Loop: Header=BB522_8 Depth=1
	v_lshlrev_b64 v[24:25], 3, v[2:3]
	v_add_co_u32 v24, vcc_lo, v12, v24
	v_add_co_ci_u32_e64 v25, null, v13, v25, vcc_lo
	flat_load_dwordx2 v[24:25], v[24:25]
	s_waitcnt vmcnt(0) lgkmcnt(0)
	ds_write_b64 v11, v[24:25]
	s_branch .LBB522_7
.LBB522_16:                             ;   in Loop: Header=BB522_8 Depth=1
	v_add_nc_u32_e32 v2, s4, v9
	v_mov_b32_e32 v5, v3
	s_andn2_b32 s9, s6, exec_lo
	s_mov_b32 s7, exec_lo
	v_cmp_le_u64_e32 vcc_lo, s[16:17], v[2:3]
	v_mov_b32_e32 v4, v2
	s_and_b32 s12, vcc_lo, exec_lo
	s_or_b32 s9, s9, s12
	s_or_b32 exec_lo, exec_lo, s8
	s_and_saveexec_b32 s8, s9
	s_xor_b32 s8, exec_lo, s8
	s_cbranch_execz .LBB522_10
.LBB522_17:                             ;   in Loop: Header=BB522_8 Depth=1
	v_mov_b32_e32 v2, v3
	s_andn2_b32 s7, s7, exec_lo
	ds_write_b64 v10, v[2:3]
	s_or_b32 exec_lo, exec_lo, s8
	s_and_saveexec_b32 s8, s7
	s_cbranch_execnz .LBB522_11
	s_branch .LBB522_12
.LBB522_18:
	v_add_nc_u32_e32 v9, s31, v1
	s_lshl_b64 s[0:1], s[22:23], 3
	v_add_nc_u32_e32 v0, s30, v0
	v_cmp_neq_f32_e64 s6, s20, 0
	s_waitcnt lgkmcnt(0)
	s_add_u32 s4, s24, s0
	v_ashrrev_i32_e32 v3, 31, v9
	v_mul_lo_u32 v4, s3, v9
	v_mad_u64_u32 v[1:2], null, s2, v9, 0
	s_addc_u32 s5, s25, s1
	v_mul_lo_u32 v3, s2, v3
	s_xor_b32 s7, s29, -1
	v_cmp_gt_i32_e64 s0, s28, v9
	v_cmp_le_i32_e32 vcc_lo, v0, v9
	s_or_b32 s6, s6, s7
	v_cndmask_b32_e64 v8, 0, 1, s6
	s_and_b32 s7, s0, vcc_lo
	v_add3_u32 v2, v2, v3, v4
	v_lshlrev_b64 v[2:3], 3, v[1:2]
	v_ashrrev_i32_e32 v1, 31, v0
	v_add_co_u32 v6, s1, s4, v2
	v_add_co_ci_u32_e64 v7, null, s5, v3, s1
	s_and_saveexec_b32 s1, s7
	s_cbranch_execz .LBB522_22
; %bb.19:
	v_lshlrev_b64 v[4:5], 3, v[0:1]
	v_mul_f32_e32 v2, s19, v22
	v_mul_f32_e32 v3, s18, v22
	v_fma_f32 v2, v23, s18, -v2
	v_add_co_u32 v4, vcc_lo, v6, v4
	v_fmac_f32_e32 v3, s19, v23
	v_add_co_ci_u32_e64 v5, null, v7, v5, vcc_lo
	s_andn2_b32 vcc_lo, exec_lo, s6
	s_cbranch_vccnz .LBB522_21
; %bb.20:
	flat_load_dwordx2 v[10:11], v[4:5]
	s_waitcnt vmcnt(0) lgkmcnt(0)
	v_mul_f32_e32 v12, s21, v11
	v_mul_f32_e32 v11, s20, v11
	v_fma_f32 v12, v10, s20, -v12
	v_fmac_f32_e32 v11, s21, v10
	v_add_f32_e32 v2, v2, v12
	v_add_f32_e32 v3, v3, v11
.LBB522_21:
	flat_store_dwordx2 v[4:5], v[2:3]
.LBB522_22:
	s_or_b32 exec_lo, exec_lo, s1
	v_add_nc_u32_e32 v2, 16, v0
	v_cmp_le_i32_e32 vcc_lo, v2, v9
	v_ashrrev_i32_e32 v3, 31, v2
	s_and_b32 s0, s0, vcc_lo
	s_and_saveexec_b32 s1, s0
	s_cbranch_execz .LBB522_26
; %bb.23:
	v_lshlrev_b64 v[10:11], 3, v[2:3]
	v_mul_f32_e32 v4, s19, v21
	v_mul_f32_e32 v5, s18, v21
	v_cmp_ne_u32_e32 vcc_lo, 1, v8
	v_fma_f32 v4, v20, s18, -v4
	v_add_co_u32 v6, s0, v6, v10
	v_fmac_f32_e32 v5, s19, v20
	v_add_co_ci_u32_e64 v7, null, v7, v11, s0
	s_cbranch_vccnz .LBB522_25
; %bb.24:
	flat_load_dwordx2 v[10:11], v[6:7]
	s_waitcnt vmcnt(0) lgkmcnt(0)
	v_mul_f32_e32 v12, s21, v11
	v_mul_f32_e32 v11, s20, v11
	v_fma_f32 v12, v10, s20, -v12
	v_fmac_f32_e32 v11, s21, v10
	v_add_f32_e32 v4, v4, v12
	v_add_f32_e32 v5, v5, v11
.LBB522_25:
	flat_store_dwordx2 v[6:7], v[4:5]
.LBB522_26:
	s_or_b32 exec_lo, exec_lo, s1
	v_add_nc_u32_e32 v9, 16, v9
	v_ashrrev_i32_e32 v6, 31, v9
	v_mul_lo_u32 v7, s3, v9
	v_mad_u64_u32 v[4:5], null, s2, v9, 0
	v_cmp_gt_i32_e64 s0, s28, v9
	v_mul_lo_u32 v6, s2, v6
	v_cmp_le_i32_e32 vcc_lo, v0, v9
	v_add3_u32 v5, v5, v6, v7
	v_lshlrev_b64 v[4:5], 3, v[4:5]
	v_add_co_u32 v6, s1, s4, v4
	v_add_co_ci_u32_e64 v7, null, s5, v5, s1
	s_and_b32 s1, s0, vcc_lo
	s_and_saveexec_b32 s2, s1
	s_cbranch_execz .LBB522_30
; %bb.27:
	v_lshlrev_b64 v[0:1], 3, v[0:1]
	v_mul_f32_e32 v4, s19, v19
	v_mul_f32_e32 v5, s18, v19
	v_cmp_ne_u32_e32 vcc_lo, 1, v8
	v_fma_f32 v4, v18, s18, -v4
	v_add_co_u32 v0, s1, v6, v0
	v_fmac_f32_e32 v5, s19, v18
	v_add_co_ci_u32_e64 v1, null, v7, v1, s1
	s_cbranch_vccnz .LBB522_29
; %bb.28:
	flat_load_dwordx2 v[10:11], v[0:1]
	s_waitcnt vmcnt(0) lgkmcnt(0)
	v_mul_f32_e32 v12, s21, v11
	v_mul_f32_e32 v11, s20, v11
	v_fma_f32 v12, v10, s20, -v12
	v_fmac_f32_e32 v11, s21, v10
	v_add_f32_e32 v4, v4, v12
	v_add_f32_e32 v5, v5, v11
.LBB522_29:
	flat_store_dwordx2 v[0:1], v[4:5]
.LBB522_30:
	s_or_b32 exec_lo, exec_lo, s2
	v_cmp_le_i32_e32 vcc_lo, v2, v9
	s_and_b32 s0, s0, vcc_lo
	s_and_saveexec_b32 s1, s0
	s_cbranch_execz .LBB522_34
; %bb.31:
	v_lshlrev_b64 v[2:3], 3, v[2:3]
	v_mul_f32_e32 v0, s19, v17
	v_mul_f32_e32 v1, s18, v17
	v_cmp_ne_u32_e32 vcc_lo, 1, v8
	v_fma_f32 v0, v16, s18, -v0
	v_add_co_u32 v2, s0, v6, v2
	v_fmac_f32_e32 v1, s19, v16
	v_add_co_ci_u32_e64 v3, null, v7, v3, s0
	s_cbranch_vccnz .LBB522_33
; %bb.32:
	flat_load_dwordx2 v[4:5], v[2:3]
	s_waitcnt vmcnt(0) lgkmcnt(0)
	v_mul_f32_e32 v6, s21, v5
	v_mul_f32_e32 v5, s20, v5
	v_fma_f32 v6, v4, s20, -v6
	v_fmac_f32_e32 v5, s21, v4
	v_add_f32_e32 v0, v0, v6
	v_add_f32_e32 v1, v1, v5
.LBB522_33:
	flat_store_dwordx2 v[2:3], v[0:1]
.LBB522_34:
	s_endpgm
	.section	.rodata,"a",@progbits
	.p2align	6, 0x0
	.amdhsa_kernel _ZL29rocblas_internal_gemmt_kernelIlLi16ELi32ELi8ELc78ELc78ELc85ELb0ELb0E19rocblas_complex_numIfES1_PKPKS1_PKPS1_EviT_T9_T10_S9_lSB_S9_lSA_T11_S9_li
		.amdhsa_group_segment_fixed_size 4096
		.amdhsa_private_segment_fixed_size 0
		.amdhsa_kernarg_size 108
		.amdhsa_user_sgpr_count 6
		.amdhsa_user_sgpr_private_segment_buffer 1
		.amdhsa_user_sgpr_dispatch_ptr 0
		.amdhsa_user_sgpr_queue_ptr 0
		.amdhsa_user_sgpr_kernarg_segment_ptr 1
		.amdhsa_user_sgpr_dispatch_id 0
		.amdhsa_user_sgpr_flat_scratch_init 0
		.amdhsa_user_sgpr_private_segment_size 0
		.amdhsa_wavefront_size32 1
		.amdhsa_uses_dynamic_stack 0
		.amdhsa_system_sgpr_private_segment_wavefront_offset 0
		.amdhsa_system_sgpr_workgroup_id_x 1
		.amdhsa_system_sgpr_workgroup_id_y 1
		.amdhsa_system_sgpr_workgroup_id_z 1
		.amdhsa_system_sgpr_workgroup_info 0
		.amdhsa_system_vgpr_workitem_id 1
		.amdhsa_next_free_vgpr 61
		.amdhsa_next_free_sgpr 32
		.amdhsa_reserve_vcc 1
		.amdhsa_reserve_flat_scratch 0
		.amdhsa_float_round_mode_32 0
		.amdhsa_float_round_mode_16_64 0
		.amdhsa_float_denorm_mode_32 3
		.amdhsa_float_denorm_mode_16_64 3
		.amdhsa_dx10_clamp 1
		.amdhsa_ieee_mode 1
		.amdhsa_fp16_overflow 0
		.amdhsa_workgroup_processor_mode 1
		.amdhsa_memory_ordered 1
		.amdhsa_forward_progress 1
		.amdhsa_shared_vgpr_count 0
		.amdhsa_exception_fp_ieee_invalid_op 0
		.amdhsa_exception_fp_denorm_src 0
		.amdhsa_exception_fp_ieee_div_zero 0
		.amdhsa_exception_fp_ieee_overflow 0
		.amdhsa_exception_fp_ieee_underflow 0
		.amdhsa_exception_fp_ieee_inexact 0
		.amdhsa_exception_int_div_zero 0
	.end_amdhsa_kernel
	.section	.text._ZL29rocblas_internal_gemmt_kernelIlLi16ELi32ELi8ELc78ELc78ELc85ELb0ELb0E19rocblas_complex_numIfES1_PKPKS1_PKPS1_EviT_T9_T10_S9_lSB_S9_lSA_T11_S9_li,"axG",@progbits,_ZL29rocblas_internal_gemmt_kernelIlLi16ELi32ELi8ELc78ELc78ELc85ELb0ELb0E19rocblas_complex_numIfES1_PKPKS1_PKPS1_EviT_T9_T10_S9_lSB_S9_lSA_T11_S9_li,comdat
.Lfunc_end522:
	.size	_ZL29rocblas_internal_gemmt_kernelIlLi16ELi32ELi8ELc78ELc78ELc85ELb0ELb0E19rocblas_complex_numIfES1_PKPKS1_PKPS1_EviT_T9_T10_S9_lSB_S9_lSA_T11_S9_li, .Lfunc_end522-_ZL29rocblas_internal_gemmt_kernelIlLi16ELi32ELi8ELc78ELc78ELc85ELb0ELb0E19rocblas_complex_numIfES1_PKPKS1_PKPS1_EviT_T9_T10_S9_lSB_S9_lSA_T11_S9_li
                                        ; -- End function
	.set _ZL29rocblas_internal_gemmt_kernelIlLi16ELi32ELi8ELc78ELc78ELc85ELb0ELb0E19rocblas_complex_numIfES1_PKPKS1_PKPS1_EviT_T9_T10_S9_lSB_S9_lSA_T11_S9_li.num_vgpr, 61
	.set _ZL29rocblas_internal_gemmt_kernelIlLi16ELi32ELi8ELc78ELc78ELc85ELb0ELb0E19rocblas_complex_numIfES1_PKPKS1_PKPS1_EviT_T9_T10_S9_lSB_S9_lSA_T11_S9_li.num_agpr, 0
	.set _ZL29rocblas_internal_gemmt_kernelIlLi16ELi32ELi8ELc78ELc78ELc85ELb0ELb0E19rocblas_complex_numIfES1_PKPKS1_PKPS1_EviT_T9_T10_S9_lSB_S9_lSA_T11_S9_li.numbered_sgpr, 32
	.set _ZL29rocblas_internal_gemmt_kernelIlLi16ELi32ELi8ELc78ELc78ELc85ELb0ELb0E19rocblas_complex_numIfES1_PKPKS1_PKPS1_EviT_T9_T10_S9_lSB_S9_lSA_T11_S9_li.num_named_barrier, 0
	.set _ZL29rocblas_internal_gemmt_kernelIlLi16ELi32ELi8ELc78ELc78ELc85ELb0ELb0E19rocblas_complex_numIfES1_PKPKS1_PKPS1_EviT_T9_T10_S9_lSB_S9_lSA_T11_S9_li.private_seg_size, 0
	.set _ZL29rocblas_internal_gemmt_kernelIlLi16ELi32ELi8ELc78ELc78ELc85ELb0ELb0E19rocblas_complex_numIfES1_PKPKS1_PKPS1_EviT_T9_T10_S9_lSB_S9_lSA_T11_S9_li.uses_vcc, 1
	.set _ZL29rocblas_internal_gemmt_kernelIlLi16ELi32ELi8ELc78ELc78ELc85ELb0ELb0E19rocblas_complex_numIfES1_PKPKS1_PKPS1_EviT_T9_T10_S9_lSB_S9_lSA_T11_S9_li.uses_flat_scratch, 0
	.set _ZL29rocblas_internal_gemmt_kernelIlLi16ELi32ELi8ELc78ELc78ELc85ELb0ELb0E19rocblas_complex_numIfES1_PKPKS1_PKPS1_EviT_T9_T10_S9_lSB_S9_lSA_T11_S9_li.has_dyn_sized_stack, 0
	.set _ZL29rocblas_internal_gemmt_kernelIlLi16ELi32ELi8ELc78ELc78ELc85ELb0ELb0E19rocblas_complex_numIfES1_PKPKS1_PKPS1_EviT_T9_T10_S9_lSB_S9_lSA_T11_S9_li.has_recursion, 0
	.set _ZL29rocblas_internal_gemmt_kernelIlLi16ELi32ELi8ELc78ELc78ELc85ELb0ELb0E19rocblas_complex_numIfES1_PKPKS1_PKPS1_EviT_T9_T10_S9_lSB_S9_lSA_T11_S9_li.has_indirect_call, 0
	.section	.AMDGPU.csdata,"",@progbits
; Kernel info:
; codeLenInByte = 2660
; TotalNumSgprs: 34
; NumVgprs: 61
; ScratchSize: 0
; MemoryBound: 0
; FloatMode: 240
; IeeeMode: 1
; LDSByteSize: 4096 bytes/workgroup (compile time only)
; SGPRBlocks: 0
; VGPRBlocks: 7
; NumSGPRsForWavesPerEU: 34
; NumVGPRsForWavesPerEU: 61
; Occupancy: 16
; WaveLimiterHint : 1
; COMPUTE_PGM_RSRC2:SCRATCH_EN: 0
; COMPUTE_PGM_RSRC2:USER_SGPR: 6
; COMPUTE_PGM_RSRC2:TRAP_HANDLER: 0
; COMPUTE_PGM_RSRC2:TGID_X_EN: 1
; COMPUTE_PGM_RSRC2:TGID_Y_EN: 1
; COMPUTE_PGM_RSRC2:TGID_Z_EN: 1
; COMPUTE_PGM_RSRC2:TIDIG_COMP_CNT: 1
	.section	.text._ZL29rocblas_internal_gemmt_kernelIlLi16ELi32ELi8ELc78ELc84ELc85ELb0ELb0E19rocblas_complex_numIfES1_PKPKS1_PKPS1_EviT_T9_T10_S9_lSB_S9_lSA_T11_S9_li,"axG",@progbits,_ZL29rocblas_internal_gemmt_kernelIlLi16ELi32ELi8ELc78ELc84ELc85ELb0ELb0E19rocblas_complex_numIfES1_PKPKS1_PKPS1_EviT_T9_T10_S9_lSB_S9_lSA_T11_S9_li,comdat
	.globl	_ZL29rocblas_internal_gemmt_kernelIlLi16ELi32ELi8ELc78ELc84ELc85ELb0ELb0E19rocblas_complex_numIfES1_PKPKS1_PKPS1_EviT_T9_T10_S9_lSB_S9_lSA_T11_S9_li ; -- Begin function _ZL29rocblas_internal_gemmt_kernelIlLi16ELi32ELi8ELc78ELc84ELc85ELb0ELb0E19rocblas_complex_numIfES1_PKPKS1_PKPS1_EviT_T9_T10_S9_lSB_S9_lSA_T11_S9_li
	.p2align	8
	.type	_ZL29rocblas_internal_gemmt_kernelIlLi16ELi32ELi8ELc78ELc84ELc85ELb0ELb0E19rocblas_complex_numIfES1_PKPKS1_PKPS1_EviT_T9_T10_S9_lSB_S9_lSA_T11_S9_li,@function
_ZL29rocblas_internal_gemmt_kernelIlLi16ELi32ELi8ELc78ELc84ELc85ELb0ELb0E19rocblas_complex_numIfES1_PKPKS1_PKPS1_EviT_T9_T10_S9_lSB_S9_lSA_T11_S9_li: ; @_ZL29rocblas_internal_gemmt_kernelIlLi16ELi32ELi8ELc78ELc84ELc85ELb0ELb0E19rocblas_complex_numIfES1_PKPKS1_PKPS1_EviT_T9_T10_S9_lSB_S9_lSA_T11_S9_li
; %bb.0:
	s_clause 0x1
	s_load_dwordx2 s[20:21], s[4:5], 0x48
	s_load_dwordx4 s[16:19], s[4:5], 0x8
	s_waitcnt lgkmcnt(0)
	s_and_b32 s0, s21, 0x7fffffff
	v_cmp_eq_f32_e64 s1, s20, 1.0
	s_cmp_eq_u32 s0, 0
	s_mov_b32 s0, 0
	s_cselect_b32 s29, -1, 0
	s_and_b32 s1, s1, s29
	s_andn2_b32 vcc_lo, exec_lo, s1
	s_mov_b32 s1, -1
	s_cbranch_vccnz .LBB523_4
; %bb.1:
	s_cmp_lg_u64 s[16:17], 0
	s_cbranch_scc0 .LBB523_3
; %bb.2:
	v_cmp_neq_f32_e64 s0, s18, 0
	v_cmp_neq_f32_e64 s1, s19, 0
	s_or_b32 s0, s0, s1
.LBB523_3:
	s_mov_b32 s1, s0
.LBB523_4:
	s_and_b32 vcc_lo, exec_lo, s1
	s_cbranch_vccz .LBB523_34
; %bb.5:
	s_clause 0x1
	s_load_dwordx4 s[0:3], s[4:5], 0x50
	s_load_dword s28, s[4:5], 0x0
	s_mov_b32 s9, 0
	s_load_dwordx2 s[22:23], s[4:5], 0x60
	s_lshl_b64 s[26:27], s[8:9], 3
	v_cmp_eq_f32_e64 s8, s18, 0
	v_cmp_eq_f32_e64 s9, s19, 0
	v_mov_b32_e32 v23, 0
	v_mov_b32_e32 v22, 0
	;; [unrolled: 1-line block ×8, first 2 shown]
	s_waitcnt lgkmcnt(0)
	s_add_u32 s0, s0, s26
	s_addc_u32 s1, s1, s27
	s_lshl_b32 s30, s6, 5
	s_load_dwordx2 s[24:25], s[0:1], 0x0
	v_cmp_lt_i64_e64 s0, s[16:17], 1
	s_and_b32 s1, s8, s9
	s_lshl_b32 s31, s7, 5
	s_or_b32 s0, s1, s0
	s_and_b32 vcc_lo, exec_lo, s0
	s_cbranch_vccnz .LBB523_18
; %bb.6:
	s_clause 0x1
	s_load_dwordx8 s[8:15], s[4:5], 0x18
	s_load_dwordx4 s[4:7], s[4:5], 0x38
	v_lshl_add_u32 v2, v1, 4, v0
	v_and_b32_e32 v6, 7, v0
	v_lshlrev_b32_e32 v7, 3, v0
	v_lshl_add_u32 v8, v1, 6, 0x800
	v_mov_b32_e32 v3, 0
	v_lshrrev_b32_e32 v5, 3, v2
	v_and_b32_e32 v10, 31, v2
	v_lshlrev_b32_e32 v11, 3, v6
	v_lshrrev_b32_e32 v9, 5, v2
	v_mov_b32_e32 v17, 0
	v_add_nc_u32_e32 v4, s31, v5
	v_or_b32_e32 v12, s30, v10
	v_lshl_or_b32 v11, v5, 6, v11
	v_lshlrev_b32_e32 v2, 3, v10
	v_mov_b32_e32 v16, 0
	v_ashrrev_i32_e32 v5, 31, v4
	v_ashrrev_i32_e32 v13, 31, v12
	v_cmp_gt_i32_e32 vcc_lo, s28, v4
	s_waitcnt lgkmcnt(0)
	s_add_u32 s0, s14, s26
	s_addc_u32 s1, s15, s27
	s_lshl_b64 s[6:7], s[6:7], 3
	s_load_dwordx2 s[0:1], s[0:1], 0x0
	v_lshlrev_b64 v[14:15], 3, v[4:5]
	v_lshlrev_b64 v[4:5], 3, v[12:13]
	v_mov_b32_e32 v19, 0
	v_mov_b32_e32 v18, 0
	;; [unrolled: 1-line block ×5, first 2 shown]
	v_lshl_or_b32 v10, v9, 8, v2
	v_add_nc_u32_e32 v11, 0x800, v11
	v_mov_b32_e32 v23, 0
	s_waitcnt lgkmcnt(0)
	s_add_u32 s14, s0, s6
	s_addc_u32 s15, s1, s7
	s_add_u32 s0, s8, s26
	s_addc_u32 s1, s9, s27
	v_cmp_le_i32_e64 s8, s28, v12
	s_load_dwordx2 s[6:7], s[0:1], 0x0
	v_cmp_gt_i32_e64 s0, s28, v12
	s_lshl_b64 s[12:13], s[12:13], 3
	v_add_co_u32 v12, s1, s14, v14
	v_add_co_ci_u32_e64 v13, null, s15, v15, s1
	s_waitcnt lgkmcnt(0)
	s_add_u32 s1, s6, s12
	s_addc_u32 s6, s7, s13
	v_add_co_u32 v14, s1, s1, v4
	v_add_co_ci_u32_e64 v15, null, s6, v5, s1
	s_mov_b64 s[6:7], 0
	s_xor_b32 s1, vcc_lo, -1
                                        ; implicit-def: $vgpr4_vgpr5
	s_branch .LBB523_8
.LBB523_7:                              ;   in Loop: Header=BB523_8 Depth=1
	s_or_b32 exec_lo, exec_lo, s9
	s_waitcnt lgkmcnt(0)
	s_barrier
	buffer_gl0_inv
	ds_read_b128 v[24:27], v8
	ds_read2_b64 v[28:31], v7 offset1:16
	ds_read_b128 v[32:35], v8 offset:1024
	ds_read_b128 v[36:39], v8 offset:16
	;; [unrolled: 1-line block ×4, first 2 shown]
	ds_read2_b64 v[48:51], v7 offset0:32 offset1:48
	ds_read_b128 v[52:55], v8 offset:1040
	s_add_u32 s6, s6, 8
	s_addc_u32 s7, s7, 0
	v_cmp_gt_i64_e64 s9, s[16:17], s[6:7]
	s_and_b32 vcc_lo, exec_lo, s9
	s_waitcnt lgkmcnt(6)
	v_mul_f32_e32 v2, v25, v29
	v_mul_f32_e32 v56, v24, v29
	;; [unrolled: 1-line block ×4, first 2 shown]
	s_waitcnt lgkmcnt(5)
	v_mul_f32_e32 v59, v33, v29
	v_mul_f32_e32 v29, v32, v29
	;; [unrolled: 1-line block ×3, first 2 shown]
	v_fma_f32 v2, v24, v28, -v2
	v_fmac_f32_e32 v56, v25, v28
	v_fma_f32 v24, v24, v30, -v57
	v_fmac_f32_e32 v58, v25, v30
	;; [unrolled: 2-line block ×3, first 2 shown]
	v_mul_f32_e32 v31, v32, v31
	v_fma_f32 v28, v32, v30, -v60
	v_add_f32_e32 v2, v23, v2
	v_add_f32_e32 v23, v20, v24
	v_add_f32_e32 v24, v21, v58
	v_add_f32_e32 v25, v18, v25
	v_add_f32_e32 v29, v19, v29
	s_waitcnt lgkmcnt(1)
	v_mul_f32_e32 v32, v27, v49
	ds_read2_b64 v[18:21], v7 offset0:64 offset1:80
	v_fmac_f32_e32 v31, v33, v30
	v_add_f32_e32 v16, v16, v28
	v_mul_f32_e32 v28, v26, v49
	v_fma_f32 v30, v26, v48, -v32
	v_mul_f32_e32 v32, v27, v51
	v_add_f32_e32 v22, v22, v56
	v_add_f32_e32 v17, v17, v31
	v_fmac_f32_e32 v28, v27, v48
	v_mul_f32_e32 v31, v26, v51
	v_add_f32_e32 v2, v2, v30
	v_fma_f32 v26, v26, v50, -v32
	v_mul_f32_e32 v30, v35, v49
	v_add_f32_e32 v28, v22, v28
	v_fmac_f32_e32 v31, v27, v50
	v_mul_f32_e32 v22, v34, v49
	v_add_f32_e32 v26, v23, v26
	v_fma_f32 v23, v34, v48, -v30
	v_mul_f32_e32 v27, v35, v51
	v_add_f32_e32 v30, v24, v31
	v_fmac_f32_e32 v22, v35, v48
	v_mul_f32_e32 v31, v34, v51
	v_add_f32_e32 v32, v25, v23
	v_fma_f32 v23, v34, v50, -v27
	s_waitcnt lgkmcnt(0)
	v_mul_f32_e32 v24, v37, v19
	v_add_f32_e32 v27, v29, v22
	v_fmac_f32_e32 v31, v35, v50
	v_mul_f32_e32 v29, v36, v19
	v_add_f32_e32 v16, v16, v23
	v_fma_f32 v33, v36, v18, -v24
	v_mul_f32_e32 v34, v37, v21
	ds_read2_b64 v[22:25], v7 offset0:96 offset1:112
	v_fmac_f32_e32 v29, v37, v18
	v_add_f32_e32 v31, v17, v31
	v_add_f32_e32 v2, v2, v33
	v_mul_f32_e32 v17, v36, v21
	v_fma_f32 v33, v36, v20, -v34
	v_add_f32_e32 v28, v28, v29
	v_mul_f32_e32 v29, v53, v19
	v_mul_f32_e32 v19, v52, v19
	v_fmac_f32_e32 v17, v37, v20
	v_add_f32_e32 v26, v26, v33
	v_mul_f32_e32 v33, v53, v21
	v_mul_f32_e32 v21, v52, v21
	v_fmac_f32_e32 v19, v53, v18
	v_add_f32_e32 v30, v30, v17
	v_fma_f32 v29, v52, v18, -v29
	v_fma_f32 v17, v52, v20, -v33
	v_fmac_f32_e32 v21, v53, v20
	v_add_f32_e32 v33, v27, v19
	s_waitcnt lgkmcnt(0)
	v_mul_f32_e32 v20, v39, v23
	v_add_f32_e32 v34, v16, v17
	ds_read2_b64 v[16:19], v7 offset0:128 offset1:144
	v_add_f32_e32 v32, v32, v29
	v_mul_f32_e32 v27, v38, v23
	v_mul_f32_e32 v29, v39, v25
	v_fma_f32 v20, v38, v22, -v20
	v_add_f32_e32 v31, v31, v21
	v_mul_f32_e32 v21, v38, v25
	v_fmac_f32_e32 v27, v39, v22
	v_fma_f32 v29, v38, v24, -v29
	v_add_f32_e32 v2, v2, v20
	v_mul_f32_e32 v20, v55, v23
	v_fmac_f32_e32 v21, v39, v24
	v_add_f32_e32 v35, v28, v27
	v_add_f32_e32 v36, v26, v29
	v_mul_f32_e32 v23, v54, v23
	v_fma_f32 v20, v54, v22, -v20
	v_mul_f32_e32 v37, v55, v25
	ds_read_b128 v[26:29], v8 offset:1056
	v_add_f32_e32 v38, v30, v21
	v_fmac_f32_e32 v23, v55, v22
	v_mul_f32_e32 v25, v54, v25
	v_fma_f32 v21, v54, v24, -v37
	v_add_f32_e32 v37, v32, v20
	s_waitcnt lgkmcnt(1)
	v_mul_f32_e32 v20, v41, v17
	v_add_f32_e32 v39, v33, v23
	v_fmac_f32_e32 v25, v55, v24
	v_add_f32_e32 v24, v34, v21
	v_mul_f32_e32 v32, v41, v19
	v_fma_f32 v30, v40, v16, -v20
	ds_read2_b64 v[20:23], v7 offset0:160 offset1:176
	v_mul_f32_e32 v34, v40, v17
	v_add_f32_e32 v25, v31, v25
	v_fma_f32 v48, v40, v18, -v32
	v_mul_f32_e32 v40, v40, v19
	v_add_f32_e32 v2, v2, v30
	v_fmac_f32_e32 v34, v41, v16
	ds_read_b128 v[30:33], v8 offset:1072
	s_waitcnt lgkmcnt(2)
	v_mul_f32_e32 v49, v27, v17
	v_mul_f32_e32 v17, v26, v17
	v_fmac_f32_e32 v40, v41, v18
	v_mul_f32_e32 v41, v27, v19
	v_add_f32_e32 v34, v35, v34
	v_add_f32_e32 v35, v36, v48
	v_fma_f32 v36, v26, v16, -v49
	v_fmac_f32_e32 v17, v27, v16
	v_add_f32_e32 v38, v38, v40
	v_mul_f32_e32 v40, v26, v19
	v_fma_f32 v16, v26, v18, -v41
	v_add_f32_e32 v36, v37, v36
	v_add_f32_e32 v26, v39, v17
	s_waitcnt lgkmcnt(1)
	v_mul_f32_e32 v37, v43, v21
	v_fmac_f32_e32 v40, v27, v18
	v_add_f32_e32 v24, v24, v16
	ds_read2_b64 v[16:19], v7 offset0:192 offset1:208
	v_mul_f32_e32 v27, v42, v21
	v_fma_f32 v37, v42, v20, -v37
	v_mul_f32_e32 v39, v43, v23
	v_add_f32_e32 v40, v25, v40
	v_mul_f32_e32 v25, v42, v23
	v_fmac_f32_e32 v27, v43, v20
	v_add_f32_e32 v2, v2, v37
	v_fma_f32 v37, v42, v22, -v39
	v_fmac_f32_e32 v25, v43, v22
	v_add_f32_e32 v34, v34, v27
	v_mul_f32_e32 v27, v29, v21
	v_mul_f32_e32 v21, v28, v21
	v_add_f32_e32 v35, v35, v37
	v_mul_f32_e32 v37, v29, v23
	v_add_f32_e32 v38, v38, v25
	v_fma_f32 v27, v28, v20, -v27
	v_fmac_f32_e32 v21, v29, v20
	v_mul_f32_e32 v20, v28, v23
	v_fma_f32 v23, v28, v22, -v37
	s_waitcnt lgkmcnt(0)
	v_mul_f32_e32 v25, v45, v17
	v_add_f32_e32 v28, v36, v27
	v_add_f32_e32 v21, v26, v21
	v_fmac_f32_e32 v20, v29, v22
	v_add_f32_e32 v22, v24, v23
	v_fma_f32 v29, v44, v16, -v25
	ds_read2_b64 v[24:27], v7 offset0:224 offset1:240
	v_mul_f32_e32 v23, v44, v17
	v_mul_f32_e32 v37, v31, v17
	;; [unrolled: 1-line block ×4, first 2 shown]
	v_add_f32_e32 v2, v2, v29
	v_fmac_f32_e32 v23, v45, v16
	v_mul_f32_e32 v29, v44, v19
	v_fmac_f32_e32 v17, v31, v16
	v_fma_f32 v36, v44, v18, -v36
	v_add_f32_e32 v20, v40, v20
	v_add_f32_e32 v34, v34, v23
	v_fma_f32 v23, v30, v16, -v37
	v_mul_f32_e32 v16, v31, v19
	v_mul_f32_e32 v19, v30, v19
	v_fmac_f32_e32 v29, v45, v18
	v_add_f32_e32 v17, v21, v17
	v_add_f32_e32 v35, v35, v36
	v_fma_f32 v16, v30, v18, -v16
	v_fmac_f32_e32 v19, v31, v18
	s_waitcnt lgkmcnt(0)
	v_mul_f32_e32 v21, v47, v25
	v_mul_f32_e32 v18, v47, v27
	v_add_f32_e32 v28, v28, v23
	v_mul_f32_e32 v30, v46, v25
	v_mul_f32_e32 v31, v46, v27
	v_fma_f32 v21, v46, v24, -v21
	v_fma_f32 v18, v46, v26, -v18
	v_add_f32_e32 v36, v20, v19
	v_mul_f32_e32 v19, v32, v25
	v_add_f32_e32 v29, v38, v29
	v_add_f32_e32 v23, v2, v21
	;; [unrolled: 1-line block ×3, first 2 shown]
	v_mul_f32_e32 v2, v33, v25
	v_mul_f32_e32 v18, v33, v27
	v_mul_f32_e32 v25, v32, v27
	v_add_f32_e32 v16, v22, v16
	v_fmac_f32_e32 v30, v47, v24
	v_fmac_f32_e32 v31, v47, v26
	v_fma_f32 v2, v32, v24, -v2
	v_fmac_f32_e32 v19, v33, v24
	v_fma_f32 v24, v32, v26, -v18
	v_fmac_f32_e32 v25, v33, v26
	v_add_f32_e32 v22, v34, v30
	v_add_f32_e32 v21, v29, v31
	;; [unrolled: 1-line block ×6, first 2 shown]
	s_barrier
	buffer_gl0_inv
	s_cbranch_vccz .LBB523_18
.LBB523_8:                              ; =>This Inner Loop Header: Depth=1
	s_mov_b32 s13, s8
	s_mov_b32 s9, 0
	s_and_saveexec_b32 s12, s0
	s_cbranch_execnz .LBB523_16
; %bb.9:                                ;   in Loop: Header=BB523_8 Depth=1
	s_or_b32 exec_lo, exec_lo, s12
	s_and_saveexec_b32 s12, s13
	s_xor_b32 s12, exec_lo, s12
	s_cbranch_execnz .LBB523_17
.LBB523_10:                             ;   in Loop: Header=BB523_8 Depth=1
	s_or_b32 exec_lo, exec_lo, s12
	s_and_saveexec_b32 s12, s9
	s_cbranch_execz .LBB523_12
.LBB523_11:                             ;   in Loop: Header=BB523_8 Depth=1
	v_mul_lo_u32 v2, s11, v4
	v_mul_lo_u32 v26, s10, v5
	v_mad_u64_u32 v[24:25], null, s10, v4, 0
	v_add3_u32 v25, v25, v26, v2
	v_lshlrev_b64 v[24:25], 3, v[24:25]
	v_add_co_u32 v24, vcc_lo, v14, v24
	v_add_co_ci_u32_e64 v25, null, v15, v25, vcc_lo
	flat_load_dwordx2 v[24:25], v[24:25]
	s_waitcnt vmcnt(0) lgkmcnt(0)
	ds_write_b64 v10, v[24:25]
.LBB523_12:                             ;   in Loop: Header=BB523_8 Depth=1
	s_or_b32 exec_lo, exec_lo, s12
	v_add_nc_u32_e32 v2, s6, v6
	v_cmp_le_u64_e32 vcc_lo, s[16:17], v[2:3]
	s_or_b32 s9, vcc_lo, s1
	s_and_saveexec_b32 s12, s9
	s_xor_b32 s9, exec_lo, s12
; %bb.13:                               ;   in Loop: Header=BB523_8 Depth=1
	v_mov_b32_e32 v2, v3
	ds_write_b64 v11, v[2:3]
; %bb.14:                               ;   in Loop: Header=BB523_8 Depth=1
	s_andn2_saveexec_b32 s9, s9
	s_cbranch_execz .LBB523_7
; %bb.15:                               ;   in Loop: Header=BB523_8 Depth=1
	v_mad_u64_u32 v[24:25], null, s4, v2, 0
	v_mad_u64_u32 v[25:26], null, s5, v2, v[25:26]
	v_lshlrev_b64 v[24:25], 3, v[24:25]
	v_add_co_u32 v24, vcc_lo, v12, v24
	v_add_co_ci_u32_e64 v25, null, v13, v25, vcc_lo
	flat_load_dwordx2 v[24:25], v[24:25]
	s_waitcnt vmcnt(0) lgkmcnt(0)
	ds_write_b64 v11, v[24:25]
	s_branch .LBB523_7
.LBB523_16:                             ;   in Loop: Header=BB523_8 Depth=1
	v_add_nc_u32_e32 v2, s6, v9
	v_mov_b32_e32 v5, v3
	s_andn2_b32 s13, s8, exec_lo
	s_mov_b32 s9, exec_lo
	v_cmp_le_u64_e32 vcc_lo, s[16:17], v[2:3]
	v_mov_b32_e32 v4, v2
	s_and_b32 s14, vcc_lo, exec_lo
	s_or_b32 s13, s13, s14
	s_or_b32 exec_lo, exec_lo, s12
	s_and_saveexec_b32 s12, s13
	s_xor_b32 s12, exec_lo, s12
	s_cbranch_execz .LBB523_10
.LBB523_17:                             ;   in Loop: Header=BB523_8 Depth=1
	v_mov_b32_e32 v2, v3
	s_andn2_b32 s9, s9, exec_lo
	ds_write_b64 v10, v[2:3]
	s_or_b32 exec_lo, exec_lo, s12
	s_and_saveexec_b32 s12, s9
	s_cbranch_execnz .LBB523_11
	s_branch .LBB523_12
.LBB523_18:
	v_add_nc_u32_e32 v9, s31, v1
	s_lshl_b64 s[0:1], s[22:23], 3
	v_add_nc_u32_e32 v0, s30, v0
	v_cmp_neq_f32_e64 s6, s20, 0
	s_waitcnt lgkmcnt(0)
	s_add_u32 s4, s24, s0
	v_ashrrev_i32_e32 v3, 31, v9
	v_mul_lo_u32 v4, s3, v9
	v_mad_u64_u32 v[1:2], null, s2, v9, 0
	s_addc_u32 s5, s25, s1
	v_mul_lo_u32 v3, s2, v3
	s_xor_b32 s7, s29, -1
	v_cmp_gt_i32_e64 s0, s28, v9
	v_cmp_le_i32_e32 vcc_lo, v0, v9
	s_or_b32 s6, s6, s7
	v_cndmask_b32_e64 v8, 0, 1, s6
	s_and_b32 s7, s0, vcc_lo
	v_add3_u32 v2, v2, v3, v4
	v_lshlrev_b64 v[2:3], 3, v[1:2]
	v_ashrrev_i32_e32 v1, 31, v0
	v_add_co_u32 v6, s1, s4, v2
	v_add_co_ci_u32_e64 v7, null, s5, v3, s1
	s_and_saveexec_b32 s1, s7
	s_cbranch_execz .LBB523_22
; %bb.19:
	v_lshlrev_b64 v[4:5], 3, v[0:1]
	v_mul_f32_e32 v2, s19, v22
	v_mul_f32_e32 v3, s18, v22
	v_fma_f32 v2, v23, s18, -v2
	v_add_co_u32 v4, vcc_lo, v6, v4
	v_fmac_f32_e32 v3, s19, v23
	v_add_co_ci_u32_e64 v5, null, v7, v5, vcc_lo
	s_andn2_b32 vcc_lo, exec_lo, s6
	s_cbranch_vccnz .LBB523_21
; %bb.20:
	flat_load_dwordx2 v[10:11], v[4:5]
	s_waitcnt vmcnt(0) lgkmcnt(0)
	v_mul_f32_e32 v12, s21, v11
	v_mul_f32_e32 v11, s20, v11
	v_fma_f32 v12, v10, s20, -v12
	v_fmac_f32_e32 v11, s21, v10
	v_add_f32_e32 v2, v2, v12
	v_add_f32_e32 v3, v3, v11
.LBB523_21:
	flat_store_dwordx2 v[4:5], v[2:3]
.LBB523_22:
	s_or_b32 exec_lo, exec_lo, s1
	v_add_nc_u32_e32 v2, 16, v0
	v_cmp_le_i32_e32 vcc_lo, v2, v9
	v_ashrrev_i32_e32 v3, 31, v2
	s_and_b32 s0, s0, vcc_lo
	s_and_saveexec_b32 s1, s0
	s_cbranch_execz .LBB523_26
; %bb.23:
	v_lshlrev_b64 v[10:11], 3, v[2:3]
	v_mul_f32_e32 v4, s19, v21
	v_mul_f32_e32 v5, s18, v21
	v_cmp_ne_u32_e32 vcc_lo, 1, v8
	v_fma_f32 v4, v20, s18, -v4
	v_add_co_u32 v6, s0, v6, v10
	v_fmac_f32_e32 v5, s19, v20
	v_add_co_ci_u32_e64 v7, null, v7, v11, s0
	s_cbranch_vccnz .LBB523_25
; %bb.24:
	flat_load_dwordx2 v[10:11], v[6:7]
	s_waitcnt vmcnt(0) lgkmcnt(0)
	v_mul_f32_e32 v12, s21, v11
	v_mul_f32_e32 v11, s20, v11
	v_fma_f32 v12, v10, s20, -v12
	v_fmac_f32_e32 v11, s21, v10
	v_add_f32_e32 v4, v4, v12
	v_add_f32_e32 v5, v5, v11
.LBB523_25:
	flat_store_dwordx2 v[6:7], v[4:5]
.LBB523_26:
	s_or_b32 exec_lo, exec_lo, s1
	v_add_nc_u32_e32 v9, 16, v9
	v_ashrrev_i32_e32 v6, 31, v9
	v_mul_lo_u32 v7, s3, v9
	v_mad_u64_u32 v[4:5], null, s2, v9, 0
	v_cmp_gt_i32_e64 s0, s28, v9
	v_mul_lo_u32 v6, s2, v6
	v_cmp_le_i32_e32 vcc_lo, v0, v9
	v_add3_u32 v5, v5, v6, v7
	v_lshlrev_b64 v[4:5], 3, v[4:5]
	v_add_co_u32 v6, s1, s4, v4
	v_add_co_ci_u32_e64 v7, null, s5, v5, s1
	s_and_b32 s1, s0, vcc_lo
	s_and_saveexec_b32 s2, s1
	s_cbranch_execz .LBB523_30
; %bb.27:
	v_lshlrev_b64 v[0:1], 3, v[0:1]
	v_mul_f32_e32 v4, s19, v19
	v_mul_f32_e32 v5, s18, v19
	v_cmp_ne_u32_e32 vcc_lo, 1, v8
	v_fma_f32 v4, v18, s18, -v4
	v_add_co_u32 v0, s1, v6, v0
	v_fmac_f32_e32 v5, s19, v18
	v_add_co_ci_u32_e64 v1, null, v7, v1, s1
	s_cbranch_vccnz .LBB523_29
; %bb.28:
	flat_load_dwordx2 v[10:11], v[0:1]
	s_waitcnt vmcnt(0) lgkmcnt(0)
	v_mul_f32_e32 v12, s21, v11
	v_mul_f32_e32 v11, s20, v11
	v_fma_f32 v12, v10, s20, -v12
	v_fmac_f32_e32 v11, s21, v10
	v_add_f32_e32 v4, v4, v12
	v_add_f32_e32 v5, v5, v11
.LBB523_29:
	flat_store_dwordx2 v[0:1], v[4:5]
.LBB523_30:
	s_or_b32 exec_lo, exec_lo, s2
	v_cmp_le_i32_e32 vcc_lo, v2, v9
	s_and_b32 s0, s0, vcc_lo
	s_and_saveexec_b32 s1, s0
	s_cbranch_execz .LBB523_34
; %bb.31:
	v_lshlrev_b64 v[2:3], 3, v[2:3]
	v_mul_f32_e32 v0, s19, v17
	v_mul_f32_e32 v1, s18, v17
	v_cmp_ne_u32_e32 vcc_lo, 1, v8
	v_fma_f32 v0, v16, s18, -v0
	v_add_co_u32 v2, s0, v6, v2
	v_fmac_f32_e32 v1, s19, v16
	v_add_co_ci_u32_e64 v3, null, v7, v3, s0
	s_cbranch_vccnz .LBB523_33
; %bb.32:
	flat_load_dwordx2 v[4:5], v[2:3]
	s_waitcnt vmcnt(0) lgkmcnt(0)
	v_mul_f32_e32 v6, s21, v5
	v_mul_f32_e32 v5, s20, v5
	v_fma_f32 v6, v4, s20, -v6
	v_fmac_f32_e32 v5, s21, v4
	v_add_f32_e32 v0, v0, v6
	v_add_f32_e32 v1, v1, v5
.LBB523_33:
	flat_store_dwordx2 v[2:3], v[0:1]
.LBB523_34:
	s_endpgm
	.section	.rodata,"a",@progbits
	.p2align	6, 0x0
	.amdhsa_kernel _ZL29rocblas_internal_gemmt_kernelIlLi16ELi32ELi8ELc78ELc84ELc85ELb0ELb0E19rocblas_complex_numIfES1_PKPKS1_PKPS1_EviT_T9_T10_S9_lSB_S9_lSA_T11_S9_li
		.amdhsa_group_segment_fixed_size 4096
		.amdhsa_private_segment_fixed_size 0
		.amdhsa_kernarg_size 108
		.amdhsa_user_sgpr_count 6
		.amdhsa_user_sgpr_private_segment_buffer 1
		.amdhsa_user_sgpr_dispatch_ptr 0
		.amdhsa_user_sgpr_queue_ptr 0
		.amdhsa_user_sgpr_kernarg_segment_ptr 1
		.amdhsa_user_sgpr_dispatch_id 0
		.amdhsa_user_sgpr_flat_scratch_init 0
		.amdhsa_user_sgpr_private_segment_size 0
		.amdhsa_wavefront_size32 1
		.amdhsa_uses_dynamic_stack 0
		.amdhsa_system_sgpr_private_segment_wavefront_offset 0
		.amdhsa_system_sgpr_workgroup_id_x 1
		.amdhsa_system_sgpr_workgroup_id_y 1
		.amdhsa_system_sgpr_workgroup_id_z 1
		.amdhsa_system_sgpr_workgroup_info 0
		.amdhsa_system_vgpr_workitem_id 1
		.amdhsa_next_free_vgpr 61
		.amdhsa_next_free_sgpr 32
		.amdhsa_reserve_vcc 1
		.amdhsa_reserve_flat_scratch 0
		.amdhsa_float_round_mode_32 0
		.amdhsa_float_round_mode_16_64 0
		.amdhsa_float_denorm_mode_32 3
		.amdhsa_float_denorm_mode_16_64 3
		.amdhsa_dx10_clamp 1
		.amdhsa_ieee_mode 1
		.amdhsa_fp16_overflow 0
		.amdhsa_workgroup_processor_mode 1
		.amdhsa_memory_ordered 1
		.amdhsa_forward_progress 1
		.amdhsa_shared_vgpr_count 0
		.amdhsa_exception_fp_ieee_invalid_op 0
		.amdhsa_exception_fp_denorm_src 0
		.amdhsa_exception_fp_ieee_div_zero 0
		.amdhsa_exception_fp_ieee_overflow 0
		.amdhsa_exception_fp_ieee_underflow 0
		.amdhsa_exception_fp_ieee_inexact 0
		.amdhsa_exception_int_div_zero 0
	.end_amdhsa_kernel
	.section	.text._ZL29rocblas_internal_gemmt_kernelIlLi16ELi32ELi8ELc78ELc84ELc85ELb0ELb0E19rocblas_complex_numIfES1_PKPKS1_PKPS1_EviT_T9_T10_S9_lSB_S9_lSA_T11_S9_li,"axG",@progbits,_ZL29rocblas_internal_gemmt_kernelIlLi16ELi32ELi8ELc78ELc84ELc85ELb0ELb0E19rocblas_complex_numIfES1_PKPKS1_PKPS1_EviT_T9_T10_S9_lSB_S9_lSA_T11_S9_li,comdat
.Lfunc_end523:
	.size	_ZL29rocblas_internal_gemmt_kernelIlLi16ELi32ELi8ELc78ELc84ELc85ELb0ELb0E19rocblas_complex_numIfES1_PKPKS1_PKPS1_EviT_T9_T10_S9_lSB_S9_lSA_T11_S9_li, .Lfunc_end523-_ZL29rocblas_internal_gemmt_kernelIlLi16ELi32ELi8ELc78ELc84ELc85ELb0ELb0E19rocblas_complex_numIfES1_PKPKS1_PKPS1_EviT_T9_T10_S9_lSB_S9_lSA_T11_S9_li
                                        ; -- End function
	.set _ZL29rocblas_internal_gemmt_kernelIlLi16ELi32ELi8ELc78ELc84ELc85ELb0ELb0E19rocblas_complex_numIfES1_PKPKS1_PKPS1_EviT_T9_T10_S9_lSB_S9_lSA_T11_S9_li.num_vgpr, 61
	.set _ZL29rocblas_internal_gemmt_kernelIlLi16ELi32ELi8ELc78ELc84ELc85ELb0ELb0E19rocblas_complex_numIfES1_PKPKS1_PKPS1_EviT_T9_T10_S9_lSB_S9_lSA_T11_S9_li.num_agpr, 0
	.set _ZL29rocblas_internal_gemmt_kernelIlLi16ELi32ELi8ELc78ELc84ELc85ELb0ELb0E19rocblas_complex_numIfES1_PKPKS1_PKPS1_EviT_T9_T10_S9_lSB_S9_lSA_T11_S9_li.numbered_sgpr, 32
	.set _ZL29rocblas_internal_gemmt_kernelIlLi16ELi32ELi8ELc78ELc84ELc85ELb0ELb0E19rocblas_complex_numIfES1_PKPKS1_PKPS1_EviT_T9_T10_S9_lSB_S9_lSA_T11_S9_li.num_named_barrier, 0
	.set _ZL29rocblas_internal_gemmt_kernelIlLi16ELi32ELi8ELc78ELc84ELc85ELb0ELb0E19rocblas_complex_numIfES1_PKPKS1_PKPS1_EviT_T9_T10_S9_lSB_S9_lSA_T11_S9_li.private_seg_size, 0
	.set _ZL29rocblas_internal_gemmt_kernelIlLi16ELi32ELi8ELc78ELc84ELc85ELb0ELb0E19rocblas_complex_numIfES1_PKPKS1_PKPS1_EviT_T9_T10_S9_lSB_S9_lSA_T11_S9_li.uses_vcc, 1
	.set _ZL29rocblas_internal_gemmt_kernelIlLi16ELi32ELi8ELc78ELc84ELc85ELb0ELb0E19rocblas_complex_numIfES1_PKPKS1_PKPS1_EviT_T9_T10_S9_lSB_S9_lSA_T11_S9_li.uses_flat_scratch, 0
	.set _ZL29rocblas_internal_gemmt_kernelIlLi16ELi32ELi8ELc78ELc84ELc85ELb0ELb0E19rocblas_complex_numIfES1_PKPKS1_PKPS1_EviT_T9_T10_S9_lSB_S9_lSA_T11_S9_li.has_dyn_sized_stack, 0
	.set _ZL29rocblas_internal_gemmt_kernelIlLi16ELi32ELi8ELc78ELc84ELc85ELb0ELb0E19rocblas_complex_numIfES1_PKPKS1_PKPS1_EviT_T9_T10_S9_lSB_S9_lSA_T11_S9_li.has_recursion, 0
	.set _ZL29rocblas_internal_gemmt_kernelIlLi16ELi32ELi8ELc78ELc84ELc85ELb0ELb0E19rocblas_complex_numIfES1_PKPKS1_PKPS1_EviT_T9_T10_S9_lSB_S9_lSA_T11_S9_li.has_indirect_call, 0
	.section	.AMDGPU.csdata,"",@progbits
; Kernel info:
; codeLenInByte = 2644
; TotalNumSgprs: 34
; NumVgprs: 61
; ScratchSize: 0
; MemoryBound: 0
; FloatMode: 240
; IeeeMode: 1
; LDSByteSize: 4096 bytes/workgroup (compile time only)
; SGPRBlocks: 0
; VGPRBlocks: 7
; NumSGPRsForWavesPerEU: 34
; NumVGPRsForWavesPerEU: 61
; Occupancy: 16
; WaveLimiterHint : 1
; COMPUTE_PGM_RSRC2:SCRATCH_EN: 0
; COMPUTE_PGM_RSRC2:USER_SGPR: 6
; COMPUTE_PGM_RSRC2:TRAP_HANDLER: 0
; COMPUTE_PGM_RSRC2:TGID_X_EN: 1
; COMPUTE_PGM_RSRC2:TGID_Y_EN: 1
; COMPUTE_PGM_RSRC2:TGID_Z_EN: 1
; COMPUTE_PGM_RSRC2:TIDIG_COMP_CNT: 1
	.section	.text._ZL29rocblas_internal_gemmt_kernelIlLi16ELi32ELi8ELc78ELc67ELc85ELb0ELb1E19rocblas_complex_numIfES1_PKPKS1_PKPS1_EviT_T9_T10_S9_lSB_S9_lSA_T11_S9_li,"axG",@progbits,_ZL29rocblas_internal_gemmt_kernelIlLi16ELi32ELi8ELc78ELc67ELc85ELb0ELb1E19rocblas_complex_numIfES1_PKPKS1_PKPS1_EviT_T9_T10_S9_lSB_S9_lSA_T11_S9_li,comdat
	.globl	_ZL29rocblas_internal_gemmt_kernelIlLi16ELi32ELi8ELc78ELc67ELc85ELb0ELb1E19rocblas_complex_numIfES1_PKPKS1_PKPS1_EviT_T9_T10_S9_lSB_S9_lSA_T11_S9_li ; -- Begin function _ZL29rocblas_internal_gemmt_kernelIlLi16ELi32ELi8ELc78ELc67ELc85ELb0ELb1E19rocblas_complex_numIfES1_PKPKS1_PKPS1_EviT_T9_T10_S9_lSB_S9_lSA_T11_S9_li
	.p2align	8
	.type	_ZL29rocblas_internal_gemmt_kernelIlLi16ELi32ELi8ELc78ELc67ELc85ELb0ELb1E19rocblas_complex_numIfES1_PKPKS1_PKPS1_EviT_T9_T10_S9_lSB_S9_lSA_T11_S9_li,@function
_ZL29rocblas_internal_gemmt_kernelIlLi16ELi32ELi8ELc78ELc67ELc85ELb0ELb1E19rocblas_complex_numIfES1_PKPKS1_PKPS1_EviT_T9_T10_S9_lSB_S9_lSA_T11_S9_li: ; @_ZL29rocblas_internal_gemmt_kernelIlLi16ELi32ELi8ELc78ELc67ELc85ELb0ELb1E19rocblas_complex_numIfES1_PKPKS1_PKPS1_EviT_T9_T10_S9_lSB_S9_lSA_T11_S9_li
; %bb.0:
	s_clause 0x1
	s_load_dwordx2 s[20:21], s[4:5], 0x48
	s_load_dwordx4 s[16:19], s[4:5], 0x8
	s_waitcnt lgkmcnt(0)
	s_and_b32 s0, s21, 0x7fffffff
	v_cmp_eq_f32_e64 s1, s20, 1.0
	s_cmp_eq_u32 s0, 0
	s_mov_b32 s0, 0
	s_cselect_b32 s29, -1, 0
	s_and_b32 s1, s1, s29
	s_andn2_b32 vcc_lo, exec_lo, s1
	s_mov_b32 s1, -1
	s_cbranch_vccnz .LBB524_4
; %bb.1:
	s_cmp_lg_u64 s[16:17], 0
	s_cbranch_scc0 .LBB524_3
; %bb.2:
	v_cmp_neq_f32_e64 s0, s18, 0
	v_cmp_neq_f32_e64 s1, s19, 0
	s_or_b32 s0, s0, s1
.LBB524_3:
	s_mov_b32 s1, s0
.LBB524_4:
	s_and_b32 vcc_lo, exec_lo, s1
	s_cbranch_vccz .LBB524_34
; %bb.5:
	s_clause 0x1
	s_load_dwordx4 s[0:3], s[4:5], 0x50
	s_load_dword s28, s[4:5], 0x0
	s_mov_b32 s9, 0
	s_load_dwordx2 s[22:23], s[4:5], 0x60
	s_lshl_b64 s[26:27], s[8:9], 3
	v_cmp_eq_f32_e64 s8, s18, 0
	v_cmp_eq_f32_e64 s9, s19, 0
	v_mov_b32_e32 v23, 0
	v_mov_b32_e32 v22, 0
	;; [unrolled: 1-line block ×8, first 2 shown]
	s_waitcnt lgkmcnt(0)
	s_add_u32 s0, s0, s26
	s_addc_u32 s1, s1, s27
	s_lshl_b32 s30, s6, 5
	s_load_dwordx2 s[24:25], s[0:1], 0x0
	v_cmp_lt_i64_e64 s0, s[16:17], 1
	s_and_b32 s1, s8, s9
	s_lshl_b32 s31, s7, 5
	s_or_b32 s0, s1, s0
	s_and_b32 vcc_lo, exec_lo, s0
	s_cbranch_vccnz .LBB524_18
; %bb.6:
	s_clause 0x1
	s_load_dwordx8 s[8:15], s[4:5], 0x18
	s_load_dwordx4 s[4:7], s[4:5], 0x38
	v_lshl_add_u32 v2, v1, 4, v0
	v_and_b32_e32 v6, 7, v0
	v_lshlrev_b32_e32 v7, 3, v0
	v_lshl_add_u32 v8, v1, 6, 0x800
	v_mov_b32_e32 v3, 0
	v_lshrrev_b32_e32 v5, 3, v2
	v_and_b32_e32 v10, 31, v2
	v_lshlrev_b32_e32 v11, 3, v6
	v_lshrrev_b32_e32 v9, 5, v2
	v_mov_b32_e32 v17, 0
	v_add_nc_u32_e32 v4, s31, v5
	v_or_b32_e32 v12, s30, v10
	v_lshl_or_b32 v11, v5, 6, v11
	v_lshlrev_b32_e32 v2, 3, v10
	v_mov_b32_e32 v16, 0
	v_ashrrev_i32_e32 v5, 31, v4
	v_ashrrev_i32_e32 v13, 31, v12
	v_cmp_gt_i32_e32 vcc_lo, s28, v4
	s_waitcnt lgkmcnt(0)
	s_add_u32 s0, s14, s26
	s_addc_u32 s1, s15, s27
	s_lshl_b64 s[6:7], s[6:7], 3
	s_load_dwordx2 s[0:1], s[0:1], 0x0
	v_lshlrev_b64 v[14:15], 3, v[4:5]
	v_lshlrev_b64 v[4:5], 3, v[12:13]
	v_mov_b32_e32 v19, 0
	v_mov_b32_e32 v18, 0
	;; [unrolled: 1-line block ×5, first 2 shown]
	v_lshl_or_b32 v10, v9, 8, v2
	v_add_nc_u32_e32 v11, 0x800, v11
	v_mov_b32_e32 v23, 0
	s_waitcnt lgkmcnt(0)
	s_add_u32 s14, s0, s6
	s_addc_u32 s15, s1, s7
	s_add_u32 s0, s8, s26
	s_addc_u32 s1, s9, s27
	v_cmp_le_i32_e64 s8, s28, v12
	s_load_dwordx2 s[6:7], s[0:1], 0x0
	v_cmp_gt_i32_e64 s0, s28, v12
	s_lshl_b64 s[12:13], s[12:13], 3
	v_add_co_u32 v12, s1, s14, v14
	v_add_co_ci_u32_e64 v13, null, s15, v15, s1
	s_waitcnt lgkmcnt(0)
	s_add_u32 s1, s6, s12
	s_addc_u32 s6, s7, s13
	v_add_co_u32 v14, s1, s1, v4
	v_add_co_ci_u32_e64 v15, null, s6, v5, s1
	s_mov_b64 s[6:7], 0
	s_xor_b32 s1, vcc_lo, -1
                                        ; implicit-def: $vgpr4_vgpr5
	s_branch .LBB524_8
.LBB524_7:                              ;   in Loop: Header=BB524_8 Depth=1
	s_or_b32 exec_lo, exec_lo, s9
	ds_write_b32 v11, v24 offset:4
	s_waitcnt lgkmcnt(0)
	s_barrier
	buffer_gl0_inv
	ds_read_b128 v[24:27], v8
	ds_read2_b64 v[28:31], v7 offset1:16
	ds_read_b128 v[32:35], v8 offset:1024
	ds_read_b128 v[36:39], v8 offset:16
	;; [unrolled: 1-line block ×4, first 2 shown]
	ds_read2_b64 v[48:51], v7 offset0:32 offset1:48
	ds_read_b128 v[52:55], v8 offset:1040
	s_add_u32 s6, s6, 8
	s_addc_u32 s7, s7, 0
	v_cmp_gt_i64_e64 s9, s[16:17], s[6:7]
	s_and_b32 vcc_lo, exec_lo, s9
	s_waitcnt lgkmcnt(6)
	v_mul_f32_e32 v2, v25, v29
	v_mul_f32_e32 v56, v24, v29
	;; [unrolled: 1-line block ×4, first 2 shown]
	s_waitcnt lgkmcnt(5)
	v_mul_f32_e32 v59, v33, v29
	v_mul_f32_e32 v29, v32, v29
	;; [unrolled: 1-line block ×3, first 2 shown]
	v_fma_f32 v2, v24, v28, -v2
	v_fmac_f32_e32 v56, v25, v28
	v_fma_f32 v24, v24, v30, -v57
	v_fmac_f32_e32 v58, v25, v30
	;; [unrolled: 2-line block ×3, first 2 shown]
	v_mul_f32_e32 v31, v32, v31
	v_fma_f32 v28, v32, v30, -v60
	v_add_f32_e32 v2, v23, v2
	v_add_f32_e32 v23, v20, v24
	;; [unrolled: 1-line block ×5, first 2 shown]
	s_waitcnt lgkmcnt(1)
	v_mul_f32_e32 v32, v27, v49
	ds_read2_b64 v[18:21], v7 offset0:64 offset1:80
	v_fmac_f32_e32 v31, v33, v30
	v_add_f32_e32 v16, v16, v28
	v_mul_f32_e32 v28, v26, v49
	v_fma_f32 v30, v26, v48, -v32
	v_mul_f32_e32 v32, v27, v51
	v_add_f32_e32 v22, v22, v56
	v_add_f32_e32 v17, v17, v31
	v_fmac_f32_e32 v28, v27, v48
	v_mul_f32_e32 v31, v26, v51
	v_add_f32_e32 v2, v2, v30
	v_fma_f32 v26, v26, v50, -v32
	v_mul_f32_e32 v30, v35, v49
	v_add_f32_e32 v28, v22, v28
	v_fmac_f32_e32 v31, v27, v50
	v_mul_f32_e32 v22, v34, v49
	v_add_f32_e32 v26, v23, v26
	v_fma_f32 v23, v34, v48, -v30
	v_mul_f32_e32 v27, v35, v51
	v_add_f32_e32 v30, v24, v31
	v_fmac_f32_e32 v22, v35, v48
	v_mul_f32_e32 v31, v34, v51
	v_add_f32_e32 v32, v25, v23
	v_fma_f32 v23, v34, v50, -v27
	s_waitcnt lgkmcnt(0)
	v_mul_f32_e32 v24, v37, v19
	v_add_f32_e32 v27, v29, v22
	v_fmac_f32_e32 v31, v35, v50
	v_mul_f32_e32 v29, v36, v19
	v_add_f32_e32 v16, v16, v23
	v_fma_f32 v33, v36, v18, -v24
	v_mul_f32_e32 v34, v37, v21
	ds_read2_b64 v[22:25], v7 offset0:96 offset1:112
	v_fmac_f32_e32 v29, v37, v18
	v_add_f32_e32 v31, v17, v31
	v_add_f32_e32 v2, v2, v33
	v_mul_f32_e32 v17, v36, v21
	v_fma_f32 v33, v36, v20, -v34
	v_add_f32_e32 v28, v28, v29
	v_mul_f32_e32 v29, v53, v19
	v_mul_f32_e32 v19, v52, v19
	v_fmac_f32_e32 v17, v37, v20
	v_add_f32_e32 v26, v26, v33
	v_mul_f32_e32 v33, v53, v21
	v_mul_f32_e32 v21, v52, v21
	v_fmac_f32_e32 v19, v53, v18
	v_add_f32_e32 v30, v30, v17
	v_fma_f32 v29, v52, v18, -v29
	v_fma_f32 v17, v52, v20, -v33
	v_fmac_f32_e32 v21, v53, v20
	v_add_f32_e32 v33, v27, v19
	s_waitcnt lgkmcnt(0)
	v_mul_f32_e32 v20, v39, v23
	v_add_f32_e32 v34, v16, v17
	ds_read2_b64 v[16:19], v7 offset0:128 offset1:144
	v_add_f32_e32 v32, v32, v29
	v_mul_f32_e32 v27, v38, v23
	v_mul_f32_e32 v29, v39, v25
	v_fma_f32 v20, v38, v22, -v20
	v_add_f32_e32 v31, v31, v21
	v_mul_f32_e32 v21, v38, v25
	v_fmac_f32_e32 v27, v39, v22
	v_fma_f32 v29, v38, v24, -v29
	v_add_f32_e32 v2, v2, v20
	v_mul_f32_e32 v20, v55, v23
	v_fmac_f32_e32 v21, v39, v24
	v_add_f32_e32 v35, v28, v27
	v_add_f32_e32 v36, v26, v29
	v_mul_f32_e32 v23, v54, v23
	v_fma_f32 v20, v54, v22, -v20
	v_mul_f32_e32 v37, v55, v25
	ds_read_b128 v[26:29], v8 offset:1056
	v_add_f32_e32 v38, v30, v21
	v_fmac_f32_e32 v23, v55, v22
	v_mul_f32_e32 v25, v54, v25
	v_fma_f32 v21, v54, v24, -v37
	v_add_f32_e32 v37, v32, v20
	s_waitcnt lgkmcnt(1)
	v_mul_f32_e32 v20, v41, v17
	v_add_f32_e32 v39, v33, v23
	v_fmac_f32_e32 v25, v55, v24
	v_add_f32_e32 v24, v34, v21
	v_mul_f32_e32 v32, v41, v19
	v_fma_f32 v30, v40, v16, -v20
	ds_read2_b64 v[20:23], v7 offset0:160 offset1:176
	v_mul_f32_e32 v34, v40, v17
	v_add_f32_e32 v25, v31, v25
	v_fma_f32 v48, v40, v18, -v32
	v_mul_f32_e32 v40, v40, v19
	v_add_f32_e32 v2, v2, v30
	v_fmac_f32_e32 v34, v41, v16
	ds_read_b128 v[30:33], v8 offset:1072
	s_waitcnt lgkmcnt(2)
	v_mul_f32_e32 v49, v27, v17
	v_mul_f32_e32 v17, v26, v17
	v_fmac_f32_e32 v40, v41, v18
	v_mul_f32_e32 v41, v27, v19
	v_add_f32_e32 v34, v35, v34
	v_add_f32_e32 v35, v36, v48
	v_fma_f32 v36, v26, v16, -v49
	v_fmac_f32_e32 v17, v27, v16
	v_add_f32_e32 v38, v38, v40
	v_mul_f32_e32 v40, v26, v19
	v_fma_f32 v16, v26, v18, -v41
	v_add_f32_e32 v36, v37, v36
	v_add_f32_e32 v26, v39, v17
	s_waitcnt lgkmcnt(1)
	v_mul_f32_e32 v37, v43, v21
	v_fmac_f32_e32 v40, v27, v18
	v_add_f32_e32 v24, v24, v16
	ds_read2_b64 v[16:19], v7 offset0:192 offset1:208
	v_mul_f32_e32 v27, v42, v21
	v_fma_f32 v37, v42, v20, -v37
	v_mul_f32_e32 v39, v43, v23
	v_add_f32_e32 v40, v25, v40
	v_mul_f32_e32 v25, v42, v23
	v_fmac_f32_e32 v27, v43, v20
	v_add_f32_e32 v2, v2, v37
	v_fma_f32 v37, v42, v22, -v39
	v_fmac_f32_e32 v25, v43, v22
	v_add_f32_e32 v34, v34, v27
	v_mul_f32_e32 v27, v29, v21
	v_mul_f32_e32 v21, v28, v21
	v_add_f32_e32 v35, v35, v37
	v_mul_f32_e32 v37, v29, v23
	v_add_f32_e32 v38, v38, v25
	v_fma_f32 v27, v28, v20, -v27
	v_fmac_f32_e32 v21, v29, v20
	v_mul_f32_e32 v20, v28, v23
	v_fma_f32 v23, v28, v22, -v37
	s_waitcnt lgkmcnt(0)
	v_mul_f32_e32 v25, v45, v17
	v_add_f32_e32 v28, v36, v27
	v_add_f32_e32 v21, v26, v21
	v_fmac_f32_e32 v20, v29, v22
	v_add_f32_e32 v22, v24, v23
	v_fma_f32 v29, v44, v16, -v25
	ds_read2_b64 v[24:27], v7 offset0:224 offset1:240
	v_mul_f32_e32 v23, v44, v17
	v_mul_f32_e32 v37, v31, v17
	;; [unrolled: 1-line block ×4, first 2 shown]
	v_add_f32_e32 v2, v2, v29
	v_fmac_f32_e32 v23, v45, v16
	v_mul_f32_e32 v29, v44, v19
	v_fmac_f32_e32 v17, v31, v16
	v_fma_f32 v36, v44, v18, -v36
	v_add_f32_e32 v20, v40, v20
	v_add_f32_e32 v34, v34, v23
	v_fma_f32 v23, v30, v16, -v37
	v_mul_f32_e32 v16, v31, v19
	v_mul_f32_e32 v19, v30, v19
	v_fmac_f32_e32 v29, v45, v18
	v_add_f32_e32 v17, v21, v17
	v_add_f32_e32 v35, v35, v36
	v_fma_f32 v16, v30, v18, -v16
	v_fmac_f32_e32 v19, v31, v18
	s_waitcnt lgkmcnt(0)
	v_mul_f32_e32 v21, v47, v25
	v_mul_f32_e32 v18, v47, v27
	v_add_f32_e32 v28, v28, v23
	v_mul_f32_e32 v30, v46, v25
	v_mul_f32_e32 v31, v46, v27
	v_fma_f32 v21, v46, v24, -v21
	v_fma_f32 v18, v46, v26, -v18
	v_add_f32_e32 v36, v20, v19
	v_mul_f32_e32 v19, v32, v25
	v_add_f32_e32 v29, v38, v29
	v_add_f32_e32 v23, v2, v21
	;; [unrolled: 1-line block ×3, first 2 shown]
	v_mul_f32_e32 v2, v33, v25
	v_mul_f32_e32 v18, v33, v27
	;; [unrolled: 1-line block ×3, first 2 shown]
	v_add_f32_e32 v16, v22, v16
	v_fmac_f32_e32 v30, v47, v24
	v_fmac_f32_e32 v31, v47, v26
	v_fma_f32 v2, v32, v24, -v2
	v_fmac_f32_e32 v19, v33, v24
	v_fma_f32 v24, v32, v26, -v18
	v_fmac_f32_e32 v25, v33, v26
	v_add_f32_e32 v22, v34, v30
	v_add_f32_e32 v21, v29, v31
	;; [unrolled: 1-line block ×6, first 2 shown]
	s_barrier
	buffer_gl0_inv
	s_cbranch_vccz .LBB524_18
.LBB524_8:                              ; =>This Inner Loop Header: Depth=1
	s_mov_b32 s13, s8
	s_mov_b32 s9, 0
	s_and_saveexec_b32 s12, s0
	s_cbranch_execnz .LBB524_16
; %bb.9:                                ;   in Loop: Header=BB524_8 Depth=1
	s_or_b32 exec_lo, exec_lo, s12
	s_and_saveexec_b32 s12, s13
	s_xor_b32 s12, exec_lo, s12
	s_cbranch_execnz .LBB524_17
.LBB524_10:                             ;   in Loop: Header=BB524_8 Depth=1
	s_or_b32 exec_lo, exec_lo, s12
	s_and_saveexec_b32 s12, s9
	s_cbranch_execz .LBB524_12
.LBB524_11:                             ;   in Loop: Header=BB524_8 Depth=1
	v_mul_lo_u32 v2, s11, v4
	v_mul_lo_u32 v26, s10, v5
	v_mad_u64_u32 v[24:25], null, s10, v4, 0
	v_add3_u32 v25, v25, v26, v2
	v_lshlrev_b64 v[24:25], 3, v[24:25]
	v_add_co_u32 v24, vcc_lo, v14, v24
	v_add_co_ci_u32_e64 v25, null, v15, v25, vcc_lo
	flat_load_dwordx2 v[24:25], v[24:25]
	s_waitcnt vmcnt(0) lgkmcnt(0)
	ds_write_b64 v10, v[24:25]
.LBB524_12:                             ;   in Loop: Header=BB524_8 Depth=1
	s_or_b32 exec_lo, exec_lo, s12
	v_add_nc_u32_e32 v2, s6, v6
	v_cmp_le_u64_e32 vcc_lo, s[16:17], v[2:3]
	s_or_b32 s9, vcc_lo, s1
	s_and_saveexec_b32 s12, s9
	s_xor_b32 s9, exec_lo, s12
; %bb.13:                               ;   in Loop: Header=BB524_8 Depth=1
	ds_write_b32 v11, v3
; %bb.14:                               ;   in Loop: Header=BB524_8 Depth=1
	s_or_saveexec_b32 s9, s9
	v_mov_b32_e32 v24, 0
	s_xor_b32 exec_lo, exec_lo, s9
	s_cbranch_execz .LBB524_7
; %bb.15:                               ;   in Loop: Header=BB524_8 Depth=1
	v_mad_u64_u32 v[24:25], null, s4, v2, 0
	v_mad_u64_u32 v[25:26], null, s5, v2, v[25:26]
	v_lshlrev_b64 v[24:25], 3, v[24:25]
	v_add_co_u32 v24, vcc_lo, v12, v24
	v_add_co_ci_u32_e64 v25, null, v13, v25, vcc_lo
	flat_load_dwordx2 v[25:26], v[24:25]
	s_waitcnt vmcnt(0) lgkmcnt(0)
	v_xor_b32_e32 v24, 0x80000000, v26
	ds_write_b32 v11, v25
	s_branch .LBB524_7
.LBB524_16:                             ;   in Loop: Header=BB524_8 Depth=1
	v_add_nc_u32_e32 v2, s6, v9
	v_mov_b32_e32 v5, v3
	s_andn2_b32 s13, s8, exec_lo
	s_mov_b32 s9, exec_lo
	v_cmp_le_u64_e32 vcc_lo, s[16:17], v[2:3]
	v_mov_b32_e32 v4, v2
	s_and_b32 s14, vcc_lo, exec_lo
	s_or_b32 s13, s13, s14
	s_or_b32 exec_lo, exec_lo, s12
	s_and_saveexec_b32 s12, s13
	s_xor_b32 s12, exec_lo, s12
	s_cbranch_execz .LBB524_10
.LBB524_17:                             ;   in Loop: Header=BB524_8 Depth=1
	v_mov_b32_e32 v2, v3
	s_andn2_b32 s9, s9, exec_lo
	ds_write_b64 v10, v[2:3]
	s_or_b32 exec_lo, exec_lo, s12
	s_and_saveexec_b32 s12, s9
	s_cbranch_execnz .LBB524_11
	s_branch .LBB524_12
.LBB524_18:
	v_add_nc_u32_e32 v9, s31, v1
	s_lshl_b64 s[0:1], s[22:23], 3
	v_add_nc_u32_e32 v0, s30, v0
	v_cmp_neq_f32_e64 s6, s20, 0
	s_waitcnt lgkmcnt(0)
	s_add_u32 s4, s24, s0
	v_ashrrev_i32_e32 v3, 31, v9
	v_mul_lo_u32 v4, s3, v9
	v_mad_u64_u32 v[1:2], null, s2, v9, 0
	s_addc_u32 s5, s25, s1
	v_mul_lo_u32 v3, s2, v3
	s_xor_b32 s7, s29, -1
	v_cmp_gt_i32_e64 s0, s28, v9
	v_cmp_le_i32_e32 vcc_lo, v0, v9
	s_or_b32 s6, s6, s7
	v_cndmask_b32_e64 v8, 0, 1, s6
	s_and_b32 s7, s0, vcc_lo
	v_add3_u32 v2, v2, v3, v4
	v_lshlrev_b64 v[2:3], 3, v[1:2]
	v_ashrrev_i32_e32 v1, 31, v0
	v_add_co_u32 v6, s1, s4, v2
	v_add_co_ci_u32_e64 v7, null, s5, v3, s1
	s_and_saveexec_b32 s1, s7
	s_cbranch_execz .LBB524_22
; %bb.19:
	v_lshlrev_b64 v[4:5], 3, v[0:1]
	v_mul_f32_e32 v2, s19, v22
	v_mul_f32_e32 v3, s18, v22
	v_fma_f32 v2, v23, s18, -v2
	v_add_co_u32 v4, vcc_lo, v6, v4
	v_fmac_f32_e32 v3, s19, v23
	v_add_co_ci_u32_e64 v5, null, v7, v5, vcc_lo
	s_andn2_b32 vcc_lo, exec_lo, s6
	s_cbranch_vccnz .LBB524_21
; %bb.20:
	flat_load_dwordx2 v[10:11], v[4:5]
	s_waitcnt vmcnt(0) lgkmcnt(0)
	v_mul_f32_e32 v12, s21, v11
	v_mul_f32_e32 v11, s20, v11
	v_fma_f32 v12, v10, s20, -v12
	v_fmac_f32_e32 v11, s21, v10
	v_add_f32_e32 v2, v2, v12
	v_add_f32_e32 v3, v3, v11
.LBB524_21:
	flat_store_dwordx2 v[4:5], v[2:3]
.LBB524_22:
	s_or_b32 exec_lo, exec_lo, s1
	v_add_nc_u32_e32 v2, 16, v0
	v_cmp_le_i32_e32 vcc_lo, v2, v9
	v_ashrrev_i32_e32 v3, 31, v2
	s_and_b32 s0, s0, vcc_lo
	s_and_saveexec_b32 s1, s0
	s_cbranch_execz .LBB524_26
; %bb.23:
	v_lshlrev_b64 v[10:11], 3, v[2:3]
	v_mul_f32_e32 v4, s19, v21
	v_mul_f32_e32 v5, s18, v21
	v_cmp_ne_u32_e32 vcc_lo, 1, v8
	v_fma_f32 v4, v20, s18, -v4
	v_add_co_u32 v6, s0, v6, v10
	v_fmac_f32_e32 v5, s19, v20
	v_add_co_ci_u32_e64 v7, null, v7, v11, s0
	s_cbranch_vccnz .LBB524_25
; %bb.24:
	flat_load_dwordx2 v[10:11], v[6:7]
	s_waitcnt vmcnt(0) lgkmcnt(0)
	v_mul_f32_e32 v12, s21, v11
	v_mul_f32_e32 v11, s20, v11
	v_fma_f32 v12, v10, s20, -v12
	v_fmac_f32_e32 v11, s21, v10
	v_add_f32_e32 v4, v4, v12
	v_add_f32_e32 v5, v5, v11
.LBB524_25:
	flat_store_dwordx2 v[6:7], v[4:5]
.LBB524_26:
	s_or_b32 exec_lo, exec_lo, s1
	v_add_nc_u32_e32 v9, 16, v9
	v_ashrrev_i32_e32 v6, 31, v9
	v_mul_lo_u32 v7, s3, v9
	v_mad_u64_u32 v[4:5], null, s2, v9, 0
	v_cmp_gt_i32_e64 s0, s28, v9
	v_mul_lo_u32 v6, s2, v6
	v_cmp_le_i32_e32 vcc_lo, v0, v9
	v_add3_u32 v5, v5, v6, v7
	v_lshlrev_b64 v[4:5], 3, v[4:5]
	v_add_co_u32 v6, s1, s4, v4
	v_add_co_ci_u32_e64 v7, null, s5, v5, s1
	s_and_b32 s1, s0, vcc_lo
	s_and_saveexec_b32 s2, s1
	s_cbranch_execz .LBB524_30
; %bb.27:
	v_lshlrev_b64 v[0:1], 3, v[0:1]
	v_mul_f32_e32 v4, s19, v19
	v_mul_f32_e32 v5, s18, v19
	v_cmp_ne_u32_e32 vcc_lo, 1, v8
	v_fma_f32 v4, v18, s18, -v4
	v_add_co_u32 v0, s1, v6, v0
	v_fmac_f32_e32 v5, s19, v18
	v_add_co_ci_u32_e64 v1, null, v7, v1, s1
	s_cbranch_vccnz .LBB524_29
; %bb.28:
	flat_load_dwordx2 v[10:11], v[0:1]
	s_waitcnt vmcnt(0) lgkmcnt(0)
	v_mul_f32_e32 v12, s21, v11
	v_mul_f32_e32 v11, s20, v11
	v_fma_f32 v12, v10, s20, -v12
	v_fmac_f32_e32 v11, s21, v10
	v_add_f32_e32 v4, v4, v12
	v_add_f32_e32 v5, v5, v11
.LBB524_29:
	flat_store_dwordx2 v[0:1], v[4:5]
.LBB524_30:
	s_or_b32 exec_lo, exec_lo, s2
	v_cmp_le_i32_e32 vcc_lo, v2, v9
	s_and_b32 s0, s0, vcc_lo
	s_and_saveexec_b32 s1, s0
	s_cbranch_execz .LBB524_34
; %bb.31:
	v_lshlrev_b64 v[2:3], 3, v[2:3]
	v_mul_f32_e32 v0, s19, v17
	v_mul_f32_e32 v1, s18, v17
	v_cmp_ne_u32_e32 vcc_lo, 1, v8
	v_fma_f32 v0, v16, s18, -v0
	v_add_co_u32 v2, s0, v6, v2
	v_fmac_f32_e32 v1, s19, v16
	v_add_co_ci_u32_e64 v3, null, v7, v3, s0
	s_cbranch_vccnz .LBB524_33
; %bb.32:
	flat_load_dwordx2 v[4:5], v[2:3]
	s_waitcnt vmcnt(0) lgkmcnt(0)
	v_mul_f32_e32 v6, s21, v5
	v_mul_f32_e32 v5, s20, v5
	v_fma_f32 v6, v4, s20, -v6
	v_fmac_f32_e32 v5, s21, v4
	v_add_f32_e32 v0, v0, v6
	v_add_f32_e32 v1, v1, v5
.LBB524_33:
	flat_store_dwordx2 v[2:3], v[0:1]
.LBB524_34:
	s_endpgm
	.section	.rodata,"a",@progbits
	.p2align	6, 0x0
	.amdhsa_kernel _ZL29rocblas_internal_gemmt_kernelIlLi16ELi32ELi8ELc78ELc67ELc85ELb0ELb1E19rocblas_complex_numIfES1_PKPKS1_PKPS1_EviT_T9_T10_S9_lSB_S9_lSA_T11_S9_li
		.amdhsa_group_segment_fixed_size 4096
		.amdhsa_private_segment_fixed_size 0
		.amdhsa_kernarg_size 108
		.amdhsa_user_sgpr_count 6
		.amdhsa_user_sgpr_private_segment_buffer 1
		.amdhsa_user_sgpr_dispatch_ptr 0
		.amdhsa_user_sgpr_queue_ptr 0
		.amdhsa_user_sgpr_kernarg_segment_ptr 1
		.amdhsa_user_sgpr_dispatch_id 0
		.amdhsa_user_sgpr_flat_scratch_init 0
		.amdhsa_user_sgpr_private_segment_size 0
		.amdhsa_wavefront_size32 1
		.amdhsa_uses_dynamic_stack 0
		.amdhsa_system_sgpr_private_segment_wavefront_offset 0
		.amdhsa_system_sgpr_workgroup_id_x 1
		.amdhsa_system_sgpr_workgroup_id_y 1
		.amdhsa_system_sgpr_workgroup_id_z 1
		.amdhsa_system_sgpr_workgroup_info 0
		.amdhsa_system_vgpr_workitem_id 1
		.amdhsa_next_free_vgpr 61
		.amdhsa_next_free_sgpr 32
		.amdhsa_reserve_vcc 1
		.amdhsa_reserve_flat_scratch 0
		.amdhsa_float_round_mode_32 0
		.amdhsa_float_round_mode_16_64 0
		.amdhsa_float_denorm_mode_32 3
		.amdhsa_float_denorm_mode_16_64 3
		.amdhsa_dx10_clamp 1
		.amdhsa_ieee_mode 1
		.amdhsa_fp16_overflow 0
		.amdhsa_workgroup_processor_mode 1
		.amdhsa_memory_ordered 1
		.amdhsa_forward_progress 1
		.amdhsa_shared_vgpr_count 0
		.amdhsa_exception_fp_ieee_invalid_op 0
		.amdhsa_exception_fp_denorm_src 0
		.amdhsa_exception_fp_ieee_div_zero 0
		.amdhsa_exception_fp_ieee_overflow 0
		.amdhsa_exception_fp_ieee_underflow 0
		.amdhsa_exception_fp_ieee_inexact 0
		.amdhsa_exception_int_div_zero 0
	.end_amdhsa_kernel
	.section	.text._ZL29rocblas_internal_gemmt_kernelIlLi16ELi32ELi8ELc78ELc67ELc85ELb0ELb1E19rocblas_complex_numIfES1_PKPKS1_PKPS1_EviT_T9_T10_S9_lSB_S9_lSA_T11_S9_li,"axG",@progbits,_ZL29rocblas_internal_gemmt_kernelIlLi16ELi32ELi8ELc78ELc67ELc85ELb0ELb1E19rocblas_complex_numIfES1_PKPKS1_PKPS1_EviT_T9_T10_S9_lSB_S9_lSA_T11_S9_li,comdat
.Lfunc_end524:
	.size	_ZL29rocblas_internal_gemmt_kernelIlLi16ELi32ELi8ELc78ELc67ELc85ELb0ELb1E19rocblas_complex_numIfES1_PKPKS1_PKPS1_EviT_T9_T10_S9_lSB_S9_lSA_T11_S9_li, .Lfunc_end524-_ZL29rocblas_internal_gemmt_kernelIlLi16ELi32ELi8ELc78ELc67ELc85ELb0ELb1E19rocblas_complex_numIfES1_PKPKS1_PKPS1_EviT_T9_T10_S9_lSB_S9_lSA_T11_S9_li
                                        ; -- End function
	.set _ZL29rocblas_internal_gemmt_kernelIlLi16ELi32ELi8ELc78ELc67ELc85ELb0ELb1E19rocblas_complex_numIfES1_PKPKS1_PKPS1_EviT_T9_T10_S9_lSB_S9_lSA_T11_S9_li.num_vgpr, 61
	.set _ZL29rocblas_internal_gemmt_kernelIlLi16ELi32ELi8ELc78ELc67ELc85ELb0ELb1E19rocblas_complex_numIfES1_PKPKS1_PKPS1_EviT_T9_T10_S9_lSB_S9_lSA_T11_S9_li.num_agpr, 0
	.set _ZL29rocblas_internal_gemmt_kernelIlLi16ELi32ELi8ELc78ELc67ELc85ELb0ELb1E19rocblas_complex_numIfES1_PKPKS1_PKPS1_EviT_T9_T10_S9_lSB_S9_lSA_T11_S9_li.numbered_sgpr, 32
	.set _ZL29rocblas_internal_gemmt_kernelIlLi16ELi32ELi8ELc78ELc67ELc85ELb0ELb1E19rocblas_complex_numIfES1_PKPKS1_PKPS1_EviT_T9_T10_S9_lSB_S9_lSA_T11_S9_li.num_named_barrier, 0
	.set _ZL29rocblas_internal_gemmt_kernelIlLi16ELi32ELi8ELc78ELc67ELc85ELb0ELb1E19rocblas_complex_numIfES1_PKPKS1_PKPS1_EviT_T9_T10_S9_lSB_S9_lSA_T11_S9_li.private_seg_size, 0
	.set _ZL29rocblas_internal_gemmt_kernelIlLi16ELi32ELi8ELc78ELc67ELc85ELb0ELb1E19rocblas_complex_numIfES1_PKPKS1_PKPS1_EviT_T9_T10_S9_lSB_S9_lSA_T11_S9_li.uses_vcc, 1
	.set _ZL29rocblas_internal_gemmt_kernelIlLi16ELi32ELi8ELc78ELc67ELc85ELb0ELb1E19rocblas_complex_numIfES1_PKPKS1_PKPS1_EviT_T9_T10_S9_lSB_S9_lSA_T11_S9_li.uses_flat_scratch, 0
	.set _ZL29rocblas_internal_gemmt_kernelIlLi16ELi32ELi8ELc78ELc67ELc85ELb0ELb1E19rocblas_complex_numIfES1_PKPKS1_PKPS1_EviT_T9_T10_S9_lSB_S9_lSA_T11_S9_li.has_dyn_sized_stack, 0
	.set _ZL29rocblas_internal_gemmt_kernelIlLi16ELi32ELi8ELc78ELc67ELc85ELb0ELb1E19rocblas_complex_numIfES1_PKPKS1_PKPS1_EviT_T9_T10_S9_lSB_S9_lSA_T11_S9_li.has_recursion, 0
	.set _ZL29rocblas_internal_gemmt_kernelIlLi16ELi32ELi8ELc78ELc67ELc85ELb0ELb1E19rocblas_complex_numIfES1_PKPKS1_PKPS1_EviT_T9_T10_S9_lSB_S9_lSA_T11_S9_li.has_indirect_call, 0
	.section	.AMDGPU.csdata,"",@progbits
; Kernel info:
; codeLenInByte = 2664
; TotalNumSgprs: 34
; NumVgprs: 61
; ScratchSize: 0
; MemoryBound: 0
; FloatMode: 240
; IeeeMode: 1
; LDSByteSize: 4096 bytes/workgroup (compile time only)
; SGPRBlocks: 0
; VGPRBlocks: 7
; NumSGPRsForWavesPerEU: 34
; NumVGPRsForWavesPerEU: 61
; Occupancy: 16
; WaveLimiterHint : 1
; COMPUTE_PGM_RSRC2:SCRATCH_EN: 0
; COMPUTE_PGM_RSRC2:USER_SGPR: 6
; COMPUTE_PGM_RSRC2:TRAP_HANDLER: 0
; COMPUTE_PGM_RSRC2:TGID_X_EN: 1
; COMPUTE_PGM_RSRC2:TGID_Y_EN: 1
; COMPUTE_PGM_RSRC2:TGID_Z_EN: 1
; COMPUTE_PGM_RSRC2:TIDIG_COMP_CNT: 1
	.section	.text._ZL29rocblas_internal_gemmt_kernelIlLi16ELi32ELi8ELc84ELc78ELc85ELb0ELb0E19rocblas_complex_numIfES1_PKPKS1_PKPS1_EviT_T9_T10_S9_lSB_S9_lSA_T11_S9_li,"axG",@progbits,_ZL29rocblas_internal_gemmt_kernelIlLi16ELi32ELi8ELc84ELc78ELc85ELb0ELb0E19rocblas_complex_numIfES1_PKPKS1_PKPS1_EviT_T9_T10_S9_lSB_S9_lSA_T11_S9_li,comdat
	.globl	_ZL29rocblas_internal_gemmt_kernelIlLi16ELi32ELi8ELc84ELc78ELc85ELb0ELb0E19rocblas_complex_numIfES1_PKPKS1_PKPS1_EviT_T9_T10_S9_lSB_S9_lSA_T11_S9_li ; -- Begin function _ZL29rocblas_internal_gemmt_kernelIlLi16ELi32ELi8ELc84ELc78ELc85ELb0ELb0E19rocblas_complex_numIfES1_PKPKS1_PKPS1_EviT_T9_T10_S9_lSB_S9_lSA_T11_S9_li
	.p2align	8
	.type	_ZL29rocblas_internal_gemmt_kernelIlLi16ELi32ELi8ELc84ELc78ELc85ELb0ELb0E19rocblas_complex_numIfES1_PKPKS1_PKPS1_EviT_T9_T10_S9_lSB_S9_lSA_T11_S9_li,@function
_ZL29rocblas_internal_gemmt_kernelIlLi16ELi32ELi8ELc84ELc78ELc85ELb0ELb0E19rocblas_complex_numIfES1_PKPKS1_PKPS1_EviT_T9_T10_S9_lSB_S9_lSA_T11_S9_li: ; @_ZL29rocblas_internal_gemmt_kernelIlLi16ELi32ELi8ELc84ELc78ELc85ELb0ELb0E19rocblas_complex_numIfES1_PKPKS1_PKPS1_EviT_T9_T10_S9_lSB_S9_lSA_T11_S9_li
; %bb.0:
	s_clause 0x1
	s_load_dwordx2 s[20:21], s[4:5], 0x48
	s_load_dwordx4 s[16:19], s[4:5], 0x8
	s_waitcnt lgkmcnt(0)
	s_and_b32 s0, s21, 0x7fffffff
	v_cmp_eq_f32_e64 s1, s20, 1.0
	s_cmp_eq_u32 s0, 0
	s_mov_b32 s0, 0
	s_cselect_b32 s29, -1, 0
	s_and_b32 s1, s1, s29
	s_andn2_b32 vcc_lo, exec_lo, s1
	s_mov_b32 s1, -1
	s_cbranch_vccnz .LBB525_4
; %bb.1:
	s_cmp_lg_u64 s[16:17], 0
	s_cbranch_scc0 .LBB525_3
; %bb.2:
	v_cmp_neq_f32_e64 s0, s18, 0
	v_cmp_neq_f32_e64 s1, s19, 0
	s_or_b32 s0, s0, s1
.LBB525_3:
	s_mov_b32 s1, s0
.LBB525_4:
	s_and_b32 vcc_lo, exec_lo, s1
	s_cbranch_vccz .LBB525_34
; %bb.5:
	s_clause 0x1
	s_load_dwordx4 s[0:3], s[4:5], 0x50
	s_load_dword s28, s[4:5], 0x0
	s_mov_b32 s9, 0
	s_load_dwordx2 s[22:23], s[4:5], 0x60
	s_lshl_b64 s[26:27], s[8:9], 3
	v_cmp_eq_f32_e64 s8, s18, 0
	v_cmp_eq_f32_e64 s9, s19, 0
	v_mov_b32_e32 v23, 0
	v_mov_b32_e32 v22, 0
	;; [unrolled: 1-line block ×8, first 2 shown]
	s_waitcnt lgkmcnt(0)
	s_add_u32 s0, s0, s26
	s_addc_u32 s1, s1, s27
	s_lshl_b32 s30, s6, 5
	s_load_dwordx2 s[24:25], s[0:1], 0x0
	v_cmp_lt_i64_e64 s0, s[16:17], 1
	s_and_b32 s1, s8, s9
	s_lshl_b32 s31, s7, 5
	s_or_b32 s0, s1, s0
	s_and_b32 vcc_lo, exec_lo, s0
	s_cbranch_vccnz .LBB525_18
; %bb.6:
	s_clause 0x1
	s_load_dwordx8 s[8:15], s[4:5], 0x18
	s_load_dwordx4 s[4:7], s[4:5], 0x38
	v_lshl_add_u32 v2, v1, 4, v0
	v_and_b32_e32 v6, 7, v0
	v_lshlrev_b32_e32 v7, 3, v0
	v_lshl_add_u32 v8, v1, 6, 0x800
	v_mov_b32_e32 v3, 0
	v_lshrrev_b32_e32 v10, 3, v2
	v_and_b32_e32 v12, 31, v2
	v_lshlrev_b32_e32 v13, 3, v6
	v_lshrrev_b32_e32 v9, 5, v2
	v_mov_b32_e32 v17, 0
	v_add_nc_u32_e32 v11, s31, v10
	v_or_b32_e32 v14, s30, v12
	v_lshlrev_b32_e32 v2, 3, v12
	v_lshl_or_b32 v24, v10, 6, v13
	v_mov_b32_e32 v16, 0
	v_ashrrev_i32_e32 v4, 31, v11
	v_cmp_gt_i32_e32 vcc_lo, s28, v11
	v_mov_b32_e32 v19, 0
	s_waitcnt lgkmcnt(0)
	s_add_u32 s0, s14, s26
	s_addc_u32 s1, s15, s27
	s_lshl_b64 s[6:7], s[6:7], 3
	s_load_dwordx2 s[0:1], s[0:1], 0x0
	v_mul_lo_u32 v15, s4, v4
	v_mul_lo_u32 v23, s5, v11
	v_mad_u64_u32 v[4:5], null, s4, v11, 0
	v_mul_lo_u32 v10, s11, v14
	v_mad_u64_u32 v[12:13], null, s10, v14, 0
	v_mov_b32_e32 v18, 0
	v_mov_b32_e32 v21, 0
	;; [unrolled: 1-line block ×3, first 2 shown]
	v_add3_u32 v5, v5, v15, v23
	v_mov_b32_e32 v22, 0
	v_add_nc_u32_e32 v11, 0x800, v24
	v_mov_b32_e32 v23, 0
	v_lshlrev_b64 v[4:5], 3, v[4:5]
	s_waitcnt lgkmcnt(0)
	s_add_u32 s14, s0, s6
	s_addc_u32 s7, s1, s7
	s_add_u32 s0, s8, s26
	s_addc_u32 s1, s9, s27
	s_lshl_b64 s[4:5], s[12:13], 3
	s_load_dwordx2 s[0:1], s[0:1], 0x0
	v_cmp_le_i32_e64 s6, s28, v14
	s_waitcnt lgkmcnt(0)
	s_add_u32 s4, s0, s4
	s_addc_u32 s5, s1, s5
	s_ashr_i32 s1, s30, 31
	v_cmp_gt_i32_e64 s0, s28, v14
	s_mul_i32 s1, s10, s1
	v_add3_u32 v13, v13, s1, v10
	v_lshl_or_b32 v10, v9, 8, v2
	v_lshlrev_b64 v[14:15], 3, v[12:13]
	v_add_co_u32 v12, s1, s14, v4
	v_add_co_ci_u32_e64 v13, null, s7, v5, s1
                                        ; implicit-def: $vgpr4_vgpr5
	v_add_co_u32 v14, s1, s4, v14
	v_add_co_ci_u32_e64 v15, null, s5, v15, s1
	s_mov_b64 s[4:5], 0
	s_xor_b32 s1, vcc_lo, -1
	s_branch .LBB525_8
.LBB525_7:                              ;   in Loop: Header=BB525_8 Depth=1
	s_or_b32 exec_lo, exec_lo, s7
	s_waitcnt lgkmcnt(0)
	s_barrier
	buffer_gl0_inv
	ds_read_b128 v[24:27], v8
	ds_read2_b64 v[28:31], v7 offset1:16
	ds_read_b128 v[32:35], v8 offset:1024
	ds_read_b128 v[36:39], v8 offset:16
	;; [unrolled: 1-line block ×4, first 2 shown]
	ds_read2_b64 v[48:51], v7 offset0:32 offset1:48
	ds_read_b128 v[52:55], v8 offset:1040
	s_add_u32 s4, s4, 8
	s_addc_u32 s5, s5, 0
	v_cmp_gt_i64_e64 s7, s[16:17], s[4:5]
	s_and_b32 vcc_lo, exec_lo, s7
	s_waitcnt lgkmcnt(6)
	v_mul_f32_e32 v2, v25, v29
	v_mul_f32_e32 v56, v24, v29
	;; [unrolled: 1-line block ×4, first 2 shown]
	s_waitcnt lgkmcnt(5)
	v_mul_f32_e32 v59, v33, v29
	v_mul_f32_e32 v29, v32, v29
	;; [unrolled: 1-line block ×3, first 2 shown]
	v_fma_f32 v2, v24, v28, -v2
	v_fmac_f32_e32 v56, v25, v28
	v_fma_f32 v24, v24, v30, -v57
	v_fmac_f32_e32 v58, v25, v30
	;; [unrolled: 2-line block ×3, first 2 shown]
	v_mul_f32_e32 v31, v32, v31
	v_fma_f32 v28, v32, v30, -v60
	v_add_f32_e32 v2, v23, v2
	v_add_f32_e32 v23, v20, v24
	;; [unrolled: 1-line block ×5, first 2 shown]
	s_waitcnt lgkmcnt(1)
	v_mul_f32_e32 v32, v27, v49
	ds_read2_b64 v[18:21], v7 offset0:64 offset1:80
	v_fmac_f32_e32 v31, v33, v30
	v_add_f32_e32 v16, v16, v28
	v_mul_f32_e32 v28, v26, v49
	v_fma_f32 v30, v26, v48, -v32
	v_mul_f32_e32 v32, v27, v51
	v_add_f32_e32 v22, v22, v56
	v_add_f32_e32 v17, v17, v31
	v_fmac_f32_e32 v28, v27, v48
	v_mul_f32_e32 v31, v26, v51
	v_add_f32_e32 v2, v2, v30
	v_fma_f32 v26, v26, v50, -v32
	v_mul_f32_e32 v30, v35, v49
	v_add_f32_e32 v28, v22, v28
	v_fmac_f32_e32 v31, v27, v50
	v_mul_f32_e32 v22, v34, v49
	v_add_f32_e32 v26, v23, v26
	v_fma_f32 v23, v34, v48, -v30
	v_mul_f32_e32 v27, v35, v51
	v_add_f32_e32 v30, v24, v31
	v_fmac_f32_e32 v22, v35, v48
	v_mul_f32_e32 v31, v34, v51
	v_add_f32_e32 v32, v25, v23
	v_fma_f32 v23, v34, v50, -v27
	s_waitcnt lgkmcnt(0)
	v_mul_f32_e32 v24, v37, v19
	v_add_f32_e32 v27, v29, v22
	v_fmac_f32_e32 v31, v35, v50
	v_mul_f32_e32 v29, v36, v19
	v_add_f32_e32 v16, v16, v23
	v_fma_f32 v33, v36, v18, -v24
	v_mul_f32_e32 v34, v37, v21
	ds_read2_b64 v[22:25], v7 offset0:96 offset1:112
	v_fmac_f32_e32 v29, v37, v18
	v_add_f32_e32 v31, v17, v31
	v_add_f32_e32 v2, v2, v33
	v_mul_f32_e32 v17, v36, v21
	v_fma_f32 v33, v36, v20, -v34
	v_add_f32_e32 v28, v28, v29
	v_mul_f32_e32 v29, v53, v19
	v_mul_f32_e32 v19, v52, v19
	v_fmac_f32_e32 v17, v37, v20
	v_add_f32_e32 v26, v26, v33
	v_mul_f32_e32 v33, v53, v21
	v_mul_f32_e32 v21, v52, v21
	v_fmac_f32_e32 v19, v53, v18
	v_add_f32_e32 v30, v30, v17
	v_fma_f32 v29, v52, v18, -v29
	v_fma_f32 v17, v52, v20, -v33
	v_fmac_f32_e32 v21, v53, v20
	v_add_f32_e32 v33, v27, v19
	s_waitcnt lgkmcnt(0)
	v_mul_f32_e32 v20, v39, v23
	v_add_f32_e32 v34, v16, v17
	ds_read2_b64 v[16:19], v7 offset0:128 offset1:144
	v_add_f32_e32 v32, v32, v29
	v_mul_f32_e32 v27, v38, v23
	v_mul_f32_e32 v29, v39, v25
	v_fma_f32 v20, v38, v22, -v20
	v_add_f32_e32 v31, v31, v21
	v_mul_f32_e32 v21, v38, v25
	v_fmac_f32_e32 v27, v39, v22
	v_fma_f32 v29, v38, v24, -v29
	v_add_f32_e32 v2, v2, v20
	v_mul_f32_e32 v20, v55, v23
	v_fmac_f32_e32 v21, v39, v24
	v_add_f32_e32 v35, v28, v27
	v_add_f32_e32 v36, v26, v29
	v_mul_f32_e32 v23, v54, v23
	v_fma_f32 v20, v54, v22, -v20
	v_mul_f32_e32 v37, v55, v25
	ds_read_b128 v[26:29], v8 offset:1056
	v_add_f32_e32 v38, v30, v21
	v_fmac_f32_e32 v23, v55, v22
	v_mul_f32_e32 v25, v54, v25
	v_fma_f32 v21, v54, v24, -v37
	v_add_f32_e32 v37, v32, v20
	s_waitcnt lgkmcnt(1)
	v_mul_f32_e32 v20, v41, v17
	v_add_f32_e32 v39, v33, v23
	v_fmac_f32_e32 v25, v55, v24
	v_add_f32_e32 v24, v34, v21
	v_mul_f32_e32 v32, v41, v19
	v_fma_f32 v30, v40, v16, -v20
	ds_read2_b64 v[20:23], v7 offset0:160 offset1:176
	v_mul_f32_e32 v34, v40, v17
	v_add_f32_e32 v25, v31, v25
	v_fma_f32 v48, v40, v18, -v32
	v_mul_f32_e32 v40, v40, v19
	v_add_f32_e32 v2, v2, v30
	v_fmac_f32_e32 v34, v41, v16
	ds_read_b128 v[30:33], v8 offset:1072
	s_waitcnt lgkmcnt(2)
	v_mul_f32_e32 v49, v27, v17
	v_mul_f32_e32 v17, v26, v17
	v_fmac_f32_e32 v40, v41, v18
	v_mul_f32_e32 v41, v27, v19
	v_add_f32_e32 v34, v35, v34
	v_add_f32_e32 v35, v36, v48
	v_fma_f32 v36, v26, v16, -v49
	v_fmac_f32_e32 v17, v27, v16
	v_add_f32_e32 v38, v38, v40
	v_mul_f32_e32 v40, v26, v19
	v_fma_f32 v16, v26, v18, -v41
	v_add_f32_e32 v36, v37, v36
	v_add_f32_e32 v26, v39, v17
	s_waitcnt lgkmcnt(1)
	v_mul_f32_e32 v37, v43, v21
	v_fmac_f32_e32 v40, v27, v18
	v_add_f32_e32 v24, v24, v16
	ds_read2_b64 v[16:19], v7 offset0:192 offset1:208
	v_mul_f32_e32 v27, v42, v21
	v_fma_f32 v37, v42, v20, -v37
	v_mul_f32_e32 v39, v43, v23
	v_add_f32_e32 v40, v25, v40
	v_mul_f32_e32 v25, v42, v23
	v_fmac_f32_e32 v27, v43, v20
	v_add_f32_e32 v2, v2, v37
	v_fma_f32 v37, v42, v22, -v39
	v_fmac_f32_e32 v25, v43, v22
	v_add_f32_e32 v34, v34, v27
	v_mul_f32_e32 v27, v29, v21
	v_mul_f32_e32 v21, v28, v21
	v_add_f32_e32 v35, v35, v37
	v_mul_f32_e32 v37, v29, v23
	v_add_f32_e32 v38, v38, v25
	v_fma_f32 v27, v28, v20, -v27
	v_fmac_f32_e32 v21, v29, v20
	v_mul_f32_e32 v20, v28, v23
	v_fma_f32 v23, v28, v22, -v37
	s_waitcnt lgkmcnt(0)
	v_mul_f32_e32 v25, v45, v17
	v_add_f32_e32 v28, v36, v27
	v_add_f32_e32 v21, v26, v21
	v_fmac_f32_e32 v20, v29, v22
	v_add_f32_e32 v22, v24, v23
	v_fma_f32 v29, v44, v16, -v25
	ds_read2_b64 v[24:27], v7 offset0:224 offset1:240
	v_mul_f32_e32 v23, v44, v17
	v_mul_f32_e32 v37, v31, v17
	;; [unrolled: 1-line block ×4, first 2 shown]
	v_add_f32_e32 v2, v2, v29
	v_fmac_f32_e32 v23, v45, v16
	v_mul_f32_e32 v29, v44, v19
	v_fmac_f32_e32 v17, v31, v16
	v_fma_f32 v36, v44, v18, -v36
	v_add_f32_e32 v20, v40, v20
	v_add_f32_e32 v34, v34, v23
	v_fma_f32 v23, v30, v16, -v37
	v_mul_f32_e32 v16, v31, v19
	v_mul_f32_e32 v19, v30, v19
	v_fmac_f32_e32 v29, v45, v18
	v_add_f32_e32 v17, v21, v17
	v_add_f32_e32 v35, v35, v36
	v_fma_f32 v16, v30, v18, -v16
	v_fmac_f32_e32 v19, v31, v18
	s_waitcnt lgkmcnt(0)
	v_mul_f32_e32 v21, v47, v25
	v_mul_f32_e32 v18, v47, v27
	v_add_f32_e32 v28, v28, v23
	v_mul_f32_e32 v30, v46, v25
	v_mul_f32_e32 v31, v46, v27
	v_fma_f32 v21, v46, v24, -v21
	v_fma_f32 v18, v46, v26, -v18
	v_add_f32_e32 v36, v20, v19
	v_mul_f32_e32 v19, v32, v25
	v_add_f32_e32 v29, v38, v29
	v_add_f32_e32 v23, v2, v21
	;; [unrolled: 1-line block ×3, first 2 shown]
	v_mul_f32_e32 v2, v33, v25
	v_mul_f32_e32 v18, v33, v27
	v_mul_f32_e32 v25, v32, v27
	v_add_f32_e32 v16, v22, v16
	v_fmac_f32_e32 v30, v47, v24
	v_fmac_f32_e32 v31, v47, v26
	v_fma_f32 v2, v32, v24, -v2
	v_fmac_f32_e32 v19, v33, v24
	v_fma_f32 v24, v32, v26, -v18
	v_fmac_f32_e32 v25, v33, v26
	v_add_f32_e32 v22, v34, v30
	v_add_f32_e32 v21, v29, v31
	;; [unrolled: 1-line block ×6, first 2 shown]
	s_barrier
	buffer_gl0_inv
	s_cbranch_vccz .LBB525_18
.LBB525_8:                              ; =>This Inner Loop Header: Depth=1
	s_mov_b32 s9, s6
	s_mov_b32 s7, 0
	s_and_saveexec_b32 s8, s0
	s_cbranch_execnz .LBB525_16
; %bb.9:                                ;   in Loop: Header=BB525_8 Depth=1
	s_or_b32 exec_lo, exec_lo, s8
	s_and_saveexec_b32 s8, s9
	s_xor_b32 s8, exec_lo, s8
	s_cbranch_execnz .LBB525_17
.LBB525_10:                             ;   in Loop: Header=BB525_8 Depth=1
	s_or_b32 exec_lo, exec_lo, s8
	s_and_saveexec_b32 s8, s7
	s_cbranch_execz .LBB525_12
.LBB525_11:                             ;   in Loop: Header=BB525_8 Depth=1
	v_lshlrev_b64 v[24:25], 3, v[4:5]
	v_add_co_u32 v24, vcc_lo, v14, v24
	v_add_co_ci_u32_e64 v25, null, v15, v25, vcc_lo
	flat_load_dwordx2 v[24:25], v[24:25]
	s_waitcnt vmcnt(0) lgkmcnt(0)
	ds_write_b64 v10, v[24:25]
.LBB525_12:                             ;   in Loop: Header=BB525_8 Depth=1
	s_or_b32 exec_lo, exec_lo, s8
	v_add_nc_u32_e32 v2, s4, v6
	v_cmp_le_u64_e32 vcc_lo, s[16:17], v[2:3]
	s_or_b32 s7, vcc_lo, s1
	s_and_saveexec_b32 s8, s7
	s_xor_b32 s7, exec_lo, s8
; %bb.13:                               ;   in Loop: Header=BB525_8 Depth=1
	v_mov_b32_e32 v2, v3
	ds_write_b64 v11, v[2:3]
; %bb.14:                               ;   in Loop: Header=BB525_8 Depth=1
	s_andn2_saveexec_b32 s7, s7
	s_cbranch_execz .LBB525_7
; %bb.15:                               ;   in Loop: Header=BB525_8 Depth=1
	v_lshlrev_b64 v[24:25], 3, v[2:3]
	v_add_co_u32 v24, vcc_lo, v12, v24
	v_add_co_ci_u32_e64 v25, null, v13, v25, vcc_lo
	flat_load_dwordx2 v[24:25], v[24:25]
	s_waitcnt vmcnt(0) lgkmcnt(0)
	ds_write_b64 v11, v[24:25]
	s_branch .LBB525_7
.LBB525_16:                             ;   in Loop: Header=BB525_8 Depth=1
	v_add_nc_u32_e32 v2, s4, v9
	v_mov_b32_e32 v5, v3
	s_andn2_b32 s9, s6, exec_lo
	s_mov_b32 s7, exec_lo
	v_cmp_le_u64_e32 vcc_lo, s[16:17], v[2:3]
	v_mov_b32_e32 v4, v2
	s_and_b32 s10, vcc_lo, exec_lo
	s_or_b32 s9, s9, s10
	s_or_b32 exec_lo, exec_lo, s8
	s_and_saveexec_b32 s8, s9
	s_xor_b32 s8, exec_lo, s8
	s_cbranch_execz .LBB525_10
.LBB525_17:                             ;   in Loop: Header=BB525_8 Depth=1
	v_mov_b32_e32 v2, v3
	s_andn2_b32 s7, s7, exec_lo
	ds_write_b64 v10, v[2:3]
	s_or_b32 exec_lo, exec_lo, s8
	s_and_saveexec_b32 s8, s7
	s_cbranch_execnz .LBB525_11
	s_branch .LBB525_12
.LBB525_18:
	v_add_nc_u32_e32 v9, s31, v1
	s_lshl_b64 s[0:1], s[22:23], 3
	v_add_nc_u32_e32 v0, s30, v0
	v_cmp_neq_f32_e64 s6, s20, 0
	s_waitcnt lgkmcnt(0)
	s_add_u32 s4, s24, s0
	v_ashrrev_i32_e32 v3, 31, v9
	v_mul_lo_u32 v4, s3, v9
	v_mad_u64_u32 v[1:2], null, s2, v9, 0
	s_addc_u32 s5, s25, s1
	v_mul_lo_u32 v3, s2, v3
	s_xor_b32 s7, s29, -1
	v_cmp_gt_i32_e64 s0, s28, v9
	v_cmp_le_i32_e32 vcc_lo, v0, v9
	s_or_b32 s6, s6, s7
	v_cndmask_b32_e64 v8, 0, 1, s6
	s_and_b32 s7, s0, vcc_lo
	v_add3_u32 v2, v2, v3, v4
	v_lshlrev_b64 v[2:3], 3, v[1:2]
	v_ashrrev_i32_e32 v1, 31, v0
	v_add_co_u32 v6, s1, s4, v2
	v_add_co_ci_u32_e64 v7, null, s5, v3, s1
	s_and_saveexec_b32 s1, s7
	s_cbranch_execz .LBB525_22
; %bb.19:
	v_lshlrev_b64 v[4:5], 3, v[0:1]
	v_mul_f32_e32 v2, s19, v22
	v_mul_f32_e32 v3, s18, v22
	v_fma_f32 v2, v23, s18, -v2
	v_add_co_u32 v4, vcc_lo, v6, v4
	v_fmac_f32_e32 v3, s19, v23
	v_add_co_ci_u32_e64 v5, null, v7, v5, vcc_lo
	s_andn2_b32 vcc_lo, exec_lo, s6
	s_cbranch_vccnz .LBB525_21
; %bb.20:
	flat_load_dwordx2 v[10:11], v[4:5]
	s_waitcnt vmcnt(0) lgkmcnt(0)
	v_mul_f32_e32 v12, s21, v11
	v_mul_f32_e32 v11, s20, v11
	v_fma_f32 v12, v10, s20, -v12
	v_fmac_f32_e32 v11, s21, v10
	v_add_f32_e32 v2, v2, v12
	v_add_f32_e32 v3, v3, v11
.LBB525_21:
	flat_store_dwordx2 v[4:5], v[2:3]
.LBB525_22:
	s_or_b32 exec_lo, exec_lo, s1
	v_add_nc_u32_e32 v2, 16, v0
	v_cmp_le_i32_e32 vcc_lo, v2, v9
	v_ashrrev_i32_e32 v3, 31, v2
	s_and_b32 s0, s0, vcc_lo
	s_and_saveexec_b32 s1, s0
	s_cbranch_execz .LBB525_26
; %bb.23:
	v_lshlrev_b64 v[10:11], 3, v[2:3]
	v_mul_f32_e32 v4, s19, v21
	v_mul_f32_e32 v5, s18, v21
	v_cmp_ne_u32_e32 vcc_lo, 1, v8
	v_fma_f32 v4, v20, s18, -v4
	v_add_co_u32 v6, s0, v6, v10
	v_fmac_f32_e32 v5, s19, v20
	v_add_co_ci_u32_e64 v7, null, v7, v11, s0
	s_cbranch_vccnz .LBB525_25
; %bb.24:
	flat_load_dwordx2 v[10:11], v[6:7]
	s_waitcnt vmcnt(0) lgkmcnt(0)
	v_mul_f32_e32 v12, s21, v11
	v_mul_f32_e32 v11, s20, v11
	v_fma_f32 v12, v10, s20, -v12
	v_fmac_f32_e32 v11, s21, v10
	v_add_f32_e32 v4, v4, v12
	v_add_f32_e32 v5, v5, v11
.LBB525_25:
	flat_store_dwordx2 v[6:7], v[4:5]
.LBB525_26:
	s_or_b32 exec_lo, exec_lo, s1
	v_add_nc_u32_e32 v9, 16, v9
	v_ashrrev_i32_e32 v6, 31, v9
	v_mul_lo_u32 v7, s3, v9
	v_mad_u64_u32 v[4:5], null, s2, v9, 0
	v_cmp_gt_i32_e64 s0, s28, v9
	v_mul_lo_u32 v6, s2, v6
	v_cmp_le_i32_e32 vcc_lo, v0, v9
	v_add3_u32 v5, v5, v6, v7
	v_lshlrev_b64 v[4:5], 3, v[4:5]
	v_add_co_u32 v6, s1, s4, v4
	v_add_co_ci_u32_e64 v7, null, s5, v5, s1
	s_and_b32 s1, s0, vcc_lo
	s_and_saveexec_b32 s2, s1
	s_cbranch_execz .LBB525_30
; %bb.27:
	v_lshlrev_b64 v[0:1], 3, v[0:1]
	v_mul_f32_e32 v4, s19, v19
	v_mul_f32_e32 v5, s18, v19
	v_cmp_ne_u32_e32 vcc_lo, 1, v8
	v_fma_f32 v4, v18, s18, -v4
	v_add_co_u32 v0, s1, v6, v0
	v_fmac_f32_e32 v5, s19, v18
	v_add_co_ci_u32_e64 v1, null, v7, v1, s1
	s_cbranch_vccnz .LBB525_29
; %bb.28:
	flat_load_dwordx2 v[10:11], v[0:1]
	s_waitcnt vmcnt(0) lgkmcnt(0)
	v_mul_f32_e32 v12, s21, v11
	v_mul_f32_e32 v11, s20, v11
	v_fma_f32 v12, v10, s20, -v12
	v_fmac_f32_e32 v11, s21, v10
	v_add_f32_e32 v4, v4, v12
	v_add_f32_e32 v5, v5, v11
.LBB525_29:
	flat_store_dwordx2 v[0:1], v[4:5]
.LBB525_30:
	s_or_b32 exec_lo, exec_lo, s2
	v_cmp_le_i32_e32 vcc_lo, v2, v9
	s_and_b32 s0, s0, vcc_lo
	s_and_saveexec_b32 s1, s0
	s_cbranch_execz .LBB525_34
; %bb.31:
	v_lshlrev_b64 v[2:3], 3, v[2:3]
	v_mul_f32_e32 v0, s19, v17
	v_mul_f32_e32 v1, s18, v17
	v_cmp_ne_u32_e32 vcc_lo, 1, v8
	v_fma_f32 v0, v16, s18, -v0
	v_add_co_u32 v2, s0, v6, v2
	v_fmac_f32_e32 v1, s19, v16
	v_add_co_ci_u32_e64 v3, null, v7, v3, s0
	s_cbranch_vccnz .LBB525_33
; %bb.32:
	flat_load_dwordx2 v[4:5], v[2:3]
	s_waitcnt vmcnt(0) lgkmcnt(0)
	v_mul_f32_e32 v6, s21, v5
	v_mul_f32_e32 v5, s20, v5
	v_fma_f32 v6, v4, s20, -v6
	v_fmac_f32_e32 v5, s21, v4
	v_add_f32_e32 v0, v0, v6
	v_add_f32_e32 v1, v1, v5
.LBB525_33:
	flat_store_dwordx2 v[2:3], v[0:1]
.LBB525_34:
	s_endpgm
	.section	.rodata,"a",@progbits
	.p2align	6, 0x0
	.amdhsa_kernel _ZL29rocblas_internal_gemmt_kernelIlLi16ELi32ELi8ELc84ELc78ELc85ELb0ELb0E19rocblas_complex_numIfES1_PKPKS1_PKPS1_EviT_T9_T10_S9_lSB_S9_lSA_T11_S9_li
		.amdhsa_group_segment_fixed_size 4096
		.amdhsa_private_segment_fixed_size 0
		.amdhsa_kernarg_size 108
		.amdhsa_user_sgpr_count 6
		.amdhsa_user_sgpr_private_segment_buffer 1
		.amdhsa_user_sgpr_dispatch_ptr 0
		.amdhsa_user_sgpr_queue_ptr 0
		.amdhsa_user_sgpr_kernarg_segment_ptr 1
		.amdhsa_user_sgpr_dispatch_id 0
		.amdhsa_user_sgpr_flat_scratch_init 0
		.amdhsa_user_sgpr_private_segment_size 0
		.amdhsa_wavefront_size32 1
		.amdhsa_uses_dynamic_stack 0
		.amdhsa_system_sgpr_private_segment_wavefront_offset 0
		.amdhsa_system_sgpr_workgroup_id_x 1
		.amdhsa_system_sgpr_workgroup_id_y 1
		.amdhsa_system_sgpr_workgroup_id_z 1
		.amdhsa_system_sgpr_workgroup_info 0
		.amdhsa_system_vgpr_workitem_id 1
		.amdhsa_next_free_vgpr 61
		.amdhsa_next_free_sgpr 32
		.amdhsa_reserve_vcc 1
		.amdhsa_reserve_flat_scratch 0
		.amdhsa_float_round_mode_32 0
		.amdhsa_float_round_mode_16_64 0
		.amdhsa_float_denorm_mode_32 3
		.amdhsa_float_denorm_mode_16_64 3
		.amdhsa_dx10_clamp 1
		.amdhsa_ieee_mode 1
		.amdhsa_fp16_overflow 0
		.amdhsa_workgroup_processor_mode 1
		.amdhsa_memory_ordered 1
		.amdhsa_forward_progress 1
		.amdhsa_shared_vgpr_count 0
		.amdhsa_exception_fp_ieee_invalid_op 0
		.amdhsa_exception_fp_denorm_src 0
		.amdhsa_exception_fp_ieee_div_zero 0
		.amdhsa_exception_fp_ieee_overflow 0
		.amdhsa_exception_fp_ieee_underflow 0
		.amdhsa_exception_fp_ieee_inexact 0
		.amdhsa_exception_int_div_zero 0
	.end_amdhsa_kernel
	.section	.text._ZL29rocblas_internal_gemmt_kernelIlLi16ELi32ELi8ELc84ELc78ELc85ELb0ELb0E19rocblas_complex_numIfES1_PKPKS1_PKPS1_EviT_T9_T10_S9_lSB_S9_lSA_T11_S9_li,"axG",@progbits,_ZL29rocblas_internal_gemmt_kernelIlLi16ELi32ELi8ELc84ELc78ELc85ELb0ELb0E19rocblas_complex_numIfES1_PKPKS1_PKPS1_EviT_T9_T10_S9_lSB_S9_lSA_T11_S9_li,comdat
.Lfunc_end525:
	.size	_ZL29rocblas_internal_gemmt_kernelIlLi16ELi32ELi8ELc84ELc78ELc85ELb0ELb0E19rocblas_complex_numIfES1_PKPKS1_PKPS1_EviT_T9_T10_S9_lSB_S9_lSA_T11_S9_li, .Lfunc_end525-_ZL29rocblas_internal_gemmt_kernelIlLi16ELi32ELi8ELc84ELc78ELc85ELb0ELb0E19rocblas_complex_numIfES1_PKPKS1_PKPS1_EviT_T9_T10_S9_lSB_S9_lSA_T11_S9_li
                                        ; -- End function
	.set _ZL29rocblas_internal_gemmt_kernelIlLi16ELi32ELi8ELc84ELc78ELc85ELb0ELb0E19rocblas_complex_numIfES1_PKPKS1_PKPS1_EviT_T9_T10_S9_lSB_S9_lSA_T11_S9_li.num_vgpr, 61
	.set _ZL29rocblas_internal_gemmt_kernelIlLi16ELi32ELi8ELc84ELc78ELc85ELb0ELb0E19rocblas_complex_numIfES1_PKPKS1_PKPS1_EviT_T9_T10_S9_lSB_S9_lSA_T11_S9_li.num_agpr, 0
	.set _ZL29rocblas_internal_gemmt_kernelIlLi16ELi32ELi8ELc84ELc78ELc85ELb0ELb0E19rocblas_complex_numIfES1_PKPKS1_PKPS1_EviT_T9_T10_S9_lSB_S9_lSA_T11_S9_li.numbered_sgpr, 32
	.set _ZL29rocblas_internal_gemmt_kernelIlLi16ELi32ELi8ELc84ELc78ELc85ELb0ELb0E19rocblas_complex_numIfES1_PKPKS1_PKPS1_EviT_T9_T10_S9_lSB_S9_lSA_T11_S9_li.num_named_barrier, 0
	.set _ZL29rocblas_internal_gemmt_kernelIlLi16ELi32ELi8ELc84ELc78ELc85ELb0ELb0E19rocblas_complex_numIfES1_PKPKS1_PKPS1_EviT_T9_T10_S9_lSB_S9_lSA_T11_S9_li.private_seg_size, 0
	.set _ZL29rocblas_internal_gemmt_kernelIlLi16ELi32ELi8ELc84ELc78ELc85ELb0ELb0E19rocblas_complex_numIfES1_PKPKS1_PKPS1_EviT_T9_T10_S9_lSB_S9_lSA_T11_S9_li.uses_vcc, 1
	.set _ZL29rocblas_internal_gemmt_kernelIlLi16ELi32ELi8ELc84ELc78ELc85ELb0ELb0E19rocblas_complex_numIfES1_PKPKS1_PKPS1_EviT_T9_T10_S9_lSB_S9_lSA_T11_S9_li.uses_flat_scratch, 0
	.set _ZL29rocblas_internal_gemmt_kernelIlLi16ELi32ELi8ELc84ELc78ELc85ELb0ELb0E19rocblas_complex_numIfES1_PKPKS1_PKPS1_EviT_T9_T10_S9_lSB_S9_lSA_T11_S9_li.has_dyn_sized_stack, 0
	.set _ZL29rocblas_internal_gemmt_kernelIlLi16ELi32ELi8ELc84ELc78ELc85ELb0ELb0E19rocblas_complex_numIfES1_PKPKS1_PKPS1_EviT_T9_T10_S9_lSB_S9_lSA_T11_S9_li.has_recursion, 0
	.set _ZL29rocblas_internal_gemmt_kernelIlLi16ELi32ELi8ELc84ELc78ELc85ELb0ELb0E19rocblas_complex_numIfES1_PKPKS1_PKPS1_EviT_T9_T10_S9_lSB_S9_lSA_T11_S9_li.has_indirect_call, 0
	.section	.AMDGPU.csdata,"",@progbits
; Kernel info:
; codeLenInByte = 2656
; TotalNumSgprs: 34
; NumVgprs: 61
; ScratchSize: 0
; MemoryBound: 0
; FloatMode: 240
; IeeeMode: 1
; LDSByteSize: 4096 bytes/workgroup (compile time only)
; SGPRBlocks: 0
; VGPRBlocks: 7
; NumSGPRsForWavesPerEU: 34
; NumVGPRsForWavesPerEU: 61
; Occupancy: 16
; WaveLimiterHint : 1
; COMPUTE_PGM_RSRC2:SCRATCH_EN: 0
; COMPUTE_PGM_RSRC2:USER_SGPR: 6
; COMPUTE_PGM_RSRC2:TRAP_HANDLER: 0
; COMPUTE_PGM_RSRC2:TGID_X_EN: 1
; COMPUTE_PGM_RSRC2:TGID_Y_EN: 1
; COMPUTE_PGM_RSRC2:TGID_Z_EN: 1
; COMPUTE_PGM_RSRC2:TIDIG_COMP_CNT: 1
	.section	.text._ZL29rocblas_internal_gemmt_kernelIlLi16ELi32ELi8ELc84ELc84ELc85ELb0ELb0E19rocblas_complex_numIfES1_PKPKS1_PKPS1_EviT_T9_T10_S9_lSB_S9_lSA_T11_S9_li,"axG",@progbits,_ZL29rocblas_internal_gemmt_kernelIlLi16ELi32ELi8ELc84ELc84ELc85ELb0ELb0E19rocblas_complex_numIfES1_PKPKS1_PKPS1_EviT_T9_T10_S9_lSB_S9_lSA_T11_S9_li,comdat
	.globl	_ZL29rocblas_internal_gemmt_kernelIlLi16ELi32ELi8ELc84ELc84ELc85ELb0ELb0E19rocblas_complex_numIfES1_PKPKS1_PKPS1_EviT_T9_T10_S9_lSB_S9_lSA_T11_S9_li ; -- Begin function _ZL29rocblas_internal_gemmt_kernelIlLi16ELi32ELi8ELc84ELc84ELc85ELb0ELb0E19rocblas_complex_numIfES1_PKPKS1_PKPS1_EviT_T9_T10_S9_lSB_S9_lSA_T11_S9_li
	.p2align	8
	.type	_ZL29rocblas_internal_gemmt_kernelIlLi16ELi32ELi8ELc84ELc84ELc85ELb0ELb0E19rocblas_complex_numIfES1_PKPKS1_PKPS1_EviT_T9_T10_S9_lSB_S9_lSA_T11_S9_li,@function
_ZL29rocblas_internal_gemmt_kernelIlLi16ELi32ELi8ELc84ELc84ELc85ELb0ELb0E19rocblas_complex_numIfES1_PKPKS1_PKPS1_EviT_T9_T10_S9_lSB_S9_lSA_T11_S9_li: ; @_ZL29rocblas_internal_gemmt_kernelIlLi16ELi32ELi8ELc84ELc84ELc85ELb0ELb0E19rocblas_complex_numIfES1_PKPKS1_PKPS1_EviT_T9_T10_S9_lSB_S9_lSA_T11_S9_li
; %bb.0:
	s_clause 0x1
	s_load_dwordx2 s[20:21], s[4:5], 0x48
	s_load_dwordx4 s[16:19], s[4:5], 0x8
	s_waitcnt lgkmcnt(0)
	s_and_b32 s0, s21, 0x7fffffff
	v_cmp_eq_f32_e64 s1, s20, 1.0
	s_cmp_eq_u32 s0, 0
	s_mov_b32 s0, 0
	s_cselect_b32 s29, -1, 0
	s_and_b32 s1, s1, s29
	s_andn2_b32 vcc_lo, exec_lo, s1
	s_mov_b32 s1, -1
	s_cbranch_vccnz .LBB526_4
; %bb.1:
	s_cmp_lg_u64 s[16:17], 0
	s_cbranch_scc0 .LBB526_3
; %bb.2:
	v_cmp_neq_f32_e64 s0, s18, 0
	v_cmp_neq_f32_e64 s1, s19, 0
	s_or_b32 s0, s0, s1
.LBB526_3:
	s_mov_b32 s1, s0
.LBB526_4:
	s_and_b32 vcc_lo, exec_lo, s1
	s_cbranch_vccz .LBB526_34
; %bb.5:
	s_clause 0x1
	s_load_dwordx4 s[0:3], s[4:5], 0x50
	s_load_dword s28, s[4:5], 0x0
	s_mov_b32 s9, 0
	s_load_dwordx2 s[22:23], s[4:5], 0x60
	s_lshl_b64 s[26:27], s[8:9], 3
	v_cmp_eq_f32_e64 s8, s18, 0
	v_cmp_eq_f32_e64 s9, s19, 0
	v_mov_b32_e32 v23, 0
	v_mov_b32_e32 v22, 0
	;; [unrolled: 1-line block ×8, first 2 shown]
	s_waitcnt lgkmcnt(0)
	s_add_u32 s0, s0, s26
	s_addc_u32 s1, s1, s27
	s_lshl_b32 s30, s6, 5
	s_load_dwordx2 s[24:25], s[0:1], 0x0
	v_cmp_lt_i64_e64 s0, s[16:17], 1
	s_and_b32 s1, s8, s9
	s_lshl_b32 s31, s7, 5
	s_or_b32 s0, s1, s0
	s_and_b32 vcc_lo, exec_lo, s0
	s_cbranch_vccnz .LBB526_18
; %bb.6:
	s_clause 0x1
	s_load_dwordx8 s[8:15], s[4:5], 0x18
	s_load_dwordx4 s[4:7], s[4:5], 0x38
	v_lshl_add_u32 v2, v1, 4, v0
	v_and_b32_e32 v6, 7, v0
	v_lshlrev_b32_e32 v7, 3, v0
	v_lshl_add_u32 v8, v1, 6, 0x800
	v_mov_b32_e32 v3, 0
	v_and_b32_e32 v5, 31, v2
	v_lshrrev_b32_e32 v10, 3, v2
	v_lshlrev_b32_e32 v11, 3, v6
	v_lshrrev_b32_e32 v9, 5, v2
	v_mov_b32_e32 v17, 0
	v_or_b32_e32 v14, s30, v5
	v_add_nc_u32_e32 v4, s31, v10
	v_lshl_or_b32 v11, v10, 6, v11
	v_lshlrev_b32_e32 v2, 3, v5
	v_mov_b32_e32 v16, 0
	v_mov_b32_e32 v19, 0
	v_ashrrev_i32_e32 v5, 31, v4
	v_cmp_gt_i32_e32 vcc_lo, s28, v4
	s_waitcnt lgkmcnt(0)
	s_add_u32 s0, s14, s26
	s_addc_u32 s1, s15, s27
	s_lshl_b64 s[6:7], s[6:7], 3
	s_load_dwordx2 s[0:1], s[0:1], 0x0
	v_mul_lo_u32 v10, s11, v14
	v_mad_u64_u32 v[12:13], null, s10, v14, 0
	v_mov_b32_e32 v18, 0
	v_mov_b32_e32 v21, 0
	;; [unrolled: 1-line block ×4, first 2 shown]
	v_add_nc_u32_e32 v11, 0x800, v11
	v_mov_b32_e32 v23, 0
	s_waitcnt lgkmcnt(0)
	s_add_u32 s14, s0, s6
	s_addc_u32 s15, s1, s7
	s_add_u32 s0, s8, s26
	s_addc_u32 s1, s9, s27
	s_lshl_b64 s[6:7], s[12:13], 3
	s_load_dwordx2 s[0:1], s[0:1], 0x0
	v_cmp_le_i32_e64 s8, s28, v14
	s_waitcnt lgkmcnt(0)
	s_add_u32 s6, s0, s6
	s_addc_u32 s7, s1, s7
	s_ashr_i32 s1, s30, 31
	v_cmp_gt_i32_e64 s0, s28, v14
	s_mul_i32 s1, s10, s1
	v_lshlrev_b64 v[14:15], 3, v[4:5]
	v_add3_u32 v13, v13, s1, v10
	v_lshl_or_b32 v10, v9, 8, v2
	v_lshlrev_b64 v[4:5], 3, v[12:13]
	v_add_co_u32 v12, s1, s14, v14
	v_add_co_ci_u32_e64 v13, null, s15, v15, s1
	v_add_co_u32 v14, s1, s6, v4
	v_add_co_ci_u32_e64 v15, null, s7, v5, s1
	s_mov_b64 s[6:7], 0
	s_xor_b32 s1, vcc_lo, -1
                                        ; implicit-def: $vgpr4_vgpr5
	s_branch .LBB526_8
.LBB526_7:                              ;   in Loop: Header=BB526_8 Depth=1
	s_or_b32 exec_lo, exec_lo, s9
	s_waitcnt lgkmcnt(0)
	s_barrier
	buffer_gl0_inv
	ds_read_b128 v[24:27], v8
	ds_read2_b64 v[28:31], v7 offset1:16
	ds_read_b128 v[32:35], v8 offset:1024
	ds_read_b128 v[36:39], v8 offset:16
	;; [unrolled: 1-line block ×4, first 2 shown]
	ds_read2_b64 v[48:51], v7 offset0:32 offset1:48
	ds_read_b128 v[52:55], v8 offset:1040
	s_add_u32 s6, s6, 8
	s_addc_u32 s7, s7, 0
	v_cmp_gt_i64_e64 s9, s[16:17], s[6:7]
	s_and_b32 vcc_lo, exec_lo, s9
	s_waitcnt lgkmcnt(6)
	v_mul_f32_e32 v2, v25, v29
	v_mul_f32_e32 v56, v24, v29
	;; [unrolled: 1-line block ×4, first 2 shown]
	s_waitcnt lgkmcnt(5)
	v_mul_f32_e32 v59, v33, v29
	v_mul_f32_e32 v29, v32, v29
	;; [unrolled: 1-line block ×3, first 2 shown]
	v_fma_f32 v2, v24, v28, -v2
	v_fmac_f32_e32 v56, v25, v28
	v_fma_f32 v24, v24, v30, -v57
	v_fmac_f32_e32 v58, v25, v30
	;; [unrolled: 2-line block ×3, first 2 shown]
	v_mul_f32_e32 v31, v32, v31
	v_fma_f32 v28, v32, v30, -v60
	v_add_f32_e32 v2, v23, v2
	v_add_f32_e32 v23, v20, v24
	;; [unrolled: 1-line block ×5, first 2 shown]
	s_waitcnt lgkmcnt(1)
	v_mul_f32_e32 v32, v27, v49
	ds_read2_b64 v[18:21], v7 offset0:64 offset1:80
	v_fmac_f32_e32 v31, v33, v30
	v_add_f32_e32 v16, v16, v28
	v_mul_f32_e32 v28, v26, v49
	v_fma_f32 v30, v26, v48, -v32
	v_mul_f32_e32 v32, v27, v51
	v_add_f32_e32 v22, v22, v56
	v_add_f32_e32 v17, v17, v31
	v_fmac_f32_e32 v28, v27, v48
	v_mul_f32_e32 v31, v26, v51
	v_add_f32_e32 v2, v2, v30
	v_fma_f32 v26, v26, v50, -v32
	v_mul_f32_e32 v30, v35, v49
	v_add_f32_e32 v28, v22, v28
	v_fmac_f32_e32 v31, v27, v50
	v_mul_f32_e32 v22, v34, v49
	v_add_f32_e32 v26, v23, v26
	v_fma_f32 v23, v34, v48, -v30
	v_mul_f32_e32 v27, v35, v51
	v_add_f32_e32 v30, v24, v31
	v_fmac_f32_e32 v22, v35, v48
	v_mul_f32_e32 v31, v34, v51
	v_add_f32_e32 v32, v25, v23
	v_fma_f32 v23, v34, v50, -v27
	s_waitcnt lgkmcnt(0)
	v_mul_f32_e32 v24, v37, v19
	v_add_f32_e32 v27, v29, v22
	v_fmac_f32_e32 v31, v35, v50
	v_mul_f32_e32 v29, v36, v19
	v_add_f32_e32 v16, v16, v23
	v_fma_f32 v33, v36, v18, -v24
	v_mul_f32_e32 v34, v37, v21
	ds_read2_b64 v[22:25], v7 offset0:96 offset1:112
	v_fmac_f32_e32 v29, v37, v18
	v_add_f32_e32 v31, v17, v31
	v_add_f32_e32 v2, v2, v33
	v_mul_f32_e32 v17, v36, v21
	v_fma_f32 v33, v36, v20, -v34
	v_add_f32_e32 v28, v28, v29
	v_mul_f32_e32 v29, v53, v19
	v_mul_f32_e32 v19, v52, v19
	v_fmac_f32_e32 v17, v37, v20
	v_add_f32_e32 v26, v26, v33
	v_mul_f32_e32 v33, v53, v21
	v_mul_f32_e32 v21, v52, v21
	v_fmac_f32_e32 v19, v53, v18
	v_add_f32_e32 v30, v30, v17
	v_fma_f32 v29, v52, v18, -v29
	v_fma_f32 v17, v52, v20, -v33
	v_fmac_f32_e32 v21, v53, v20
	v_add_f32_e32 v33, v27, v19
	s_waitcnt lgkmcnt(0)
	v_mul_f32_e32 v20, v39, v23
	v_add_f32_e32 v34, v16, v17
	ds_read2_b64 v[16:19], v7 offset0:128 offset1:144
	v_add_f32_e32 v32, v32, v29
	v_mul_f32_e32 v27, v38, v23
	v_mul_f32_e32 v29, v39, v25
	v_fma_f32 v20, v38, v22, -v20
	v_add_f32_e32 v31, v31, v21
	v_mul_f32_e32 v21, v38, v25
	v_fmac_f32_e32 v27, v39, v22
	v_fma_f32 v29, v38, v24, -v29
	v_add_f32_e32 v2, v2, v20
	v_mul_f32_e32 v20, v55, v23
	v_fmac_f32_e32 v21, v39, v24
	v_add_f32_e32 v35, v28, v27
	v_add_f32_e32 v36, v26, v29
	v_mul_f32_e32 v23, v54, v23
	v_fma_f32 v20, v54, v22, -v20
	v_mul_f32_e32 v37, v55, v25
	ds_read_b128 v[26:29], v8 offset:1056
	v_add_f32_e32 v38, v30, v21
	v_fmac_f32_e32 v23, v55, v22
	v_mul_f32_e32 v25, v54, v25
	v_fma_f32 v21, v54, v24, -v37
	v_add_f32_e32 v37, v32, v20
	s_waitcnt lgkmcnt(1)
	v_mul_f32_e32 v20, v41, v17
	v_add_f32_e32 v39, v33, v23
	v_fmac_f32_e32 v25, v55, v24
	v_add_f32_e32 v24, v34, v21
	v_mul_f32_e32 v32, v41, v19
	v_fma_f32 v30, v40, v16, -v20
	ds_read2_b64 v[20:23], v7 offset0:160 offset1:176
	v_mul_f32_e32 v34, v40, v17
	v_add_f32_e32 v25, v31, v25
	v_fma_f32 v48, v40, v18, -v32
	v_mul_f32_e32 v40, v40, v19
	v_add_f32_e32 v2, v2, v30
	v_fmac_f32_e32 v34, v41, v16
	ds_read_b128 v[30:33], v8 offset:1072
	s_waitcnt lgkmcnt(2)
	v_mul_f32_e32 v49, v27, v17
	v_mul_f32_e32 v17, v26, v17
	v_fmac_f32_e32 v40, v41, v18
	v_mul_f32_e32 v41, v27, v19
	v_add_f32_e32 v34, v35, v34
	v_add_f32_e32 v35, v36, v48
	v_fma_f32 v36, v26, v16, -v49
	v_fmac_f32_e32 v17, v27, v16
	v_add_f32_e32 v38, v38, v40
	v_mul_f32_e32 v40, v26, v19
	v_fma_f32 v16, v26, v18, -v41
	v_add_f32_e32 v36, v37, v36
	v_add_f32_e32 v26, v39, v17
	s_waitcnt lgkmcnt(1)
	v_mul_f32_e32 v37, v43, v21
	v_fmac_f32_e32 v40, v27, v18
	v_add_f32_e32 v24, v24, v16
	ds_read2_b64 v[16:19], v7 offset0:192 offset1:208
	v_mul_f32_e32 v27, v42, v21
	v_fma_f32 v37, v42, v20, -v37
	v_mul_f32_e32 v39, v43, v23
	v_add_f32_e32 v40, v25, v40
	v_mul_f32_e32 v25, v42, v23
	v_fmac_f32_e32 v27, v43, v20
	v_add_f32_e32 v2, v2, v37
	v_fma_f32 v37, v42, v22, -v39
	v_fmac_f32_e32 v25, v43, v22
	v_add_f32_e32 v34, v34, v27
	v_mul_f32_e32 v27, v29, v21
	v_mul_f32_e32 v21, v28, v21
	v_add_f32_e32 v35, v35, v37
	v_mul_f32_e32 v37, v29, v23
	v_add_f32_e32 v38, v38, v25
	v_fma_f32 v27, v28, v20, -v27
	v_fmac_f32_e32 v21, v29, v20
	v_mul_f32_e32 v20, v28, v23
	v_fma_f32 v23, v28, v22, -v37
	s_waitcnt lgkmcnt(0)
	v_mul_f32_e32 v25, v45, v17
	v_add_f32_e32 v28, v36, v27
	v_add_f32_e32 v21, v26, v21
	v_fmac_f32_e32 v20, v29, v22
	v_add_f32_e32 v22, v24, v23
	v_fma_f32 v29, v44, v16, -v25
	ds_read2_b64 v[24:27], v7 offset0:224 offset1:240
	v_mul_f32_e32 v23, v44, v17
	v_mul_f32_e32 v37, v31, v17
	;; [unrolled: 1-line block ×4, first 2 shown]
	v_add_f32_e32 v2, v2, v29
	v_fmac_f32_e32 v23, v45, v16
	v_mul_f32_e32 v29, v44, v19
	v_fmac_f32_e32 v17, v31, v16
	v_fma_f32 v36, v44, v18, -v36
	v_add_f32_e32 v20, v40, v20
	v_add_f32_e32 v34, v34, v23
	v_fma_f32 v23, v30, v16, -v37
	v_mul_f32_e32 v16, v31, v19
	v_mul_f32_e32 v19, v30, v19
	v_fmac_f32_e32 v29, v45, v18
	v_add_f32_e32 v17, v21, v17
	v_add_f32_e32 v35, v35, v36
	v_fma_f32 v16, v30, v18, -v16
	v_fmac_f32_e32 v19, v31, v18
	s_waitcnt lgkmcnt(0)
	v_mul_f32_e32 v21, v47, v25
	v_mul_f32_e32 v18, v47, v27
	v_add_f32_e32 v28, v28, v23
	v_mul_f32_e32 v30, v46, v25
	v_mul_f32_e32 v31, v46, v27
	v_fma_f32 v21, v46, v24, -v21
	v_fma_f32 v18, v46, v26, -v18
	v_add_f32_e32 v36, v20, v19
	v_mul_f32_e32 v19, v32, v25
	v_add_f32_e32 v29, v38, v29
	v_add_f32_e32 v23, v2, v21
	;; [unrolled: 1-line block ×3, first 2 shown]
	v_mul_f32_e32 v2, v33, v25
	v_mul_f32_e32 v18, v33, v27
	;; [unrolled: 1-line block ×3, first 2 shown]
	v_add_f32_e32 v16, v22, v16
	v_fmac_f32_e32 v30, v47, v24
	v_fmac_f32_e32 v31, v47, v26
	v_fma_f32 v2, v32, v24, -v2
	v_fmac_f32_e32 v19, v33, v24
	v_fma_f32 v24, v32, v26, -v18
	v_fmac_f32_e32 v25, v33, v26
	v_add_f32_e32 v22, v34, v30
	v_add_f32_e32 v21, v29, v31
	;; [unrolled: 1-line block ×6, first 2 shown]
	s_barrier
	buffer_gl0_inv
	s_cbranch_vccz .LBB526_18
.LBB526_8:                              ; =>This Inner Loop Header: Depth=1
	s_mov_b32 s11, s8
	s_mov_b32 s9, 0
	s_and_saveexec_b32 s10, s0
	s_cbranch_execnz .LBB526_16
; %bb.9:                                ;   in Loop: Header=BB526_8 Depth=1
	s_or_b32 exec_lo, exec_lo, s10
	s_and_saveexec_b32 s10, s11
	s_xor_b32 s10, exec_lo, s10
	s_cbranch_execnz .LBB526_17
.LBB526_10:                             ;   in Loop: Header=BB526_8 Depth=1
	s_or_b32 exec_lo, exec_lo, s10
	s_and_saveexec_b32 s10, s9
	s_cbranch_execz .LBB526_12
.LBB526_11:                             ;   in Loop: Header=BB526_8 Depth=1
	v_lshlrev_b64 v[24:25], 3, v[4:5]
	v_add_co_u32 v24, vcc_lo, v14, v24
	v_add_co_ci_u32_e64 v25, null, v15, v25, vcc_lo
	flat_load_dwordx2 v[24:25], v[24:25]
	s_waitcnt vmcnt(0) lgkmcnt(0)
	ds_write_b64 v10, v[24:25]
.LBB526_12:                             ;   in Loop: Header=BB526_8 Depth=1
	s_or_b32 exec_lo, exec_lo, s10
	v_add_nc_u32_e32 v2, s6, v6
	v_cmp_le_u64_e32 vcc_lo, s[16:17], v[2:3]
	s_or_b32 s9, vcc_lo, s1
	s_and_saveexec_b32 s10, s9
	s_xor_b32 s9, exec_lo, s10
; %bb.13:                               ;   in Loop: Header=BB526_8 Depth=1
	v_mov_b32_e32 v2, v3
	ds_write_b64 v11, v[2:3]
; %bb.14:                               ;   in Loop: Header=BB526_8 Depth=1
	s_andn2_saveexec_b32 s9, s9
	s_cbranch_execz .LBB526_7
; %bb.15:                               ;   in Loop: Header=BB526_8 Depth=1
	v_mad_u64_u32 v[24:25], null, s4, v2, 0
	v_mad_u64_u32 v[25:26], null, s5, v2, v[25:26]
	v_lshlrev_b64 v[24:25], 3, v[24:25]
	v_add_co_u32 v24, vcc_lo, v12, v24
	v_add_co_ci_u32_e64 v25, null, v13, v25, vcc_lo
	flat_load_dwordx2 v[24:25], v[24:25]
	s_waitcnt vmcnt(0) lgkmcnt(0)
	ds_write_b64 v11, v[24:25]
	s_branch .LBB526_7
.LBB526_16:                             ;   in Loop: Header=BB526_8 Depth=1
	v_add_nc_u32_e32 v2, s6, v9
	v_mov_b32_e32 v5, v3
	s_andn2_b32 s11, s8, exec_lo
	s_mov_b32 s9, exec_lo
	v_cmp_le_u64_e32 vcc_lo, s[16:17], v[2:3]
	v_mov_b32_e32 v4, v2
	s_and_b32 s12, vcc_lo, exec_lo
	s_or_b32 s11, s11, s12
	s_or_b32 exec_lo, exec_lo, s10
	s_and_saveexec_b32 s10, s11
	s_xor_b32 s10, exec_lo, s10
	s_cbranch_execz .LBB526_10
.LBB526_17:                             ;   in Loop: Header=BB526_8 Depth=1
	v_mov_b32_e32 v2, v3
	s_andn2_b32 s9, s9, exec_lo
	ds_write_b64 v10, v[2:3]
	s_or_b32 exec_lo, exec_lo, s10
	s_and_saveexec_b32 s10, s9
	s_cbranch_execnz .LBB526_11
	s_branch .LBB526_12
.LBB526_18:
	v_add_nc_u32_e32 v9, s31, v1
	s_lshl_b64 s[0:1], s[22:23], 3
	v_add_nc_u32_e32 v0, s30, v0
	v_cmp_neq_f32_e64 s6, s20, 0
	s_waitcnt lgkmcnt(0)
	s_add_u32 s4, s24, s0
	v_ashrrev_i32_e32 v3, 31, v9
	v_mul_lo_u32 v4, s3, v9
	v_mad_u64_u32 v[1:2], null, s2, v9, 0
	s_addc_u32 s5, s25, s1
	v_mul_lo_u32 v3, s2, v3
	s_xor_b32 s7, s29, -1
	v_cmp_gt_i32_e64 s0, s28, v9
	v_cmp_le_i32_e32 vcc_lo, v0, v9
	s_or_b32 s6, s6, s7
	v_cndmask_b32_e64 v8, 0, 1, s6
	s_and_b32 s7, s0, vcc_lo
	v_add3_u32 v2, v2, v3, v4
	v_lshlrev_b64 v[2:3], 3, v[1:2]
	v_ashrrev_i32_e32 v1, 31, v0
	v_add_co_u32 v6, s1, s4, v2
	v_add_co_ci_u32_e64 v7, null, s5, v3, s1
	s_and_saveexec_b32 s1, s7
	s_cbranch_execz .LBB526_22
; %bb.19:
	v_lshlrev_b64 v[4:5], 3, v[0:1]
	v_mul_f32_e32 v2, s19, v22
	v_mul_f32_e32 v3, s18, v22
	v_fma_f32 v2, v23, s18, -v2
	v_add_co_u32 v4, vcc_lo, v6, v4
	v_fmac_f32_e32 v3, s19, v23
	v_add_co_ci_u32_e64 v5, null, v7, v5, vcc_lo
	s_andn2_b32 vcc_lo, exec_lo, s6
	s_cbranch_vccnz .LBB526_21
; %bb.20:
	flat_load_dwordx2 v[10:11], v[4:5]
	s_waitcnt vmcnt(0) lgkmcnt(0)
	v_mul_f32_e32 v12, s21, v11
	v_mul_f32_e32 v11, s20, v11
	v_fma_f32 v12, v10, s20, -v12
	v_fmac_f32_e32 v11, s21, v10
	v_add_f32_e32 v2, v2, v12
	v_add_f32_e32 v3, v3, v11
.LBB526_21:
	flat_store_dwordx2 v[4:5], v[2:3]
.LBB526_22:
	s_or_b32 exec_lo, exec_lo, s1
	v_add_nc_u32_e32 v2, 16, v0
	v_cmp_le_i32_e32 vcc_lo, v2, v9
	v_ashrrev_i32_e32 v3, 31, v2
	s_and_b32 s0, s0, vcc_lo
	s_and_saveexec_b32 s1, s0
	s_cbranch_execz .LBB526_26
; %bb.23:
	v_lshlrev_b64 v[10:11], 3, v[2:3]
	v_mul_f32_e32 v4, s19, v21
	v_mul_f32_e32 v5, s18, v21
	v_cmp_ne_u32_e32 vcc_lo, 1, v8
	v_fma_f32 v4, v20, s18, -v4
	v_add_co_u32 v6, s0, v6, v10
	v_fmac_f32_e32 v5, s19, v20
	v_add_co_ci_u32_e64 v7, null, v7, v11, s0
	s_cbranch_vccnz .LBB526_25
; %bb.24:
	flat_load_dwordx2 v[10:11], v[6:7]
	s_waitcnt vmcnt(0) lgkmcnt(0)
	v_mul_f32_e32 v12, s21, v11
	v_mul_f32_e32 v11, s20, v11
	v_fma_f32 v12, v10, s20, -v12
	v_fmac_f32_e32 v11, s21, v10
	v_add_f32_e32 v4, v4, v12
	v_add_f32_e32 v5, v5, v11
.LBB526_25:
	flat_store_dwordx2 v[6:7], v[4:5]
.LBB526_26:
	s_or_b32 exec_lo, exec_lo, s1
	v_add_nc_u32_e32 v9, 16, v9
	v_ashrrev_i32_e32 v6, 31, v9
	v_mul_lo_u32 v7, s3, v9
	v_mad_u64_u32 v[4:5], null, s2, v9, 0
	v_cmp_gt_i32_e64 s0, s28, v9
	v_mul_lo_u32 v6, s2, v6
	v_cmp_le_i32_e32 vcc_lo, v0, v9
	v_add3_u32 v5, v5, v6, v7
	v_lshlrev_b64 v[4:5], 3, v[4:5]
	v_add_co_u32 v6, s1, s4, v4
	v_add_co_ci_u32_e64 v7, null, s5, v5, s1
	s_and_b32 s1, s0, vcc_lo
	s_and_saveexec_b32 s2, s1
	s_cbranch_execz .LBB526_30
; %bb.27:
	v_lshlrev_b64 v[0:1], 3, v[0:1]
	v_mul_f32_e32 v4, s19, v19
	v_mul_f32_e32 v5, s18, v19
	v_cmp_ne_u32_e32 vcc_lo, 1, v8
	v_fma_f32 v4, v18, s18, -v4
	v_add_co_u32 v0, s1, v6, v0
	v_fmac_f32_e32 v5, s19, v18
	v_add_co_ci_u32_e64 v1, null, v7, v1, s1
	s_cbranch_vccnz .LBB526_29
; %bb.28:
	flat_load_dwordx2 v[10:11], v[0:1]
	s_waitcnt vmcnt(0) lgkmcnt(0)
	v_mul_f32_e32 v12, s21, v11
	v_mul_f32_e32 v11, s20, v11
	v_fma_f32 v12, v10, s20, -v12
	v_fmac_f32_e32 v11, s21, v10
	v_add_f32_e32 v4, v4, v12
	v_add_f32_e32 v5, v5, v11
.LBB526_29:
	flat_store_dwordx2 v[0:1], v[4:5]
.LBB526_30:
	s_or_b32 exec_lo, exec_lo, s2
	v_cmp_le_i32_e32 vcc_lo, v2, v9
	s_and_b32 s0, s0, vcc_lo
	s_and_saveexec_b32 s1, s0
	s_cbranch_execz .LBB526_34
; %bb.31:
	v_lshlrev_b64 v[2:3], 3, v[2:3]
	v_mul_f32_e32 v0, s19, v17
	v_mul_f32_e32 v1, s18, v17
	v_cmp_ne_u32_e32 vcc_lo, 1, v8
	v_fma_f32 v0, v16, s18, -v0
	v_add_co_u32 v2, s0, v6, v2
	v_fmac_f32_e32 v1, s19, v16
	v_add_co_ci_u32_e64 v3, null, v7, v3, s0
	s_cbranch_vccnz .LBB526_33
; %bb.32:
	flat_load_dwordx2 v[4:5], v[2:3]
	s_waitcnt vmcnt(0) lgkmcnt(0)
	v_mul_f32_e32 v6, s21, v5
	v_mul_f32_e32 v5, s20, v5
	v_fma_f32 v6, v4, s20, -v6
	v_fmac_f32_e32 v5, s21, v4
	v_add_f32_e32 v0, v0, v6
	v_add_f32_e32 v1, v1, v5
.LBB526_33:
	flat_store_dwordx2 v[2:3], v[0:1]
.LBB526_34:
	s_endpgm
	.section	.rodata,"a",@progbits
	.p2align	6, 0x0
	.amdhsa_kernel _ZL29rocblas_internal_gemmt_kernelIlLi16ELi32ELi8ELc84ELc84ELc85ELb0ELb0E19rocblas_complex_numIfES1_PKPKS1_PKPS1_EviT_T9_T10_S9_lSB_S9_lSA_T11_S9_li
		.amdhsa_group_segment_fixed_size 4096
		.amdhsa_private_segment_fixed_size 0
		.amdhsa_kernarg_size 108
		.amdhsa_user_sgpr_count 6
		.amdhsa_user_sgpr_private_segment_buffer 1
		.amdhsa_user_sgpr_dispatch_ptr 0
		.amdhsa_user_sgpr_queue_ptr 0
		.amdhsa_user_sgpr_kernarg_segment_ptr 1
		.amdhsa_user_sgpr_dispatch_id 0
		.amdhsa_user_sgpr_flat_scratch_init 0
		.amdhsa_user_sgpr_private_segment_size 0
		.amdhsa_wavefront_size32 1
		.amdhsa_uses_dynamic_stack 0
		.amdhsa_system_sgpr_private_segment_wavefront_offset 0
		.amdhsa_system_sgpr_workgroup_id_x 1
		.amdhsa_system_sgpr_workgroup_id_y 1
		.amdhsa_system_sgpr_workgroup_id_z 1
		.amdhsa_system_sgpr_workgroup_info 0
		.amdhsa_system_vgpr_workitem_id 1
		.amdhsa_next_free_vgpr 61
		.amdhsa_next_free_sgpr 32
		.amdhsa_reserve_vcc 1
		.amdhsa_reserve_flat_scratch 0
		.amdhsa_float_round_mode_32 0
		.amdhsa_float_round_mode_16_64 0
		.amdhsa_float_denorm_mode_32 3
		.amdhsa_float_denorm_mode_16_64 3
		.amdhsa_dx10_clamp 1
		.amdhsa_ieee_mode 1
		.amdhsa_fp16_overflow 0
		.amdhsa_workgroup_processor_mode 1
		.amdhsa_memory_ordered 1
		.amdhsa_forward_progress 1
		.amdhsa_shared_vgpr_count 0
		.amdhsa_exception_fp_ieee_invalid_op 0
		.amdhsa_exception_fp_denorm_src 0
		.amdhsa_exception_fp_ieee_div_zero 0
		.amdhsa_exception_fp_ieee_overflow 0
		.amdhsa_exception_fp_ieee_underflow 0
		.amdhsa_exception_fp_ieee_inexact 0
		.amdhsa_exception_int_div_zero 0
	.end_amdhsa_kernel
	.section	.text._ZL29rocblas_internal_gemmt_kernelIlLi16ELi32ELi8ELc84ELc84ELc85ELb0ELb0E19rocblas_complex_numIfES1_PKPKS1_PKPS1_EviT_T9_T10_S9_lSB_S9_lSA_T11_S9_li,"axG",@progbits,_ZL29rocblas_internal_gemmt_kernelIlLi16ELi32ELi8ELc84ELc84ELc85ELb0ELb0E19rocblas_complex_numIfES1_PKPKS1_PKPS1_EviT_T9_T10_S9_lSB_S9_lSA_T11_S9_li,comdat
.Lfunc_end526:
	.size	_ZL29rocblas_internal_gemmt_kernelIlLi16ELi32ELi8ELc84ELc84ELc85ELb0ELb0E19rocblas_complex_numIfES1_PKPKS1_PKPS1_EviT_T9_T10_S9_lSB_S9_lSA_T11_S9_li, .Lfunc_end526-_ZL29rocblas_internal_gemmt_kernelIlLi16ELi32ELi8ELc84ELc84ELc85ELb0ELb0E19rocblas_complex_numIfES1_PKPKS1_PKPS1_EviT_T9_T10_S9_lSB_S9_lSA_T11_S9_li
                                        ; -- End function
	.set _ZL29rocblas_internal_gemmt_kernelIlLi16ELi32ELi8ELc84ELc84ELc85ELb0ELb0E19rocblas_complex_numIfES1_PKPKS1_PKPS1_EviT_T9_T10_S9_lSB_S9_lSA_T11_S9_li.num_vgpr, 61
	.set _ZL29rocblas_internal_gemmt_kernelIlLi16ELi32ELi8ELc84ELc84ELc85ELb0ELb0E19rocblas_complex_numIfES1_PKPKS1_PKPS1_EviT_T9_T10_S9_lSB_S9_lSA_T11_S9_li.num_agpr, 0
	.set _ZL29rocblas_internal_gemmt_kernelIlLi16ELi32ELi8ELc84ELc84ELc85ELb0ELb0E19rocblas_complex_numIfES1_PKPKS1_PKPS1_EviT_T9_T10_S9_lSB_S9_lSA_T11_S9_li.numbered_sgpr, 32
	.set _ZL29rocblas_internal_gemmt_kernelIlLi16ELi32ELi8ELc84ELc84ELc85ELb0ELb0E19rocblas_complex_numIfES1_PKPKS1_PKPS1_EviT_T9_T10_S9_lSB_S9_lSA_T11_S9_li.num_named_barrier, 0
	.set _ZL29rocblas_internal_gemmt_kernelIlLi16ELi32ELi8ELc84ELc84ELc85ELb0ELb0E19rocblas_complex_numIfES1_PKPKS1_PKPS1_EviT_T9_T10_S9_lSB_S9_lSA_T11_S9_li.private_seg_size, 0
	.set _ZL29rocblas_internal_gemmt_kernelIlLi16ELi32ELi8ELc84ELc84ELc85ELb0ELb0E19rocblas_complex_numIfES1_PKPKS1_PKPS1_EviT_T9_T10_S9_lSB_S9_lSA_T11_S9_li.uses_vcc, 1
	.set _ZL29rocblas_internal_gemmt_kernelIlLi16ELi32ELi8ELc84ELc84ELc85ELb0ELb0E19rocblas_complex_numIfES1_PKPKS1_PKPS1_EviT_T9_T10_S9_lSB_S9_lSA_T11_S9_li.uses_flat_scratch, 0
	.set _ZL29rocblas_internal_gemmt_kernelIlLi16ELi32ELi8ELc84ELc84ELc85ELb0ELb0E19rocblas_complex_numIfES1_PKPKS1_PKPS1_EviT_T9_T10_S9_lSB_S9_lSA_T11_S9_li.has_dyn_sized_stack, 0
	.set _ZL29rocblas_internal_gemmt_kernelIlLi16ELi32ELi8ELc84ELc84ELc85ELb0ELb0E19rocblas_complex_numIfES1_PKPKS1_PKPS1_EviT_T9_T10_S9_lSB_S9_lSA_T11_S9_li.has_recursion, 0
	.set _ZL29rocblas_internal_gemmt_kernelIlLi16ELi32ELi8ELc84ELc84ELc85ELb0ELb0E19rocblas_complex_numIfES1_PKPKS1_PKPS1_EviT_T9_T10_S9_lSB_S9_lSA_T11_S9_li.has_indirect_call, 0
	.section	.AMDGPU.csdata,"",@progbits
; Kernel info:
; codeLenInByte = 2640
; TotalNumSgprs: 34
; NumVgprs: 61
; ScratchSize: 0
; MemoryBound: 0
; FloatMode: 240
; IeeeMode: 1
; LDSByteSize: 4096 bytes/workgroup (compile time only)
; SGPRBlocks: 0
; VGPRBlocks: 7
; NumSGPRsForWavesPerEU: 34
; NumVGPRsForWavesPerEU: 61
; Occupancy: 16
; WaveLimiterHint : 1
; COMPUTE_PGM_RSRC2:SCRATCH_EN: 0
; COMPUTE_PGM_RSRC2:USER_SGPR: 6
; COMPUTE_PGM_RSRC2:TRAP_HANDLER: 0
; COMPUTE_PGM_RSRC2:TGID_X_EN: 1
; COMPUTE_PGM_RSRC2:TGID_Y_EN: 1
; COMPUTE_PGM_RSRC2:TGID_Z_EN: 1
; COMPUTE_PGM_RSRC2:TIDIG_COMP_CNT: 1
	.section	.text._ZL29rocblas_internal_gemmt_kernelIlLi16ELi32ELi8ELc84ELc67ELc85ELb0ELb1E19rocblas_complex_numIfES1_PKPKS1_PKPS1_EviT_T9_T10_S9_lSB_S9_lSA_T11_S9_li,"axG",@progbits,_ZL29rocblas_internal_gemmt_kernelIlLi16ELi32ELi8ELc84ELc67ELc85ELb0ELb1E19rocblas_complex_numIfES1_PKPKS1_PKPS1_EviT_T9_T10_S9_lSB_S9_lSA_T11_S9_li,comdat
	.globl	_ZL29rocblas_internal_gemmt_kernelIlLi16ELi32ELi8ELc84ELc67ELc85ELb0ELb1E19rocblas_complex_numIfES1_PKPKS1_PKPS1_EviT_T9_T10_S9_lSB_S9_lSA_T11_S9_li ; -- Begin function _ZL29rocblas_internal_gemmt_kernelIlLi16ELi32ELi8ELc84ELc67ELc85ELb0ELb1E19rocblas_complex_numIfES1_PKPKS1_PKPS1_EviT_T9_T10_S9_lSB_S9_lSA_T11_S9_li
	.p2align	8
	.type	_ZL29rocblas_internal_gemmt_kernelIlLi16ELi32ELi8ELc84ELc67ELc85ELb0ELb1E19rocblas_complex_numIfES1_PKPKS1_PKPS1_EviT_T9_T10_S9_lSB_S9_lSA_T11_S9_li,@function
_ZL29rocblas_internal_gemmt_kernelIlLi16ELi32ELi8ELc84ELc67ELc85ELb0ELb1E19rocblas_complex_numIfES1_PKPKS1_PKPS1_EviT_T9_T10_S9_lSB_S9_lSA_T11_S9_li: ; @_ZL29rocblas_internal_gemmt_kernelIlLi16ELi32ELi8ELc84ELc67ELc85ELb0ELb1E19rocblas_complex_numIfES1_PKPKS1_PKPS1_EviT_T9_T10_S9_lSB_S9_lSA_T11_S9_li
; %bb.0:
	s_clause 0x1
	s_load_dwordx2 s[20:21], s[4:5], 0x48
	s_load_dwordx4 s[16:19], s[4:5], 0x8
	s_waitcnt lgkmcnt(0)
	s_and_b32 s0, s21, 0x7fffffff
	v_cmp_eq_f32_e64 s1, s20, 1.0
	s_cmp_eq_u32 s0, 0
	s_mov_b32 s0, 0
	s_cselect_b32 s29, -1, 0
	s_and_b32 s1, s1, s29
	s_andn2_b32 vcc_lo, exec_lo, s1
	s_mov_b32 s1, -1
	s_cbranch_vccnz .LBB527_4
; %bb.1:
	s_cmp_lg_u64 s[16:17], 0
	s_cbranch_scc0 .LBB527_3
; %bb.2:
	v_cmp_neq_f32_e64 s0, s18, 0
	v_cmp_neq_f32_e64 s1, s19, 0
	s_or_b32 s0, s0, s1
.LBB527_3:
	s_mov_b32 s1, s0
.LBB527_4:
	s_and_b32 vcc_lo, exec_lo, s1
	s_cbranch_vccz .LBB527_34
; %bb.5:
	s_clause 0x1
	s_load_dwordx4 s[0:3], s[4:5], 0x50
	s_load_dword s28, s[4:5], 0x0
	s_mov_b32 s9, 0
	s_load_dwordx2 s[22:23], s[4:5], 0x60
	s_lshl_b64 s[26:27], s[8:9], 3
	v_cmp_eq_f32_e64 s8, s18, 0
	v_cmp_eq_f32_e64 s9, s19, 0
	v_mov_b32_e32 v23, 0
	v_mov_b32_e32 v22, 0
	;; [unrolled: 1-line block ×8, first 2 shown]
	s_waitcnt lgkmcnt(0)
	s_add_u32 s0, s0, s26
	s_addc_u32 s1, s1, s27
	s_lshl_b32 s30, s6, 5
	s_load_dwordx2 s[24:25], s[0:1], 0x0
	v_cmp_lt_i64_e64 s0, s[16:17], 1
	s_and_b32 s1, s8, s9
	s_lshl_b32 s31, s7, 5
	s_or_b32 s0, s1, s0
	s_and_b32 vcc_lo, exec_lo, s0
	s_cbranch_vccnz .LBB527_18
; %bb.6:
	s_clause 0x1
	s_load_dwordx8 s[8:15], s[4:5], 0x18
	s_load_dwordx4 s[4:7], s[4:5], 0x38
	v_lshl_add_u32 v2, v1, 4, v0
	v_and_b32_e32 v6, 7, v0
	v_lshlrev_b32_e32 v7, 3, v0
	v_lshl_add_u32 v8, v1, 6, 0x800
	v_mov_b32_e32 v3, 0
	v_and_b32_e32 v5, 31, v2
	v_lshrrev_b32_e32 v10, 3, v2
	v_lshlrev_b32_e32 v11, 3, v6
	v_lshrrev_b32_e32 v9, 5, v2
	v_mov_b32_e32 v17, 0
	v_or_b32_e32 v14, s30, v5
	v_add_nc_u32_e32 v4, s31, v10
	v_lshl_or_b32 v11, v10, 6, v11
	v_lshlrev_b32_e32 v2, 3, v5
	v_mov_b32_e32 v16, 0
	v_mov_b32_e32 v19, 0
	v_ashrrev_i32_e32 v5, 31, v4
	v_cmp_gt_i32_e32 vcc_lo, s28, v4
	s_waitcnt lgkmcnt(0)
	s_add_u32 s0, s14, s26
	s_addc_u32 s1, s15, s27
	s_lshl_b64 s[6:7], s[6:7], 3
	s_load_dwordx2 s[0:1], s[0:1], 0x0
	v_mul_lo_u32 v10, s11, v14
	v_mad_u64_u32 v[12:13], null, s10, v14, 0
	v_mov_b32_e32 v18, 0
	v_mov_b32_e32 v21, 0
	;; [unrolled: 1-line block ×4, first 2 shown]
	v_add_nc_u32_e32 v11, 0x800, v11
	v_mov_b32_e32 v23, 0
	s_waitcnt lgkmcnt(0)
	s_add_u32 s14, s0, s6
	s_addc_u32 s15, s1, s7
	s_add_u32 s0, s8, s26
	s_addc_u32 s1, s9, s27
	s_lshl_b64 s[6:7], s[12:13], 3
	s_load_dwordx2 s[0:1], s[0:1], 0x0
	v_cmp_le_i32_e64 s8, s28, v14
	s_waitcnt lgkmcnt(0)
	s_add_u32 s6, s0, s6
	s_addc_u32 s7, s1, s7
	s_ashr_i32 s1, s30, 31
	v_cmp_gt_i32_e64 s0, s28, v14
	s_mul_i32 s1, s10, s1
	v_lshlrev_b64 v[14:15], 3, v[4:5]
	v_add3_u32 v13, v13, s1, v10
	v_lshl_or_b32 v10, v9, 8, v2
	v_lshlrev_b64 v[4:5], 3, v[12:13]
	v_add_co_u32 v12, s1, s14, v14
	v_add_co_ci_u32_e64 v13, null, s15, v15, s1
	v_add_co_u32 v14, s1, s6, v4
	v_add_co_ci_u32_e64 v15, null, s7, v5, s1
	s_mov_b64 s[6:7], 0
	s_xor_b32 s1, vcc_lo, -1
                                        ; implicit-def: $vgpr4_vgpr5
	s_branch .LBB527_8
.LBB527_7:                              ;   in Loop: Header=BB527_8 Depth=1
	s_or_b32 exec_lo, exec_lo, s9
	ds_write_b32 v11, v24 offset:4
	s_waitcnt lgkmcnt(0)
	s_barrier
	buffer_gl0_inv
	ds_read_b128 v[24:27], v8
	ds_read2_b64 v[28:31], v7 offset1:16
	ds_read_b128 v[32:35], v8 offset:1024
	ds_read_b128 v[36:39], v8 offset:16
	;; [unrolled: 1-line block ×4, first 2 shown]
	ds_read2_b64 v[48:51], v7 offset0:32 offset1:48
	ds_read_b128 v[52:55], v8 offset:1040
	s_add_u32 s6, s6, 8
	s_addc_u32 s7, s7, 0
	v_cmp_gt_i64_e64 s9, s[16:17], s[6:7]
	s_and_b32 vcc_lo, exec_lo, s9
	s_waitcnt lgkmcnt(6)
	v_mul_f32_e32 v2, v25, v29
	v_mul_f32_e32 v56, v24, v29
	;; [unrolled: 1-line block ×4, first 2 shown]
	s_waitcnt lgkmcnt(5)
	v_mul_f32_e32 v59, v33, v29
	v_mul_f32_e32 v29, v32, v29
	;; [unrolled: 1-line block ×3, first 2 shown]
	v_fma_f32 v2, v24, v28, -v2
	v_fmac_f32_e32 v56, v25, v28
	v_fma_f32 v24, v24, v30, -v57
	v_fmac_f32_e32 v58, v25, v30
	;; [unrolled: 2-line block ×3, first 2 shown]
	v_mul_f32_e32 v31, v32, v31
	v_fma_f32 v28, v32, v30, -v60
	v_add_f32_e32 v2, v23, v2
	v_add_f32_e32 v23, v20, v24
	;; [unrolled: 1-line block ×5, first 2 shown]
	s_waitcnt lgkmcnt(1)
	v_mul_f32_e32 v32, v27, v49
	ds_read2_b64 v[18:21], v7 offset0:64 offset1:80
	v_fmac_f32_e32 v31, v33, v30
	v_add_f32_e32 v16, v16, v28
	v_mul_f32_e32 v28, v26, v49
	v_fma_f32 v30, v26, v48, -v32
	v_mul_f32_e32 v32, v27, v51
	v_add_f32_e32 v22, v22, v56
	v_add_f32_e32 v17, v17, v31
	v_fmac_f32_e32 v28, v27, v48
	v_mul_f32_e32 v31, v26, v51
	v_add_f32_e32 v2, v2, v30
	v_fma_f32 v26, v26, v50, -v32
	v_mul_f32_e32 v30, v35, v49
	v_add_f32_e32 v28, v22, v28
	v_fmac_f32_e32 v31, v27, v50
	v_mul_f32_e32 v22, v34, v49
	v_add_f32_e32 v26, v23, v26
	v_fma_f32 v23, v34, v48, -v30
	v_mul_f32_e32 v27, v35, v51
	v_add_f32_e32 v30, v24, v31
	v_fmac_f32_e32 v22, v35, v48
	v_mul_f32_e32 v31, v34, v51
	v_add_f32_e32 v32, v25, v23
	v_fma_f32 v23, v34, v50, -v27
	s_waitcnt lgkmcnt(0)
	v_mul_f32_e32 v24, v37, v19
	v_add_f32_e32 v27, v29, v22
	v_fmac_f32_e32 v31, v35, v50
	v_mul_f32_e32 v29, v36, v19
	v_add_f32_e32 v16, v16, v23
	v_fma_f32 v33, v36, v18, -v24
	v_mul_f32_e32 v34, v37, v21
	ds_read2_b64 v[22:25], v7 offset0:96 offset1:112
	v_fmac_f32_e32 v29, v37, v18
	v_add_f32_e32 v31, v17, v31
	v_add_f32_e32 v2, v2, v33
	v_mul_f32_e32 v17, v36, v21
	v_fma_f32 v33, v36, v20, -v34
	v_add_f32_e32 v28, v28, v29
	v_mul_f32_e32 v29, v53, v19
	v_mul_f32_e32 v19, v52, v19
	v_fmac_f32_e32 v17, v37, v20
	v_add_f32_e32 v26, v26, v33
	v_mul_f32_e32 v33, v53, v21
	v_mul_f32_e32 v21, v52, v21
	v_fmac_f32_e32 v19, v53, v18
	v_add_f32_e32 v30, v30, v17
	v_fma_f32 v29, v52, v18, -v29
	v_fma_f32 v17, v52, v20, -v33
	v_fmac_f32_e32 v21, v53, v20
	v_add_f32_e32 v33, v27, v19
	s_waitcnt lgkmcnt(0)
	v_mul_f32_e32 v20, v39, v23
	v_add_f32_e32 v34, v16, v17
	ds_read2_b64 v[16:19], v7 offset0:128 offset1:144
	v_add_f32_e32 v32, v32, v29
	v_mul_f32_e32 v27, v38, v23
	v_mul_f32_e32 v29, v39, v25
	v_fma_f32 v20, v38, v22, -v20
	v_add_f32_e32 v31, v31, v21
	v_mul_f32_e32 v21, v38, v25
	v_fmac_f32_e32 v27, v39, v22
	v_fma_f32 v29, v38, v24, -v29
	v_add_f32_e32 v2, v2, v20
	v_mul_f32_e32 v20, v55, v23
	v_fmac_f32_e32 v21, v39, v24
	v_add_f32_e32 v35, v28, v27
	v_add_f32_e32 v36, v26, v29
	v_mul_f32_e32 v23, v54, v23
	v_fma_f32 v20, v54, v22, -v20
	v_mul_f32_e32 v37, v55, v25
	ds_read_b128 v[26:29], v8 offset:1056
	v_add_f32_e32 v38, v30, v21
	v_fmac_f32_e32 v23, v55, v22
	v_mul_f32_e32 v25, v54, v25
	v_fma_f32 v21, v54, v24, -v37
	v_add_f32_e32 v37, v32, v20
	s_waitcnt lgkmcnt(1)
	v_mul_f32_e32 v20, v41, v17
	v_add_f32_e32 v39, v33, v23
	v_fmac_f32_e32 v25, v55, v24
	v_add_f32_e32 v24, v34, v21
	v_mul_f32_e32 v32, v41, v19
	v_fma_f32 v30, v40, v16, -v20
	ds_read2_b64 v[20:23], v7 offset0:160 offset1:176
	v_mul_f32_e32 v34, v40, v17
	v_add_f32_e32 v25, v31, v25
	v_fma_f32 v48, v40, v18, -v32
	v_mul_f32_e32 v40, v40, v19
	v_add_f32_e32 v2, v2, v30
	v_fmac_f32_e32 v34, v41, v16
	ds_read_b128 v[30:33], v8 offset:1072
	s_waitcnt lgkmcnt(2)
	v_mul_f32_e32 v49, v27, v17
	v_mul_f32_e32 v17, v26, v17
	v_fmac_f32_e32 v40, v41, v18
	v_mul_f32_e32 v41, v27, v19
	v_add_f32_e32 v34, v35, v34
	v_add_f32_e32 v35, v36, v48
	v_fma_f32 v36, v26, v16, -v49
	v_fmac_f32_e32 v17, v27, v16
	v_add_f32_e32 v38, v38, v40
	v_mul_f32_e32 v40, v26, v19
	v_fma_f32 v16, v26, v18, -v41
	v_add_f32_e32 v36, v37, v36
	v_add_f32_e32 v26, v39, v17
	s_waitcnt lgkmcnt(1)
	v_mul_f32_e32 v37, v43, v21
	v_fmac_f32_e32 v40, v27, v18
	v_add_f32_e32 v24, v24, v16
	ds_read2_b64 v[16:19], v7 offset0:192 offset1:208
	v_mul_f32_e32 v27, v42, v21
	v_fma_f32 v37, v42, v20, -v37
	v_mul_f32_e32 v39, v43, v23
	v_add_f32_e32 v40, v25, v40
	v_mul_f32_e32 v25, v42, v23
	v_fmac_f32_e32 v27, v43, v20
	v_add_f32_e32 v2, v2, v37
	v_fma_f32 v37, v42, v22, -v39
	v_fmac_f32_e32 v25, v43, v22
	v_add_f32_e32 v34, v34, v27
	v_mul_f32_e32 v27, v29, v21
	v_mul_f32_e32 v21, v28, v21
	v_add_f32_e32 v35, v35, v37
	v_mul_f32_e32 v37, v29, v23
	v_add_f32_e32 v38, v38, v25
	v_fma_f32 v27, v28, v20, -v27
	v_fmac_f32_e32 v21, v29, v20
	v_mul_f32_e32 v20, v28, v23
	v_fma_f32 v23, v28, v22, -v37
	s_waitcnt lgkmcnt(0)
	v_mul_f32_e32 v25, v45, v17
	v_add_f32_e32 v28, v36, v27
	v_add_f32_e32 v21, v26, v21
	v_fmac_f32_e32 v20, v29, v22
	v_add_f32_e32 v22, v24, v23
	v_fma_f32 v29, v44, v16, -v25
	ds_read2_b64 v[24:27], v7 offset0:224 offset1:240
	v_mul_f32_e32 v23, v44, v17
	v_mul_f32_e32 v37, v31, v17
	;; [unrolled: 1-line block ×4, first 2 shown]
	v_add_f32_e32 v2, v2, v29
	v_fmac_f32_e32 v23, v45, v16
	v_mul_f32_e32 v29, v44, v19
	v_fmac_f32_e32 v17, v31, v16
	v_fma_f32 v36, v44, v18, -v36
	v_add_f32_e32 v20, v40, v20
	v_add_f32_e32 v34, v34, v23
	v_fma_f32 v23, v30, v16, -v37
	v_mul_f32_e32 v16, v31, v19
	v_mul_f32_e32 v19, v30, v19
	v_fmac_f32_e32 v29, v45, v18
	v_add_f32_e32 v17, v21, v17
	v_add_f32_e32 v35, v35, v36
	v_fma_f32 v16, v30, v18, -v16
	v_fmac_f32_e32 v19, v31, v18
	s_waitcnt lgkmcnt(0)
	v_mul_f32_e32 v21, v47, v25
	v_mul_f32_e32 v18, v47, v27
	v_add_f32_e32 v28, v28, v23
	v_mul_f32_e32 v30, v46, v25
	v_mul_f32_e32 v31, v46, v27
	v_fma_f32 v21, v46, v24, -v21
	v_fma_f32 v18, v46, v26, -v18
	v_add_f32_e32 v36, v20, v19
	v_mul_f32_e32 v19, v32, v25
	v_add_f32_e32 v29, v38, v29
	v_add_f32_e32 v23, v2, v21
	;; [unrolled: 1-line block ×3, first 2 shown]
	v_mul_f32_e32 v2, v33, v25
	v_mul_f32_e32 v18, v33, v27
	;; [unrolled: 1-line block ×3, first 2 shown]
	v_add_f32_e32 v16, v22, v16
	v_fmac_f32_e32 v30, v47, v24
	v_fmac_f32_e32 v31, v47, v26
	v_fma_f32 v2, v32, v24, -v2
	v_fmac_f32_e32 v19, v33, v24
	v_fma_f32 v24, v32, v26, -v18
	v_fmac_f32_e32 v25, v33, v26
	v_add_f32_e32 v22, v34, v30
	v_add_f32_e32 v21, v29, v31
	;; [unrolled: 1-line block ×6, first 2 shown]
	s_barrier
	buffer_gl0_inv
	s_cbranch_vccz .LBB527_18
.LBB527_8:                              ; =>This Inner Loop Header: Depth=1
	s_mov_b32 s11, s8
	s_mov_b32 s9, 0
	s_and_saveexec_b32 s10, s0
	s_cbranch_execnz .LBB527_16
; %bb.9:                                ;   in Loop: Header=BB527_8 Depth=1
	s_or_b32 exec_lo, exec_lo, s10
	s_and_saveexec_b32 s10, s11
	s_xor_b32 s10, exec_lo, s10
	s_cbranch_execnz .LBB527_17
.LBB527_10:                             ;   in Loop: Header=BB527_8 Depth=1
	s_or_b32 exec_lo, exec_lo, s10
	s_and_saveexec_b32 s10, s9
	s_cbranch_execz .LBB527_12
.LBB527_11:                             ;   in Loop: Header=BB527_8 Depth=1
	v_lshlrev_b64 v[24:25], 3, v[4:5]
	v_add_co_u32 v24, vcc_lo, v14, v24
	v_add_co_ci_u32_e64 v25, null, v15, v25, vcc_lo
	flat_load_dwordx2 v[24:25], v[24:25]
	s_waitcnt vmcnt(0) lgkmcnt(0)
	ds_write_b64 v10, v[24:25]
.LBB527_12:                             ;   in Loop: Header=BB527_8 Depth=1
	s_or_b32 exec_lo, exec_lo, s10
	v_add_nc_u32_e32 v2, s6, v6
	v_cmp_le_u64_e32 vcc_lo, s[16:17], v[2:3]
	s_or_b32 s9, vcc_lo, s1
	s_and_saveexec_b32 s10, s9
	s_xor_b32 s9, exec_lo, s10
; %bb.13:                               ;   in Loop: Header=BB527_8 Depth=1
	ds_write_b32 v11, v3
; %bb.14:                               ;   in Loop: Header=BB527_8 Depth=1
	s_or_saveexec_b32 s9, s9
	v_mov_b32_e32 v24, 0
	s_xor_b32 exec_lo, exec_lo, s9
	s_cbranch_execz .LBB527_7
; %bb.15:                               ;   in Loop: Header=BB527_8 Depth=1
	v_mad_u64_u32 v[24:25], null, s4, v2, 0
	v_mad_u64_u32 v[25:26], null, s5, v2, v[25:26]
	v_lshlrev_b64 v[24:25], 3, v[24:25]
	v_add_co_u32 v24, vcc_lo, v12, v24
	v_add_co_ci_u32_e64 v25, null, v13, v25, vcc_lo
	flat_load_dwordx2 v[25:26], v[24:25]
	s_waitcnt vmcnt(0) lgkmcnt(0)
	v_xor_b32_e32 v24, 0x80000000, v26
	ds_write_b32 v11, v25
	s_branch .LBB527_7
.LBB527_16:                             ;   in Loop: Header=BB527_8 Depth=1
	v_add_nc_u32_e32 v2, s6, v9
	v_mov_b32_e32 v5, v3
	s_andn2_b32 s11, s8, exec_lo
	s_mov_b32 s9, exec_lo
	v_cmp_le_u64_e32 vcc_lo, s[16:17], v[2:3]
	v_mov_b32_e32 v4, v2
	s_and_b32 s12, vcc_lo, exec_lo
	s_or_b32 s11, s11, s12
	s_or_b32 exec_lo, exec_lo, s10
	s_and_saveexec_b32 s10, s11
	s_xor_b32 s10, exec_lo, s10
	s_cbranch_execz .LBB527_10
.LBB527_17:                             ;   in Loop: Header=BB527_8 Depth=1
	v_mov_b32_e32 v2, v3
	s_andn2_b32 s9, s9, exec_lo
	ds_write_b64 v10, v[2:3]
	s_or_b32 exec_lo, exec_lo, s10
	s_and_saveexec_b32 s10, s9
	s_cbranch_execnz .LBB527_11
	s_branch .LBB527_12
.LBB527_18:
	v_add_nc_u32_e32 v9, s31, v1
	s_lshl_b64 s[0:1], s[22:23], 3
	v_add_nc_u32_e32 v0, s30, v0
	v_cmp_neq_f32_e64 s6, s20, 0
	s_waitcnt lgkmcnt(0)
	s_add_u32 s4, s24, s0
	v_ashrrev_i32_e32 v3, 31, v9
	v_mul_lo_u32 v4, s3, v9
	v_mad_u64_u32 v[1:2], null, s2, v9, 0
	s_addc_u32 s5, s25, s1
	v_mul_lo_u32 v3, s2, v3
	s_xor_b32 s7, s29, -1
	v_cmp_gt_i32_e64 s0, s28, v9
	v_cmp_le_i32_e32 vcc_lo, v0, v9
	s_or_b32 s6, s6, s7
	v_cndmask_b32_e64 v8, 0, 1, s6
	s_and_b32 s7, s0, vcc_lo
	v_add3_u32 v2, v2, v3, v4
	v_lshlrev_b64 v[2:3], 3, v[1:2]
	v_ashrrev_i32_e32 v1, 31, v0
	v_add_co_u32 v6, s1, s4, v2
	v_add_co_ci_u32_e64 v7, null, s5, v3, s1
	s_and_saveexec_b32 s1, s7
	s_cbranch_execz .LBB527_22
; %bb.19:
	v_lshlrev_b64 v[4:5], 3, v[0:1]
	v_mul_f32_e32 v2, s19, v22
	v_mul_f32_e32 v3, s18, v22
	v_fma_f32 v2, v23, s18, -v2
	v_add_co_u32 v4, vcc_lo, v6, v4
	v_fmac_f32_e32 v3, s19, v23
	v_add_co_ci_u32_e64 v5, null, v7, v5, vcc_lo
	s_andn2_b32 vcc_lo, exec_lo, s6
	s_cbranch_vccnz .LBB527_21
; %bb.20:
	flat_load_dwordx2 v[10:11], v[4:5]
	s_waitcnt vmcnt(0) lgkmcnt(0)
	v_mul_f32_e32 v12, s21, v11
	v_mul_f32_e32 v11, s20, v11
	v_fma_f32 v12, v10, s20, -v12
	v_fmac_f32_e32 v11, s21, v10
	v_add_f32_e32 v2, v2, v12
	v_add_f32_e32 v3, v3, v11
.LBB527_21:
	flat_store_dwordx2 v[4:5], v[2:3]
.LBB527_22:
	s_or_b32 exec_lo, exec_lo, s1
	v_add_nc_u32_e32 v2, 16, v0
	v_cmp_le_i32_e32 vcc_lo, v2, v9
	v_ashrrev_i32_e32 v3, 31, v2
	s_and_b32 s0, s0, vcc_lo
	s_and_saveexec_b32 s1, s0
	s_cbranch_execz .LBB527_26
; %bb.23:
	v_lshlrev_b64 v[10:11], 3, v[2:3]
	v_mul_f32_e32 v4, s19, v21
	v_mul_f32_e32 v5, s18, v21
	v_cmp_ne_u32_e32 vcc_lo, 1, v8
	v_fma_f32 v4, v20, s18, -v4
	v_add_co_u32 v6, s0, v6, v10
	v_fmac_f32_e32 v5, s19, v20
	v_add_co_ci_u32_e64 v7, null, v7, v11, s0
	s_cbranch_vccnz .LBB527_25
; %bb.24:
	flat_load_dwordx2 v[10:11], v[6:7]
	s_waitcnt vmcnt(0) lgkmcnt(0)
	v_mul_f32_e32 v12, s21, v11
	v_mul_f32_e32 v11, s20, v11
	v_fma_f32 v12, v10, s20, -v12
	v_fmac_f32_e32 v11, s21, v10
	v_add_f32_e32 v4, v4, v12
	v_add_f32_e32 v5, v5, v11
.LBB527_25:
	flat_store_dwordx2 v[6:7], v[4:5]
.LBB527_26:
	s_or_b32 exec_lo, exec_lo, s1
	v_add_nc_u32_e32 v9, 16, v9
	v_ashrrev_i32_e32 v6, 31, v9
	v_mul_lo_u32 v7, s3, v9
	v_mad_u64_u32 v[4:5], null, s2, v9, 0
	v_cmp_gt_i32_e64 s0, s28, v9
	v_mul_lo_u32 v6, s2, v6
	v_cmp_le_i32_e32 vcc_lo, v0, v9
	v_add3_u32 v5, v5, v6, v7
	v_lshlrev_b64 v[4:5], 3, v[4:5]
	v_add_co_u32 v6, s1, s4, v4
	v_add_co_ci_u32_e64 v7, null, s5, v5, s1
	s_and_b32 s1, s0, vcc_lo
	s_and_saveexec_b32 s2, s1
	s_cbranch_execz .LBB527_30
; %bb.27:
	v_lshlrev_b64 v[0:1], 3, v[0:1]
	v_mul_f32_e32 v4, s19, v19
	v_mul_f32_e32 v5, s18, v19
	v_cmp_ne_u32_e32 vcc_lo, 1, v8
	v_fma_f32 v4, v18, s18, -v4
	v_add_co_u32 v0, s1, v6, v0
	v_fmac_f32_e32 v5, s19, v18
	v_add_co_ci_u32_e64 v1, null, v7, v1, s1
	s_cbranch_vccnz .LBB527_29
; %bb.28:
	flat_load_dwordx2 v[10:11], v[0:1]
	s_waitcnt vmcnt(0) lgkmcnt(0)
	v_mul_f32_e32 v12, s21, v11
	v_mul_f32_e32 v11, s20, v11
	v_fma_f32 v12, v10, s20, -v12
	v_fmac_f32_e32 v11, s21, v10
	v_add_f32_e32 v4, v4, v12
	v_add_f32_e32 v5, v5, v11
.LBB527_29:
	flat_store_dwordx2 v[0:1], v[4:5]
.LBB527_30:
	s_or_b32 exec_lo, exec_lo, s2
	v_cmp_le_i32_e32 vcc_lo, v2, v9
	s_and_b32 s0, s0, vcc_lo
	s_and_saveexec_b32 s1, s0
	s_cbranch_execz .LBB527_34
; %bb.31:
	v_lshlrev_b64 v[2:3], 3, v[2:3]
	v_mul_f32_e32 v0, s19, v17
	v_mul_f32_e32 v1, s18, v17
	v_cmp_ne_u32_e32 vcc_lo, 1, v8
	v_fma_f32 v0, v16, s18, -v0
	v_add_co_u32 v2, s0, v6, v2
	v_fmac_f32_e32 v1, s19, v16
	v_add_co_ci_u32_e64 v3, null, v7, v3, s0
	s_cbranch_vccnz .LBB527_33
; %bb.32:
	flat_load_dwordx2 v[4:5], v[2:3]
	s_waitcnt vmcnt(0) lgkmcnt(0)
	v_mul_f32_e32 v6, s21, v5
	v_mul_f32_e32 v5, s20, v5
	v_fma_f32 v6, v4, s20, -v6
	v_fmac_f32_e32 v5, s21, v4
	v_add_f32_e32 v0, v0, v6
	v_add_f32_e32 v1, v1, v5
.LBB527_33:
	flat_store_dwordx2 v[2:3], v[0:1]
.LBB527_34:
	s_endpgm
	.section	.rodata,"a",@progbits
	.p2align	6, 0x0
	.amdhsa_kernel _ZL29rocblas_internal_gemmt_kernelIlLi16ELi32ELi8ELc84ELc67ELc85ELb0ELb1E19rocblas_complex_numIfES1_PKPKS1_PKPS1_EviT_T9_T10_S9_lSB_S9_lSA_T11_S9_li
		.amdhsa_group_segment_fixed_size 4096
		.amdhsa_private_segment_fixed_size 0
		.amdhsa_kernarg_size 108
		.amdhsa_user_sgpr_count 6
		.amdhsa_user_sgpr_private_segment_buffer 1
		.amdhsa_user_sgpr_dispatch_ptr 0
		.amdhsa_user_sgpr_queue_ptr 0
		.amdhsa_user_sgpr_kernarg_segment_ptr 1
		.amdhsa_user_sgpr_dispatch_id 0
		.amdhsa_user_sgpr_flat_scratch_init 0
		.amdhsa_user_sgpr_private_segment_size 0
		.amdhsa_wavefront_size32 1
		.amdhsa_uses_dynamic_stack 0
		.amdhsa_system_sgpr_private_segment_wavefront_offset 0
		.amdhsa_system_sgpr_workgroup_id_x 1
		.amdhsa_system_sgpr_workgroup_id_y 1
		.amdhsa_system_sgpr_workgroup_id_z 1
		.amdhsa_system_sgpr_workgroup_info 0
		.amdhsa_system_vgpr_workitem_id 1
		.amdhsa_next_free_vgpr 61
		.amdhsa_next_free_sgpr 32
		.amdhsa_reserve_vcc 1
		.amdhsa_reserve_flat_scratch 0
		.amdhsa_float_round_mode_32 0
		.amdhsa_float_round_mode_16_64 0
		.amdhsa_float_denorm_mode_32 3
		.amdhsa_float_denorm_mode_16_64 3
		.amdhsa_dx10_clamp 1
		.amdhsa_ieee_mode 1
		.amdhsa_fp16_overflow 0
		.amdhsa_workgroup_processor_mode 1
		.amdhsa_memory_ordered 1
		.amdhsa_forward_progress 1
		.amdhsa_shared_vgpr_count 0
		.amdhsa_exception_fp_ieee_invalid_op 0
		.amdhsa_exception_fp_denorm_src 0
		.amdhsa_exception_fp_ieee_div_zero 0
		.amdhsa_exception_fp_ieee_overflow 0
		.amdhsa_exception_fp_ieee_underflow 0
		.amdhsa_exception_fp_ieee_inexact 0
		.amdhsa_exception_int_div_zero 0
	.end_amdhsa_kernel
	.section	.text._ZL29rocblas_internal_gemmt_kernelIlLi16ELi32ELi8ELc84ELc67ELc85ELb0ELb1E19rocblas_complex_numIfES1_PKPKS1_PKPS1_EviT_T9_T10_S9_lSB_S9_lSA_T11_S9_li,"axG",@progbits,_ZL29rocblas_internal_gemmt_kernelIlLi16ELi32ELi8ELc84ELc67ELc85ELb0ELb1E19rocblas_complex_numIfES1_PKPKS1_PKPS1_EviT_T9_T10_S9_lSB_S9_lSA_T11_S9_li,comdat
.Lfunc_end527:
	.size	_ZL29rocblas_internal_gemmt_kernelIlLi16ELi32ELi8ELc84ELc67ELc85ELb0ELb1E19rocblas_complex_numIfES1_PKPKS1_PKPS1_EviT_T9_T10_S9_lSB_S9_lSA_T11_S9_li, .Lfunc_end527-_ZL29rocblas_internal_gemmt_kernelIlLi16ELi32ELi8ELc84ELc67ELc85ELb0ELb1E19rocblas_complex_numIfES1_PKPKS1_PKPS1_EviT_T9_T10_S9_lSB_S9_lSA_T11_S9_li
                                        ; -- End function
	.set _ZL29rocblas_internal_gemmt_kernelIlLi16ELi32ELi8ELc84ELc67ELc85ELb0ELb1E19rocblas_complex_numIfES1_PKPKS1_PKPS1_EviT_T9_T10_S9_lSB_S9_lSA_T11_S9_li.num_vgpr, 61
	.set _ZL29rocblas_internal_gemmt_kernelIlLi16ELi32ELi8ELc84ELc67ELc85ELb0ELb1E19rocblas_complex_numIfES1_PKPKS1_PKPS1_EviT_T9_T10_S9_lSB_S9_lSA_T11_S9_li.num_agpr, 0
	.set _ZL29rocblas_internal_gemmt_kernelIlLi16ELi32ELi8ELc84ELc67ELc85ELb0ELb1E19rocblas_complex_numIfES1_PKPKS1_PKPS1_EviT_T9_T10_S9_lSB_S9_lSA_T11_S9_li.numbered_sgpr, 32
	.set _ZL29rocblas_internal_gemmt_kernelIlLi16ELi32ELi8ELc84ELc67ELc85ELb0ELb1E19rocblas_complex_numIfES1_PKPKS1_PKPS1_EviT_T9_T10_S9_lSB_S9_lSA_T11_S9_li.num_named_barrier, 0
	.set _ZL29rocblas_internal_gemmt_kernelIlLi16ELi32ELi8ELc84ELc67ELc85ELb0ELb1E19rocblas_complex_numIfES1_PKPKS1_PKPS1_EviT_T9_T10_S9_lSB_S9_lSA_T11_S9_li.private_seg_size, 0
	.set _ZL29rocblas_internal_gemmt_kernelIlLi16ELi32ELi8ELc84ELc67ELc85ELb0ELb1E19rocblas_complex_numIfES1_PKPKS1_PKPS1_EviT_T9_T10_S9_lSB_S9_lSA_T11_S9_li.uses_vcc, 1
	.set _ZL29rocblas_internal_gemmt_kernelIlLi16ELi32ELi8ELc84ELc67ELc85ELb0ELb1E19rocblas_complex_numIfES1_PKPKS1_PKPS1_EviT_T9_T10_S9_lSB_S9_lSA_T11_S9_li.uses_flat_scratch, 0
	.set _ZL29rocblas_internal_gemmt_kernelIlLi16ELi32ELi8ELc84ELc67ELc85ELb0ELb1E19rocblas_complex_numIfES1_PKPKS1_PKPS1_EviT_T9_T10_S9_lSB_S9_lSA_T11_S9_li.has_dyn_sized_stack, 0
	.set _ZL29rocblas_internal_gemmt_kernelIlLi16ELi32ELi8ELc84ELc67ELc85ELb0ELb1E19rocblas_complex_numIfES1_PKPKS1_PKPS1_EviT_T9_T10_S9_lSB_S9_lSA_T11_S9_li.has_recursion, 0
	.set _ZL29rocblas_internal_gemmt_kernelIlLi16ELi32ELi8ELc84ELc67ELc85ELb0ELb1E19rocblas_complex_numIfES1_PKPKS1_PKPS1_EviT_T9_T10_S9_lSB_S9_lSA_T11_S9_li.has_indirect_call, 0
	.section	.AMDGPU.csdata,"",@progbits
; Kernel info:
; codeLenInByte = 2660
; TotalNumSgprs: 34
; NumVgprs: 61
; ScratchSize: 0
; MemoryBound: 0
; FloatMode: 240
; IeeeMode: 1
; LDSByteSize: 4096 bytes/workgroup (compile time only)
; SGPRBlocks: 0
; VGPRBlocks: 7
; NumSGPRsForWavesPerEU: 34
; NumVGPRsForWavesPerEU: 61
; Occupancy: 16
; WaveLimiterHint : 1
; COMPUTE_PGM_RSRC2:SCRATCH_EN: 0
; COMPUTE_PGM_RSRC2:USER_SGPR: 6
; COMPUTE_PGM_RSRC2:TRAP_HANDLER: 0
; COMPUTE_PGM_RSRC2:TGID_X_EN: 1
; COMPUTE_PGM_RSRC2:TGID_Y_EN: 1
; COMPUTE_PGM_RSRC2:TGID_Z_EN: 1
; COMPUTE_PGM_RSRC2:TIDIG_COMP_CNT: 1
	.section	.text._ZL29rocblas_internal_gemmt_kernelIlLi16ELi32ELi8ELc67ELc78ELc85ELb1ELb0E19rocblas_complex_numIfES1_PKPKS1_PKPS1_EviT_T9_T10_S9_lSB_S9_lSA_T11_S9_li,"axG",@progbits,_ZL29rocblas_internal_gemmt_kernelIlLi16ELi32ELi8ELc67ELc78ELc85ELb1ELb0E19rocblas_complex_numIfES1_PKPKS1_PKPS1_EviT_T9_T10_S9_lSB_S9_lSA_T11_S9_li,comdat
	.globl	_ZL29rocblas_internal_gemmt_kernelIlLi16ELi32ELi8ELc67ELc78ELc85ELb1ELb0E19rocblas_complex_numIfES1_PKPKS1_PKPS1_EviT_T9_T10_S9_lSB_S9_lSA_T11_S9_li ; -- Begin function _ZL29rocblas_internal_gemmt_kernelIlLi16ELi32ELi8ELc67ELc78ELc85ELb1ELb0E19rocblas_complex_numIfES1_PKPKS1_PKPS1_EviT_T9_T10_S9_lSB_S9_lSA_T11_S9_li
	.p2align	8
	.type	_ZL29rocblas_internal_gemmt_kernelIlLi16ELi32ELi8ELc67ELc78ELc85ELb1ELb0E19rocblas_complex_numIfES1_PKPKS1_PKPS1_EviT_T9_T10_S9_lSB_S9_lSA_T11_S9_li,@function
_ZL29rocblas_internal_gemmt_kernelIlLi16ELi32ELi8ELc67ELc78ELc85ELb1ELb0E19rocblas_complex_numIfES1_PKPKS1_PKPS1_EviT_T9_T10_S9_lSB_S9_lSA_T11_S9_li: ; @_ZL29rocblas_internal_gemmt_kernelIlLi16ELi32ELi8ELc67ELc78ELc85ELb1ELb0E19rocblas_complex_numIfES1_PKPKS1_PKPS1_EviT_T9_T10_S9_lSB_S9_lSA_T11_S9_li
; %bb.0:
	s_clause 0x1
	s_load_dwordx2 s[20:21], s[4:5], 0x48
	s_load_dwordx4 s[16:19], s[4:5], 0x8
	s_waitcnt lgkmcnt(0)
	s_and_b32 s0, s21, 0x7fffffff
	v_cmp_eq_f32_e64 s1, s20, 1.0
	s_cmp_eq_u32 s0, 0
	s_mov_b32 s0, 0
	s_cselect_b32 s29, -1, 0
	s_and_b32 s1, s1, s29
	s_andn2_b32 vcc_lo, exec_lo, s1
	s_mov_b32 s1, -1
	s_cbranch_vccnz .LBB528_4
; %bb.1:
	s_cmp_lg_u64 s[16:17], 0
	s_cbranch_scc0 .LBB528_3
; %bb.2:
	v_cmp_neq_f32_e64 s0, s18, 0
	v_cmp_neq_f32_e64 s1, s19, 0
	s_or_b32 s0, s0, s1
.LBB528_3:
	s_mov_b32 s1, s0
.LBB528_4:
	s_and_b32 vcc_lo, exec_lo, s1
	s_cbranch_vccz .LBB528_34
; %bb.5:
	s_clause 0x1
	s_load_dwordx4 s[0:3], s[4:5], 0x50
	s_load_dword s28, s[4:5], 0x0
	s_mov_b32 s9, 0
	s_load_dwordx2 s[22:23], s[4:5], 0x60
	s_lshl_b64 s[26:27], s[8:9], 3
	v_cmp_eq_f32_e64 s8, s18, 0
	v_cmp_eq_f32_e64 s9, s19, 0
	v_mov_b32_e32 v23, 0
	v_mov_b32_e32 v22, 0
	;; [unrolled: 1-line block ×8, first 2 shown]
	s_waitcnt lgkmcnt(0)
	s_add_u32 s0, s0, s26
	s_addc_u32 s1, s1, s27
	s_lshl_b32 s30, s6, 5
	s_load_dwordx2 s[24:25], s[0:1], 0x0
	v_cmp_lt_i64_e64 s0, s[16:17], 1
	s_and_b32 s1, s8, s9
	s_lshl_b32 s31, s7, 5
	s_or_b32 s0, s1, s0
	s_and_b32 vcc_lo, exec_lo, s0
	s_cbranch_vccnz .LBB528_18
; %bb.6:
	s_clause 0x1
	s_load_dwordx8 s[8:15], s[4:5], 0x18
	s_load_dwordx4 s[4:7], s[4:5], 0x38
	v_lshl_add_u32 v2, v1, 4, v0
	v_and_b32_e32 v6, 7, v0
	v_lshlrev_b32_e32 v7, 3, v0
	v_lshl_add_u32 v8, v1, 6, 0x800
	v_mov_b32_e32 v3, 0
	v_lshrrev_b32_e32 v10, 3, v2
	v_and_b32_e32 v12, 31, v2
	v_lshlrev_b32_e32 v13, 3, v6
	v_lshrrev_b32_e32 v9, 5, v2
	v_mov_b32_e32 v17, 0
	v_add_nc_u32_e32 v11, s31, v10
	v_or_b32_e32 v14, s30, v12
	v_lshlrev_b32_e32 v2, 3, v12
	v_lshl_or_b32 v24, v10, 6, v13
	v_mov_b32_e32 v16, 0
	v_ashrrev_i32_e32 v4, 31, v11
	v_cmp_gt_i32_e32 vcc_lo, s28, v11
	v_mov_b32_e32 v19, 0
	s_waitcnt lgkmcnt(0)
	s_add_u32 s0, s14, s26
	s_addc_u32 s1, s15, s27
	s_lshl_b64 s[6:7], s[6:7], 3
	s_load_dwordx2 s[0:1], s[0:1], 0x0
	v_mul_lo_u32 v15, s4, v4
	v_mul_lo_u32 v23, s5, v11
	v_mad_u64_u32 v[4:5], null, s4, v11, 0
	v_mul_lo_u32 v10, s11, v14
	v_mad_u64_u32 v[12:13], null, s10, v14, 0
	v_mov_b32_e32 v18, 0
	v_mov_b32_e32 v21, 0
	;; [unrolled: 1-line block ×3, first 2 shown]
	v_add3_u32 v5, v5, v15, v23
	v_mov_b32_e32 v22, 0
	v_add_nc_u32_e32 v11, 0x800, v24
	v_mov_b32_e32 v23, 0
	v_lshlrev_b64 v[4:5], 3, v[4:5]
	s_waitcnt lgkmcnt(0)
	s_add_u32 s14, s0, s6
	s_addc_u32 s7, s1, s7
	s_add_u32 s0, s8, s26
	s_addc_u32 s1, s9, s27
	s_lshl_b64 s[4:5], s[12:13], 3
	s_load_dwordx2 s[0:1], s[0:1], 0x0
	v_cmp_le_i32_e64 s6, s28, v14
	s_waitcnt lgkmcnt(0)
	s_add_u32 s4, s0, s4
	s_addc_u32 s5, s1, s5
	s_ashr_i32 s1, s30, 31
	v_cmp_gt_i32_e64 s0, s28, v14
	s_mul_i32 s1, s10, s1
	v_add3_u32 v13, v13, s1, v10
	v_lshl_or_b32 v10, v9, 8, v2
	v_lshlrev_b64 v[14:15], 3, v[12:13]
	v_add_co_u32 v12, s1, s14, v4
	v_add_co_ci_u32_e64 v13, null, s7, v5, s1
                                        ; implicit-def: $vgpr4_vgpr5
	v_add_co_u32 v14, s1, s4, v14
	v_add_co_ci_u32_e64 v15, null, s5, v15, s1
	s_mov_b64 s[4:5], 0
	s_xor_b32 s1, vcc_lo, -1
	s_branch .LBB528_8
.LBB528_7:                              ;   in Loop: Header=BB528_8 Depth=1
	s_or_b32 exec_lo, exec_lo, s7
	s_waitcnt lgkmcnt(0)
	s_barrier
	buffer_gl0_inv
	ds_read_b128 v[24:27], v8
	ds_read2_b64 v[28:31], v7 offset1:16
	ds_read_b128 v[32:35], v8 offset:1024
	ds_read_b128 v[36:39], v8 offset:16
	;; [unrolled: 1-line block ×4, first 2 shown]
	ds_read2_b64 v[48:51], v7 offset0:32 offset1:48
	ds_read_b128 v[52:55], v8 offset:1040
	s_add_u32 s4, s4, 8
	s_addc_u32 s5, s5, 0
	v_cmp_gt_i64_e64 s7, s[16:17], s[4:5]
	s_and_b32 vcc_lo, exec_lo, s7
	s_waitcnt lgkmcnt(6)
	v_mul_f32_e32 v2, v25, v29
	v_mul_f32_e32 v56, v24, v29
	;; [unrolled: 1-line block ×4, first 2 shown]
	s_waitcnt lgkmcnt(5)
	v_mul_f32_e32 v59, v33, v29
	v_mul_f32_e32 v29, v32, v29
	v_mul_f32_e32 v60, v33, v31
	v_fma_f32 v2, v24, v28, -v2
	v_fmac_f32_e32 v56, v25, v28
	v_fma_f32 v24, v24, v30, -v57
	v_fmac_f32_e32 v58, v25, v30
	;; [unrolled: 2-line block ×3, first 2 shown]
	v_mul_f32_e32 v31, v32, v31
	v_fma_f32 v28, v32, v30, -v60
	v_add_f32_e32 v2, v23, v2
	v_add_f32_e32 v23, v20, v24
	v_add_f32_e32 v24, v21, v58
	v_add_f32_e32 v25, v18, v25
	v_add_f32_e32 v29, v19, v29
	s_waitcnt lgkmcnt(1)
	v_mul_f32_e32 v32, v27, v49
	ds_read2_b64 v[18:21], v7 offset0:64 offset1:80
	v_fmac_f32_e32 v31, v33, v30
	v_add_f32_e32 v16, v16, v28
	v_mul_f32_e32 v28, v26, v49
	v_fma_f32 v30, v26, v48, -v32
	v_mul_f32_e32 v32, v27, v51
	v_add_f32_e32 v22, v22, v56
	v_add_f32_e32 v17, v17, v31
	v_fmac_f32_e32 v28, v27, v48
	v_mul_f32_e32 v31, v26, v51
	v_add_f32_e32 v2, v2, v30
	v_fma_f32 v26, v26, v50, -v32
	v_mul_f32_e32 v30, v35, v49
	v_add_f32_e32 v28, v22, v28
	v_fmac_f32_e32 v31, v27, v50
	v_mul_f32_e32 v22, v34, v49
	v_add_f32_e32 v26, v23, v26
	v_fma_f32 v23, v34, v48, -v30
	v_mul_f32_e32 v27, v35, v51
	v_add_f32_e32 v30, v24, v31
	v_fmac_f32_e32 v22, v35, v48
	v_mul_f32_e32 v31, v34, v51
	v_add_f32_e32 v32, v25, v23
	v_fma_f32 v23, v34, v50, -v27
	s_waitcnt lgkmcnt(0)
	v_mul_f32_e32 v24, v37, v19
	v_add_f32_e32 v27, v29, v22
	v_fmac_f32_e32 v31, v35, v50
	v_mul_f32_e32 v29, v36, v19
	v_add_f32_e32 v16, v16, v23
	v_fma_f32 v33, v36, v18, -v24
	v_mul_f32_e32 v34, v37, v21
	ds_read2_b64 v[22:25], v7 offset0:96 offset1:112
	v_fmac_f32_e32 v29, v37, v18
	v_add_f32_e32 v31, v17, v31
	v_add_f32_e32 v2, v2, v33
	v_mul_f32_e32 v17, v36, v21
	v_fma_f32 v33, v36, v20, -v34
	v_add_f32_e32 v28, v28, v29
	v_mul_f32_e32 v29, v53, v19
	v_mul_f32_e32 v19, v52, v19
	v_fmac_f32_e32 v17, v37, v20
	v_add_f32_e32 v26, v26, v33
	v_mul_f32_e32 v33, v53, v21
	v_mul_f32_e32 v21, v52, v21
	v_fmac_f32_e32 v19, v53, v18
	v_add_f32_e32 v30, v30, v17
	v_fma_f32 v29, v52, v18, -v29
	v_fma_f32 v17, v52, v20, -v33
	v_fmac_f32_e32 v21, v53, v20
	v_add_f32_e32 v33, v27, v19
	s_waitcnt lgkmcnt(0)
	v_mul_f32_e32 v20, v39, v23
	v_add_f32_e32 v34, v16, v17
	ds_read2_b64 v[16:19], v7 offset0:128 offset1:144
	v_add_f32_e32 v32, v32, v29
	v_mul_f32_e32 v27, v38, v23
	v_mul_f32_e32 v29, v39, v25
	v_fma_f32 v20, v38, v22, -v20
	v_add_f32_e32 v31, v31, v21
	v_mul_f32_e32 v21, v38, v25
	v_fmac_f32_e32 v27, v39, v22
	v_fma_f32 v29, v38, v24, -v29
	v_add_f32_e32 v2, v2, v20
	v_mul_f32_e32 v20, v55, v23
	v_fmac_f32_e32 v21, v39, v24
	v_add_f32_e32 v35, v28, v27
	v_add_f32_e32 v36, v26, v29
	v_mul_f32_e32 v23, v54, v23
	v_fma_f32 v20, v54, v22, -v20
	v_mul_f32_e32 v37, v55, v25
	ds_read_b128 v[26:29], v8 offset:1056
	v_add_f32_e32 v38, v30, v21
	v_fmac_f32_e32 v23, v55, v22
	v_mul_f32_e32 v25, v54, v25
	v_fma_f32 v21, v54, v24, -v37
	v_add_f32_e32 v37, v32, v20
	s_waitcnt lgkmcnt(1)
	v_mul_f32_e32 v20, v41, v17
	v_add_f32_e32 v39, v33, v23
	v_fmac_f32_e32 v25, v55, v24
	v_add_f32_e32 v24, v34, v21
	v_mul_f32_e32 v32, v41, v19
	v_fma_f32 v30, v40, v16, -v20
	ds_read2_b64 v[20:23], v7 offset0:160 offset1:176
	v_mul_f32_e32 v34, v40, v17
	v_add_f32_e32 v25, v31, v25
	v_fma_f32 v48, v40, v18, -v32
	v_mul_f32_e32 v40, v40, v19
	v_add_f32_e32 v2, v2, v30
	v_fmac_f32_e32 v34, v41, v16
	ds_read_b128 v[30:33], v8 offset:1072
	s_waitcnt lgkmcnt(2)
	v_mul_f32_e32 v49, v27, v17
	v_mul_f32_e32 v17, v26, v17
	v_fmac_f32_e32 v40, v41, v18
	v_mul_f32_e32 v41, v27, v19
	v_add_f32_e32 v34, v35, v34
	v_add_f32_e32 v35, v36, v48
	v_fma_f32 v36, v26, v16, -v49
	v_fmac_f32_e32 v17, v27, v16
	v_add_f32_e32 v38, v38, v40
	v_mul_f32_e32 v40, v26, v19
	v_fma_f32 v16, v26, v18, -v41
	v_add_f32_e32 v36, v37, v36
	v_add_f32_e32 v26, v39, v17
	s_waitcnt lgkmcnt(1)
	v_mul_f32_e32 v37, v43, v21
	v_fmac_f32_e32 v40, v27, v18
	v_add_f32_e32 v24, v24, v16
	ds_read2_b64 v[16:19], v7 offset0:192 offset1:208
	v_mul_f32_e32 v27, v42, v21
	v_fma_f32 v37, v42, v20, -v37
	v_mul_f32_e32 v39, v43, v23
	v_add_f32_e32 v40, v25, v40
	v_mul_f32_e32 v25, v42, v23
	v_fmac_f32_e32 v27, v43, v20
	v_add_f32_e32 v2, v2, v37
	v_fma_f32 v37, v42, v22, -v39
	v_fmac_f32_e32 v25, v43, v22
	v_add_f32_e32 v34, v34, v27
	v_mul_f32_e32 v27, v29, v21
	v_mul_f32_e32 v21, v28, v21
	v_add_f32_e32 v35, v35, v37
	v_mul_f32_e32 v37, v29, v23
	v_add_f32_e32 v38, v38, v25
	v_fma_f32 v27, v28, v20, -v27
	v_fmac_f32_e32 v21, v29, v20
	v_mul_f32_e32 v20, v28, v23
	v_fma_f32 v23, v28, v22, -v37
	s_waitcnt lgkmcnt(0)
	v_mul_f32_e32 v25, v45, v17
	v_add_f32_e32 v28, v36, v27
	v_add_f32_e32 v21, v26, v21
	v_fmac_f32_e32 v20, v29, v22
	v_add_f32_e32 v22, v24, v23
	v_fma_f32 v29, v44, v16, -v25
	ds_read2_b64 v[24:27], v7 offset0:224 offset1:240
	v_mul_f32_e32 v23, v44, v17
	v_mul_f32_e32 v37, v31, v17
	;; [unrolled: 1-line block ×4, first 2 shown]
	v_add_f32_e32 v2, v2, v29
	v_fmac_f32_e32 v23, v45, v16
	v_mul_f32_e32 v29, v44, v19
	v_fmac_f32_e32 v17, v31, v16
	v_fma_f32 v36, v44, v18, -v36
	v_add_f32_e32 v20, v40, v20
	v_add_f32_e32 v34, v34, v23
	v_fma_f32 v23, v30, v16, -v37
	v_mul_f32_e32 v16, v31, v19
	v_mul_f32_e32 v19, v30, v19
	v_fmac_f32_e32 v29, v45, v18
	v_add_f32_e32 v17, v21, v17
	v_add_f32_e32 v35, v35, v36
	v_fma_f32 v16, v30, v18, -v16
	v_fmac_f32_e32 v19, v31, v18
	s_waitcnt lgkmcnt(0)
	v_mul_f32_e32 v21, v47, v25
	v_mul_f32_e32 v18, v47, v27
	v_add_f32_e32 v28, v28, v23
	v_mul_f32_e32 v30, v46, v25
	v_mul_f32_e32 v31, v46, v27
	v_fma_f32 v21, v46, v24, -v21
	v_fma_f32 v18, v46, v26, -v18
	v_add_f32_e32 v36, v20, v19
	v_mul_f32_e32 v19, v32, v25
	v_add_f32_e32 v29, v38, v29
	v_add_f32_e32 v23, v2, v21
	;; [unrolled: 1-line block ×3, first 2 shown]
	v_mul_f32_e32 v2, v33, v25
	v_mul_f32_e32 v18, v33, v27
	;; [unrolled: 1-line block ×3, first 2 shown]
	v_add_f32_e32 v16, v22, v16
	v_fmac_f32_e32 v30, v47, v24
	v_fmac_f32_e32 v31, v47, v26
	v_fma_f32 v2, v32, v24, -v2
	v_fmac_f32_e32 v19, v33, v24
	v_fma_f32 v24, v32, v26, -v18
	v_fmac_f32_e32 v25, v33, v26
	v_add_f32_e32 v22, v34, v30
	v_add_f32_e32 v21, v29, v31
	;; [unrolled: 1-line block ×6, first 2 shown]
	s_barrier
	buffer_gl0_inv
	s_cbranch_vccz .LBB528_18
.LBB528_8:                              ; =>This Inner Loop Header: Depth=1
	s_mov_b32 s9, s6
	s_mov_b32 s7, 0
	s_and_saveexec_b32 s8, s0
	s_cbranch_execnz .LBB528_16
; %bb.9:                                ;   in Loop: Header=BB528_8 Depth=1
	s_or_b32 exec_lo, exec_lo, s8
	s_and_saveexec_b32 s8, s9
	s_xor_b32 s8, exec_lo, s8
	s_cbranch_execnz .LBB528_17
.LBB528_10:                             ;   in Loop: Header=BB528_8 Depth=1
	s_or_b32 exec_lo, exec_lo, s8
	v_mov_b32_e32 v24, 0
	s_and_saveexec_b32 s8, s7
	s_cbranch_execz .LBB528_12
.LBB528_11:                             ;   in Loop: Header=BB528_8 Depth=1
	v_lshlrev_b64 v[24:25], 3, v[4:5]
	v_add_co_u32 v24, vcc_lo, v14, v24
	v_add_co_ci_u32_e64 v25, null, v15, v25, vcc_lo
	flat_load_dwordx2 v[25:26], v[24:25]
	s_waitcnt vmcnt(0) lgkmcnt(0)
	v_xor_b32_e32 v24, 0x80000000, v26
	ds_write_b32 v10, v25
.LBB528_12:                             ;   in Loop: Header=BB528_8 Depth=1
	s_or_b32 exec_lo, exec_lo, s8
	v_add_nc_u32_e32 v2, s4, v6
	ds_write_b32 v10, v24 offset:4
	v_cmp_le_u64_e32 vcc_lo, s[16:17], v[2:3]
	s_or_b32 s7, vcc_lo, s1
	s_and_saveexec_b32 s8, s7
	s_xor_b32 s7, exec_lo, s8
; %bb.13:                               ;   in Loop: Header=BB528_8 Depth=1
	v_mov_b32_e32 v2, v3
	ds_write_b64 v11, v[2:3]
; %bb.14:                               ;   in Loop: Header=BB528_8 Depth=1
	s_andn2_saveexec_b32 s7, s7
	s_cbranch_execz .LBB528_7
; %bb.15:                               ;   in Loop: Header=BB528_8 Depth=1
	v_lshlrev_b64 v[24:25], 3, v[2:3]
	v_add_co_u32 v24, vcc_lo, v12, v24
	v_add_co_ci_u32_e64 v25, null, v13, v25, vcc_lo
	flat_load_dwordx2 v[24:25], v[24:25]
	s_waitcnt vmcnt(0) lgkmcnt(0)
	ds_write_b64 v11, v[24:25]
	s_branch .LBB528_7
.LBB528_16:                             ;   in Loop: Header=BB528_8 Depth=1
	v_add_nc_u32_e32 v2, s4, v9
	v_mov_b32_e32 v5, v3
	s_andn2_b32 s9, s6, exec_lo
	s_mov_b32 s7, exec_lo
	v_cmp_le_u64_e32 vcc_lo, s[16:17], v[2:3]
	v_mov_b32_e32 v4, v2
	s_and_b32 s10, vcc_lo, exec_lo
	s_or_b32 s9, s9, s10
	s_or_b32 exec_lo, exec_lo, s8
	s_and_saveexec_b32 s8, s9
	s_xor_b32 s8, exec_lo, s8
	s_cbranch_execz .LBB528_10
.LBB528_17:                             ;   in Loop: Header=BB528_8 Depth=1
	s_andn2_b32 s7, s7, exec_lo
	ds_write_b32 v10, v3
	s_or_b32 exec_lo, exec_lo, s8
	v_mov_b32_e32 v24, 0
	s_and_saveexec_b32 s8, s7
	s_cbranch_execnz .LBB528_11
	s_branch .LBB528_12
.LBB528_18:
	v_add_nc_u32_e32 v9, s31, v1
	s_lshl_b64 s[0:1], s[22:23], 3
	v_add_nc_u32_e32 v0, s30, v0
	v_cmp_neq_f32_e64 s6, s20, 0
	s_waitcnt lgkmcnt(0)
	s_add_u32 s4, s24, s0
	v_ashrrev_i32_e32 v3, 31, v9
	v_mul_lo_u32 v4, s3, v9
	v_mad_u64_u32 v[1:2], null, s2, v9, 0
	s_addc_u32 s5, s25, s1
	v_mul_lo_u32 v3, s2, v3
	s_xor_b32 s7, s29, -1
	v_cmp_gt_i32_e64 s0, s28, v9
	v_cmp_le_i32_e32 vcc_lo, v0, v9
	s_or_b32 s6, s6, s7
	v_cndmask_b32_e64 v8, 0, 1, s6
	s_and_b32 s7, s0, vcc_lo
	v_add3_u32 v2, v2, v3, v4
	v_lshlrev_b64 v[2:3], 3, v[1:2]
	v_ashrrev_i32_e32 v1, 31, v0
	v_add_co_u32 v6, s1, s4, v2
	v_add_co_ci_u32_e64 v7, null, s5, v3, s1
	s_and_saveexec_b32 s1, s7
	s_cbranch_execz .LBB528_22
; %bb.19:
	v_lshlrev_b64 v[4:5], 3, v[0:1]
	v_mul_f32_e32 v2, s19, v22
	v_mul_f32_e32 v3, s18, v22
	v_fma_f32 v2, v23, s18, -v2
	v_add_co_u32 v4, vcc_lo, v6, v4
	v_fmac_f32_e32 v3, s19, v23
	v_add_co_ci_u32_e64 v5, null, v7, v5, vcc_lo
	s_andn2_b32 vcc_lo, exec_lo, s6
	s_cbranch_vccnz .LBB528_21
; %bb.20:
	flat_load_dwordx2 v[10:11], v[4:5]
	s_waitcnt vmcnt(0) lgkmcnt(0)
	v_mul_f32_e32 v12, s21, v11
	v_mul_f32_e32 v11, s20, v11
	v_fma_f32 v12, v10, s20, -v12
	v_fmac_f32_e32 v11, s21, v10
	v_add_f32_e32 v2, v2, v12
	v_add_f32_e32 v3, v3, v11
.LBB528_21:
	flat_store_dwordx2 v[4:5], v[2:3]
.LBB528_22:
	s_or_b32 exec_lo, exec_lo, s1
	v_add_nc_u32_e32 v2, 16, v0
	v_cmp_le_i32_e32 vcc_lo, v2, v9
	v_ashrrev_i32_e32 v3, 31, v2
	s_and_b32 s0, s0, vcc_lo
	s_and_saveexec_b32 s1, s0
	s_cbranch_execz .LBB528_26
; %bb.23:
	v_lshlrev_b64 v[10:11], 3, v[2:3]
	v_mul_f32_e32 v4, s19, v21
	v_mul_f32_e32 v5, s18, v21
	v_cmp_ne_u32_e32 vcc_lo, 1, v8
	v_fma_f32 v4, v20, s18, -v4
	v_add_co_u32 v6, s0, v6, v10
	v_fmac_f32_e32 v5, s19, v20
	v_add_co_ci_u32_e64 v7, null, v7, v11, s0
	s_cbranch_vccnz .LBB528_25
; %bb.24:
	flat_load_dwordx2 v[10:11], v[6:7]
	s_waitcnt vmcnt(0) lgkmcnt(0)
	v_mul_f32_e32 v12, s21, v11
	v_mul_f32_e32 v11, s20, v11
	v_fma_f32 v12, v10, s20, -v12
	v_fmac_f32_e32 v11, s21, v10
	v_add_f32_e32 v4, v4, v12
	v_add_f32_e32 v5, v5, v11
.LBB528_25:
	flat_store_dwordx2 v[6:7], v[4:5]
.LBB528_26:
	s_or_b32 exec_lo, exec_lo, s1
	v_add_nc_u32_e32 v9, 16, v9
	v_ashrrev_i32_e32 v6, 31, v9
	v_mul_lo_u32 v7, s3, v9
	v_mad_u64_u32 v[4:5], null, s2, v9, 0
	v_cmp_gt_i32_e64 s0, s28, v9
	v_mul_lo_u32 v6, s2, v6
	v_cmp_le_i32_e32 vcc_lo, v0, v9
	v_add3_u32 v5, v5, v6, v7
	v_lshlrev_b64 v[4:5], 3, v[4:5]
	v_add_co_u32 v6, s1, s4, v4
	v_add_co_ci_u32_e64 v7, null, s5, v5, s1
	s_and_b32 s1, s0, vcc_lo
	s_and_saveexec_b32 s2, s1
	s_cbranch_execz .LBB528_30
; %bb.27:
	v_lshlrev_b64 v[0:1], 3, v[0:1]
	v_mul_f32_e32 v4, s19, v19
	v_mul_f32_e32 v5, s18, v19
	v_cmp_ne_u32_e32 vcc_lo, 1, v8
	v_fma_f32 v4, v18, s18, -v4
	v_add_co_u32 v0, s1, v6, v0
	v_fmac_f32_e32 v5, s19, v18
	v_add_co_ci_u32_e64 v1, null, v7, v1, s1
	s_cbranch_vccnz .LBB528_29
; %bb.28:
	flat_load_dwordx2 v[10:11], v[0:1]
	s_waitcnt vmcnt(0) lgkmcnt(0)
	v_mul_f32_e32 v12, s21, v11
	v_mul_f32_e32 v11, s20, v11
	v_fma_f32 v12, v10, s20, -v12
	v_fmac_f32_e32 v11, s21, v10
	v_add_f32_e32 v4, v4, v12
	v_add_f32_e32 v5, v5, v11
.LBB528_29:
	flat_store_dwordx2 v[0:1], v[4:5]
.LBB528_30:
	s_or_b32 exec_lo, exec_lo, s2
	v_cmp_le_i32_e32 vcc_lo, v2, v9
	s_and_b32 s0, s0, vcc_lo
	s_and_saveexec_b32 s1, s0
	s_cbranch_execz .LBB528_34
; %bb.31:
	v_lshlrev_b64 v[2:3], 3, v[2:3]
	v_mul_f32_e32 v0, s19, v17
	v_mul_f32_e32 v1, s18, v17
	v_cmp_ne_u32_e32 vcc_lo, 1, v8
	v_fma_f32 v0, v16, s18, -v0
	v_add_co_u32 v2, s0, v6, v2
	v_fmac_f32_e32 v1, s19, v16
	v_add_co_ci_u32_e64 v3, null, v7, v3, s0
	s_cbranch_vccnz .LBB528_33
; %bb.32:
	flat_load_dwordx2 v[4:5], v[2:3]
	s_waitcnt vmcnt(0) lgkmcnt(0)
	v_mul_f32_e32 v6, s21, v5
	v_mul_f32_e32 v5, s20, v5
	v_fma_f32 v6, v4, s20, -v6
	v_fmac_f32_e32 v5, s21, v4
	v_add_f32_e32 v0, v0, v6
	v_add_f32_e32 v1, v1, v5
.LBB528_33:
	flat_store_dwordx2 v[2:3], v[0:1]
.LBB528_34:
	s_endpgm
	.section	.rodata,"a",@progbits
	.p2align	6, 0x0
	.amdhsa_kernel _ZL29rocblas_internal_gemmt_kernelIlLi16ELi32ELi8ELc67ELc78ELc85ELb1ELb0E19rocblas_complex_numIfES1_PKPKS1_PKPS1_EviT_T9_T10_S9_lSB_S9_lSA_T11_S9_li
		.amdhsa_group_segment_fixed_size 4096
		.amdhsa_private_segment_fixed_size 0
		.amdhsa_kernarg_size 108
		.amdhsa_user_sgpr_count 6
		.amdhsa_user_sgpr_private_segment_buffer 1
		.amdhsa_user_sgpr_dispatch_ptr 0
		.amdhsa_user_sgpr_queue_ptr 0
		.amdhsa_user_sgpr_kernarg_segment_ptr 1
		.amdhsa_user_sgpr_dispatch_id 0
		.amdhsa_user_sgpr_flat_scratch_init 0
		.amdhsa_user_sgpr_private_segment_size 0
		.amdhsa_wavefront_size32 1
		.amdhsa_uses_dynamic_stack 0
		.amdhsa_system_sgpr_private_segment_wavefront_offset 0
		.amdhsa_system_sgpr_workgroup_id_x 1
		.amdhsa_system_sgpr_workgroup_id_y 1
		.amdhsa_system_sgpr_workgroup_id_z 1
		.amdhsa_system_sgpr_workgroup_info 0
		.amdhsa_system_vgpr_workitem_id 1
		.amdhsa_next_free_vgpr 61
		.amdhsa_next_free_sgpr 32
		.amdhsa_reserve_vcc 1
		.amdhsa_reserve_flat_scratch 0
		.amdhsa_float_round_mode_32 0
		.amdhsa_float_round_mode_16_64 0
		.amdhsa_float_denorm_mode_32 3
		.amdhsa_float_denorm_mode_16_64 3
		.amdhsa_dx10_clamp 1
		.amdhsa_ieee_mode 1
		.amdhsa_fp16_overflow 0
		.amdhsa_workgroup_processor_mode 1
		.amdhsa_memory_ordered 1
		.amdhsa_forward_progress 1
		.amdhsa_shared_vgpr_count 0
		.amdhsa_exception_fp_ieee_invalid_op 0
		.amdhsa_exception_fp_denorm_src 0
		.amdhsa_exception_fp_ieee_div_zero 0
		.amdhsa_exception_fp_ieee_overflow 0
		.amdhsa_exception_fp_ieee_underflow 0
		.amdhsa_exception_fp_ieee_inexact 0
		.amdhsa_exception_int_div_zero 0
	.end_amdhsa_kernel
	.section	.text._ZL29rocblas_internal_gemmt_kernelIlLi16ELi32ELi8ELc67ELc78ELc85ELb1ELb0E19rocblas_complex_numIfES1_PKPKS1_PKPS1_EviT_T9_T10_S9_lSB_S9_lSA_T11_S9_li,"axG",@progbits,_ZL29rocblas_internal_gemmt_kernelIlLi16ELi32ELi8ELc67ELc78ELc85ELb1ELb0E19rocblas_complex_numIfES1_PKPKS1_PKPS1_EviT_T9_T10_S9_lSB_S9_lSA_T11_S9_li,comdat
.Lfunc_end528:
	.size	_ZL29rocblas_internal_gemmt_kernelIlLi16ELi32ELi8ELc67ELc78ELc85ELb1ELb0E19rocblas_complex_numIfES1_PKPKS1_PKPS1_EviT_T9_T10_S9_lSB_S9_lSA_T11_S9_li, .Lfunc_end528-_ZL29rocblas_internal_gemmt_kernelIlLi16ELi32ELi8ELc67ELc78ELc85ELb1ELb0E19rocblas_complex_numIfES1_PKPKS1_PKPS1_EviT_T9_T10_S9_lSB_S9_lSA_T11_S9_li
                                        ; -- End function
	.set _ZL29rocblas_internal_gemmt_kernelIlLi16ELi32ELi8ELc67ELc78ELc85ELb1ELb0E19rocblas_complex_numIfES1_PKPKS1_PKPS1_EviT_T9_T10_S9_lSB_S9_lSA_T11_S9_li.num_vgpr, 61
	.set _ZL29rocblas_internal_gemmt_kernelIlLi16ELi32ELi8ELc67ELc78ELc85ELb1ELb0E19rocblas_complex_numIfES1_PKPKS1_PKPS1_EviT_T9_T10_S9_lSB_S9_lSA_T11_S9_li.num_agpr, 0
	.set _ZL29rocblas_internal_gemmt_kernelIlLi16ELi32ELi8ELc67ELc78ELc85ELb1ELb0E19rocblas_complex_numIfES1_PKPKS1_PKPS1_EviT_T9_T10_S9_lSB_S9_lSA_T11_S9_li.numbered_sgpr, 32
	.set _ZL29rocblas_internal_gemmt_kernelIlLi16ELi32ELi8ELc67ELc78ELc85ELb1ELb0E19rocblas_complex_numIfES1_PKPKS1_PKPS1_EviT_T9_T10_S9_lSB_S9_lSA_T11_S9_li.num_named_barrier, 0
	.set _ZL29rocblas_internal_gemmt_kernelIlLi16ELi32ELi8ELc67ELc78ELc85ELb1ELb0E19rocblas_complex_numIfES1_PKPKS1_PKPS1_EviT_T9_T10_S9_lSB_S9_lSA_T11_S9_li.private_seg_size, 0
	.set _ZL29rocblas_internal_gemmt_kernelIlLi16ELi32ELi8ELc67ELc78ELc85ELb1ELb0E19rocblas_complex_numIfES1_PKPKS1_PKPS1_EviT_T9_T10_S9_lSB_S9_lSA_T11_S9_li.uses_vcc, 1
	.set _ZL29rocblas_internal_gemmt_kernelIlLi16ELi32ELi8ELc67ELc78ELc85ELb1ELb0E19rocblas_complex_numIfES1_PKPKS1_PKPS1_EviT_T9_T10_S9_lSB_S9_lSA_T11_S9_li.uses_flat_scratch, 0
	.set _ZL29rocblas_internal_gemmt_kernelIlLi16ELi32ELi8ELc67ELc78ELc85ELb1ELb0E19rocblas_complex_numIfES1_PKPKS1_PKPS1_EviT_T9_T10_S9_lSB_S9_lSA_T11_S9_li.has_dyn_sized_stack, 0
	.set _ZL29rocblas_internal_gemmt_kernelIlLi16ELi32ELi8ELc67ELc78ELc85ELb1ELb0E19rocblas_complex_numIfES1_PKPKS1_PKPS1_EviT_T9_T10_S9_lSB_S9_lSA_T11_S9_li.has_recursion, 0
	.set _ZL29rocblas_internal_gemmt_kernelIlLi16ELi32ELi8ELc67ELc78ELc85ELb1ELb0E19rocblas_complex_numIfES1_PKPKS1_PKPS1_EviT_T9_T10_S9_lSB_S9_lSA_T11_S9_li.has_indirect_call, 0
	.section	.AMDGPU.csdata,"",@progbits
; Kernel info:
; codeLenInByte = 2676
; TotalNumSgprs: 34
; NumVgprs: 61
; ScratchSize: 0
; MemoryBound: 0
; FloatMode: 240
; IeeeMode: 1
; LDSByteSize: 4096 bytes/workgroup (compile time only)
; SGPRBlocks: 0
; VGPRBlocks: 7
; NumSGPRsForWavesPerEU: 34
; NumVGPRsForWavesPerEU: 61
; Occupancy: 16
; WaveLimiterHint : 1
; COMPUTE_PGM_RSRC2:SCRATCH_EN: 0
; COMPUTE_PGM_RSRC2:USER_SGPR: 6
; COMPUTE_PGM_RSRC2:TRAP_HANDLER: 0
; COMPUTE_PGM_RSRC2:TGID_X_EN: 1
; COMPUTE_PGM_RSRC2:TGID_Y_EN: 1
; COMPUTE_PGM_RSRC2:TGID_Z_EN: 1
; COMPUTE_PGM_RSRC2:TIDIG_COMP_CNT: 1
	.section	.text._ZL29rocblas_internal_gemmt_kernelIlLi16ELi32ELi8ELc67ELc84ELc85ELb1ELb0E19rocblas_complex_numIfES1_PKPKS1_PKPS1_EviT_T9_T10_S9_lSB_S9_lSA_T11_S9_li,"axG",@progbits,_ZL29rocblas_internal_gemmt_kernelIlLi16ELi32ELi8ELc67ELc84ELc85ELb1ELb0E19rocblas_complex_numIfES1_PKPKS1_PKPS1_EviT_T9_T10_S9_lSB_S9_lSA_T11_S9_li,comdat
	.globl	_ZL29rocblas_internal_gemmt_kernelIlLi16ELi32ELi8ELc67ELc84ELc85ELb1ELb0E19rocblas_complex_numIfES1_PKPKS1_PKPS1_EviT_T9_T10_S9_lSB_S9_lSA_T11_S9_li ; -- Begin function _ZL29rocblas_internal_gemmt_kernelIlLi16ELi32ELi8ELc67ELc84ELc85ELb1ELb0E19rocblas_complex_numIfES1_PKPKS1_PKPS1_EviT_T9_T10_S9_lSB_S9_lSA_T11_S9_li
	.p2align	8
	.type	_ZL29rocblas_internal_gemmt_kernelIlLi16ELi32ELi8ELc67ELc84ELc85ELb1ELb0E19rocblas_complex_numIfES1_PKPKS1_PKPS1_EviT_T9_T10_S9_lSB_S9_lSA_T11_S9_li,@function
_ZL29rocblas_internal_gemmt_kernelIlLi16ELi32ELi8ELc67ELc84ELc85ELb1ELb0E19rocblas_complex_numIfES1_PKPKS1_PKPS1_EviT_T9_T10_S9_lSB_S9_lSA_T11_S9_li: ; @_ZL29rocblas_internal_gemmt_kernelIlLi16ELi32ELi8ELc67ELc84ELc85ELb1ELb0E19rocblas_complex_numIfES1_PKPKS1_PKPS1_EviT_T9_T10_S9_lSB_S9_lSA_T11_S9_li
; %bb.0:
	s_clause 0x1
	s_load_dwordx2 s[20:21], s[4:5], 0x48
	s_load_dwordx4 s[16:19], s[4:5], 0x8
	s_waitcnt lgkmcnt(0)
	s_and_b32 s0, s21, 0x7fffffff
	v_cmp_eq_f32_e64 s1, s20, 1.0
	s_cmp_eq_u32 s0, 0
	s_mov_b32 s0, 0
	s_cselect_b32 s29, -1, 0
	s_and_b32 s1, s1, s29
	s_andn2_b32 vcc_lo, exec_lo, s1
	s_mov_b32 s1, -1
	s_cbranch_vccnz .LBB529_4
; %bb.1:
	s_cmp_lg_u64 s[16:17], 0
	s_cbranch_scc0 .LBB529_3
; %bb.2:
	v_cmp_neq_f32_e64 s0, s18, 0
	v_cmp_neq_f32_e64 s1, s19, 0
	s_or_b32 s0, s0, s1
.LBB529_3:
	s_mov_b32 s1, s0
.LBB529_4:
	s_and_b32 vcc_lo, exec_lo, s1
	s_cbranch_vccz .LBB529_34
; %bb.5:
	s_clause 0x1
	s_load_dwordx4 s[0:3], s[4:5], 0x50
	s_load_dword s28, s[4:5], 0x0
	s_mov_b32 s9, 0
	s_load_dwordx2 s[22:23], s[4:5], 0x60
	s_lshl_b64 s[26:27], s[8:9], 3
	v_cmp_eq_f32_e64 s8, s18, 0
	v_cmp_eq_f32_e64 s9, s19, 0
	v_mov_b32_e32 v23, 0
	v_mov_b32_e32 v22, 0
	;; [unrolled: 1-line block ×8, first 2 shown]
	s_waitcnt lgkmcnt(0)
	s_add_u32 s0, s0, s26
	s_addc_u32 s1, s1, s27
	s_lshl_b32 s30, s6, 5
	s_load_dwordx2 s[24:25], s[0:1], 0x0
	v_cmp_lt_i64_e64 s0, s[16:17], 1
	s_and_b32 s1, s8, s9
	s_lshl_b32 s31, s7, 5
	s_or_b32 s0, s1, s0
	s_and_b32 vcc_lo, exec_lo, s0
	s_cbranch_vccnz .LBB529_18
; %bb.6:
	s_clause 0x1
	s_load_dwordx8 s[8:15], s[4:5], 0x18
	s_load_dwordx4 s[4:7], s[4:5], 0x38
	v_lshl_add_u32 v2, v1, 4, v0
	v_and_b32_e32 v6, 7, v0
	v_lshlrev_b32_e32 v7, 3, v0
	v_lshl_add_u32 v8, v1, 6, 0x800
	v_mov_b32_e32 v3, 0
	v_and_b32_e32 v5, 31, v2
	v_lshrrev_b32_e32 v10, 3, v2
	v_lshlrev_b32_e32 v11, 3, v6
	v_lshrrev_b32_e32 v9, 5, v2
	v_mov_b32_e32 v17, 0
	v_or_b32_e32 v14, s30, v5
	v_add_nc_u32_e32 v4, s31, v10
	v_lshl_or_b32 v11, v10, 6, v11
	v_lshlrev_b32_e32 v2, 3, v5
	v_mov_b32_e32 v16, 0
	v_mov_b32_e32 v19, 0
	v_ashrrev_i32_e32 v5, 31, v4
	v_cmp_gt_i32_e32 vcc_lo, s28, v4
	s_waitcnt lgkmcnt(0)
	s_add_u32 s0, s14, s26
	s_addc_u32 s1, s15, s27
	s_lshl_b64 s[6:7], s[6:7], 3
	s_load_dwordx2 s[0:1], s[0:1], 0x0
	v_mul_lo_u32 v10, s11, v14
	v_mad_u64_u32 v[12:13], null, s10, v14, 0
	v_mov_b32_e32 v18, 0
	v_mov_b32_e32 v21, 0
	;; [unrolled: 1-line block ×4, first 2 shown]
	v_add_nc_u32_e32 v11, 0x800, v11
	v_mov_b32_e32 v23, 0
	s_waitcnt lgkmcnt(0)
	s_add_u32 s14, s0, s6
	s_addc_u32 s15, s1, s7
	s_add_u32 s0, s8, s26
	s_addc_u32 s1, s9, s27
	s_lshl_b64 s[6:7], s[12:13], 3
	s_load_dwordx2 s[0:1], s[0:1], 0x0
	v_cmp_le_i32_e64 s8, s28, v14
	s_waitcnt lgkmcnt(0)
	s_add_u32 s6, s0, s6
	s_addc_u32 s7, s1, s7
	s_ashr_i32 s1, s30, 31
	v_cmp_gt_i32_e64 s0, s28, v14
	s_mul_i32 s1, s10, s1
	v_lshlrev_b64 v[14:15], 3, v[4:5]
	v_add3_u32 v13, v13, s1, v10
	v_lshl_or_b32 v10, v9, 8, v2
	v_lshlrev_b64 v[4:5], 3, v[12:13]
	v_add_co_u32 v12, s1, s14, v14
	v_add_co_ci_u32_e64 v13, null, s15, v15, s1
	v_add_co_u32 v14, s1, s6, v4
	v_add_co_ci_u32_e64 v15, null, s7, v5, s1
	s_mov_b64 s[6:7], 0
	s_xor_b32 s1, vcc_lo, -1
                                        ; implicit-def: $vgpr4_vgpr5
	s_branch .LBB529_8
.LBB529_7:                              ;   in Loop: Header=BB529_8 Depth=1
	s_or_b32 exec_lo, exec_lo, s9
	s_waitcnt lgkmcnt(0)
	s_barrier
	buffer_gl0_inv
	ds_read_b128 v[24:27], v8
	ds_read2_b64 v[28:31], v7 offset1:16
	ds_read_b128 v[32:35], v8 offset:1024
	ds_read_b128 v[36:39], v8 offset:16
	;; [unrolled: 1-line block ×4, first 2 shown]
	ds_read2_b64 v[48:51], v7 offset0:32 offset1:48
	ds_read_b128 v[52:55], v8 offset:1040
	s_add_u32 s6, s6, 8
	s_addc_u32 s7, s7, 0
	v_cmp_gt_i64_e64 s9, s[16:17], s[6:7]
	s_and_b32 vcc_lo, exec_lo, s9
	s_waitcnt lgkmcnt(6)
	v_mul_f32_e32 v2, v25, v29
	v_mul_f32_e32 v56, v24, v29
	;; [unrolled: 1-line block ×4, first 2 shown]
	s_waitcnt lgkmcnt(5)
	v_mul_f32_e32 v59, v33, v29
	v_mul_f32_e32 v29, v32, v29
	;; [unrolled: 1-line block ×3, first 2 shown]
	v_fma_f32 v2, v24, v28, -v2
	v_fmac_f32_e32 v56, v25, v28
	v_fma_f32 v24, v24, v30, -v57
	v_fmac_f32_e32 v58, v25, v30
	;; [unrolled: 2-line block ×3, first 2 shown]
	v_mul_f32_e32 v31, v32, v31
	v_fma_f32 v28, v32, v30, -v60
	v_add_f32_e32 v2, v23, v2
	v_add_f32_e32 v23, v20, v24
	;; [unrolled: 1-line block ×5, first 2 shown]
	s_waitcnt lgkmcnt(1)
	v_mul_f32_e32 v32, v27, v49
	ds_read2_b64 v[18:21], v7 offset0:64 offset1:80
	v_fmac_f32_e32 v31, v33, v30
	v_add_f32_e32 v16, v16, v28
	v_mul_f32_e32 v28, v26, v49
	v_fma_f32 v30, v26, v48, -v32
	v_mul_f32_e32 v32, v27, v51
	v_add_f32_e32 v22, v22, v56
	v_add_f32_e32 v17, v17, v31
	v_fmac_f32_e32 v28, v27, v48
	v_mul_f32_e32 v31, v26, v51
	v_add_f32_e32 v2, v2, v30
	v_fma_f32 v26, v26, v50, -v32
	v_mul_f32_e32 v30, v35, v49
	v_add_f32_e32 v28, v22, v28
	v_fmac_f32_e32 v31, v27, v50
	v_mul_f32_e32 v22, v34, v49
	v_add_f32_e32 v26, v23, v26
	v_fma_f32 v23, v34, v48, -v30
	v_mul_f32_e32 v27, v35, v51
	v_add_f32_e32 v30, v24, v31
	v_fmac_f32_e32 v22, v35, v48
	v_mul_f32_e32 v31, v34, v51
	v_add_f32_e32 v32, v25, v23
	v_fma_f32 v23, v34, v50, -v27
	s_waitcnt lgkmcnt(0)
	v_mul_f32_e32 v24, v37, v19
	v_add_f32_e32 v27, v29, v22
	v_fmac_f32_e32 v31, v35, v50
	v_mul_f32_e32 v29, v36, v19
	v_add_f32_e32 v16, v16, v23
	v_fma_f32 v33, v36, v18, -v24
	v_mul_f32_e32 v34, v37, v21
	ds_read2_b64 v[22:25], v7 offset0:96 offset1:112
	v_fmac_f32_e32 v29, v37, v18
	v_add_f32_e32 v31, v17, v31
	v_add_f32_e32 v2, v2, v33
	v_mul_f32_e32 v17, v36, v21
	v_fma_f32 v33, v36, v20, -v34
	v_add_f32_e32 v28, v28, v29
	v_mul_f32_e32 v29, v53, v19
	v_mul_f32_e32 v19, v52, v19
	v_fmac_f32_e32 v17, v37, v20
	v_add_f32_e32 v26, v26, v33
	v_mul_f32_e32 v33, v53, v21
	v_mul_f32_e32 v21, v52, v21
	v_fmac_f32_e32 v19, v53, v18
	v_add_f32_e32 v30, v30, v17
	v_fma_f32 v29, v52, v18, -v29
	v_fma_f32 v17, v52, v20, -v33
	v_fmac_f32_e32 v21, v53, v20
	v_add_f32_e32 v33, v27, v19
	s_waitcnt lgkmcnt(0)
	v_mul_f32_e32 v20, v39, v23
	v_add_f32_e32 v34, v16, v17
	ds_read2_b64 v[16:19], v7 offset0:128 offset1:144
	v_add_f32_e32 v32, v32, v29
	v_mul_f32_e32 v27, v38, v23
	v_mul_f32_e32 v29, v39, v25
	v_fma_f32 v20, v38, v22, -v20
	v_add_f32_e32 v31, v31, v21
	v_mul_f32_e32 v21, v38, v25
	v_fmac_f32_e32 v27, v39, v22
	v_fma_f32 v29, v38, v24, -v29
	v_add_f32_e32 v2, v2, v20
	v_mul_f32_e32 v20, v55, v23
	v_fmac_f32_e32 v21, v39, v24
	v_add_f32_e32 v35, v28, v27
	v_add_f32_e32 v36, v26, v29
	v_mul_f32_e32 v23, v54, v23
	v_fma_f32 v20, v54, v22, -v20
	v_mul_f32_e32 v37, v55, v25
	ds_read_b128 v[26:29], v8 offset:1056
	v_add_f32_e32 v38, v30, v21
	v_fmac_f32_e32 v23, v55, v22
	v_mul_f32_e32 v25, v54, v25
	v_fma_f32 v21, v54, v24, -v37
	v_add_f32_e32 v37, v32, v20
	s_waitcnt lgkmcnt(1)
	v_mul_f32_e32 v20, v41, v17
	v_add_f32_e32 v39, v33, v23
	v_fmac_f32_e32 v25, v55, v24
	v_add_f32_e32 v24, v34, v21
	v_mul_f32_e32 v32, v41, v19
	v_fma_f32 v30, v40, v16, -v20
	ds_read2_b64 v[20:23], v7 offset0:160 offset1:176
	v_mul_f32_e32 v34, v40, v17
	v_add_f32_e32 v25, v31, v25
	v_fma_f32 v48, v40, v18, -v32
	v_mul_f32_e32 v40, v40, v19
	v_add_f32_e32 v2, v2, v30
	v_fmac_f32_e32 v34, v41, v16
	ds_read_b128 v[30:33], v8 offset:1072
	s_waitcnt lgkmcnt(2)
	v_mul_f32_e32 v49, v27, v17
	v_mul_f32_e32 v17, v26, v17
	v_fmac_f32_e32 v40, v41, v18
	v_mul_f32_e32 v41, v27, v19
	v_add_f32_e32 v34, v35, v34
	v_add_f32_e32 v35, v36, v48
	v_fma_f32 v36, v26, v16, -v49
	v_fmac_f32_e32 v17, v27, v16
	v_add_f32_e32 v38, v38, v40
	v_mul_f32_e32 v40, v26, v19
	v_fma_f32 v16, v26, v18, -v41
	v_add_f32_e32 v36, v37, v36
	v_add_f32_e32 v26, v39, v17
	s_waitcnt lgkmcnt(1)
	v_mul_f32_e32 v37, v43, v21
	v_fmac_f32_e32 v40, v27, v18
	v_add_f32_e32 v24, v24, v16
	ds_read2_b64 v[16:19], v7 offset0:192 offset1:208
	v_mul_f32_e32 v27, v42, v21
	v_fma_f32 v37, v42, v20, -v37
	v_mul_f32_e32 v39, v43, v23
	v_add_f32_e32 v40, v25, v40
	v_mul_f32_e32 v25, v42, v23
	v_fmac_f32_e32 v27, v43, v20
	v_add_f32_e32 v2, v2, v37
	v_fma_f32 v37, v42, v22, -v39
	v_fmac_f32_e32 v25, v43, v22
	v_add_f32_e32 v34, v34, v27
	v_mul_f32_e32 v27, v29, v21
	v_mul_f32_e32 v21, v28, v21
	v_add_f32_e32 v35, v35, v37
	v_mul_f32_e32 v37, v29, v23
	v_add_f32_e32 v38, v38, v25
	v_fma_f32 v27, v28, v20, -v27
	v_fmac_f32_e32 v21, v29, v20
	v_mul_f32_e32 v20, v28, v23
	v_fma_f32 v23, v28, v22, -v37
	s_waitcnt lgkmcnt(0)
	v_mul_f32_e32 v25, v45, v17
	v_add_f32_e32 v28, v36, v27
	v_add_f32_e32 v21, v26, v21
	v_fmac_f32_e32 v20, v29, v22
	v_add_f32_e32 v22, v24, v23
	v_fma_f32 v29, v44, v16, -v25
	ds_read2_b64 v[24:27], v7 offset0:224 offset1:240
	v_mul_f32_e32 v23, v44, v17
	v_mul_f32_e32 v37, v31, v17
	;; [unrolled: 1-line block ×4, first 2 shown]
	v_add_f32_e32 v2, v2, v29
	v_fmac_f32_e32 v23, v45, v16
	v_mul_f32_e32 v29, v44, v19
	v_fmac_f32_e32 v17, v31, v16
	v_fma_f32 v36, v44, v18, -v36
	v_add_f32_e32 v20, v40, v20
	v_add_f32_e32 v34, v34, v23
	v_fma_f32 v23, v30, v16, -v37
	v_mul_f32_e32 v16, v31, v19
	v_mul_f32_e32 v19, v30, v19
	v_fmac_f32_e32 v29, v45, v18
	v_add_f32_e32 v17, v21, v17
	v_add_f32_e32 v35, v35, v36
	v_fma_f32 v16, v30, v18, -v16
	v_fmac_f32_e32 v19, v31, v18
	s_waitcnt lgkmcnt(0)
	v_mul_f32_e32 v21, v47, v25
	v_mul_f32_e32 v18, v47, v27
	v_add_f32_e32 v28, v28, v23
	v_mul_f32_e32 v30, v46, v25
	v_mul_f32_e32 v31, v46, v27
	v_fma_f32 v21, v46, v24, -v21
	v_fma_f32 v18, v46, v26, -v18
	v_add_f32_e32 v36, v20, v19
	v_mul_f32_e32 v19, v32, v25
	v_add_f32_e32 v29, v38, v29
	v_add_f32_e32 v23, v2, v21
	v_add_f32_e32 v20, v35, v18
	v_mul_f32_e32 v2, v33, v25
	v_mul_f32_e32 v18, v33, v27
	;; [unrolled: 1-line block ×3, first 2 shown]
	v_add_f32_e32 v16, v22, v16
	v_fmac_f32_e32 v30, v47, v24
	v_fmac_f32_e32 v31, v47, v26
	v_fma_f32 v2, v32, v24, -v2
	v_fmac_f32_e32 v19, v33, v24
	v_fma_f32 v24, v32, v26, -v18
	v_fmac_f32_e32 v25, v33, v26
	v_add_f32_e32 v22, v34, v30
	v_add_f32_e32 v21, v29, v31
	;; [unrolled: 1-line block ×6, first 2 shown]
	s_barrier
	buffer_gl0_inv
	s_cbranch_vccz .LBB529_18
.LBB529_8:                              ; =>This Inner Loop Header: Depth=1
	s_mov_b32 s11, s8
	s_mov_b32 s9, 0
	s_and_saveexec_b32 s10, s0
	s_cbranch_execnz .LBB529_16
; %bb.9:                                ;   in Loop: Header=BB529_8 Depth=1
	s_or_b32 exec_lo, exec_lo, s10
	s_and_saveexec_b32 s10, s11
	s_xor_b32 s10, exec_lo, s10
	s_cbranch_execnz .LBB529_17
.LBB529_10:                             ;   in Loop: Header=BB529_8 Depth=1
	s_or_b32 exec_lo, exec_lo, s10
	v_mov_b32_e32 v24, 0
	s_and_saveexec_b32 s10, s9
	s_cbranch_execz .LBB529_12
.LBB529_11:                             ;   in Loop: Header=BB529_8 Depth=1
	v_lshlrev_b64 v[24:25], 3, v[4:5]
	v_add_co_u32 v24, vcc_lo, v14, v24
	v_add_co_ci_u32_e64 v25, null, v15, v25, vcc_lo
	flat_load_dwordx2 v[25:26], v[24:25]
	s_waitcnt vmcnt(0) lgkmcnt(0)
	v_xor_b32_e32 v24, 0x80000000, v26
	ds_write_b32 v10, v25
.LBB529_12:                             ;   in Loop: Header=BB529_8 Depth=1
	s_or_b32 exec_lo, exec_lo, s10
	v_add_nc_u32_e32 v2, s6, v6
	ds_write_b32 v10, v24 offset:4
	v_cmp_le_u64_e32 vcc_lo, s[16:17], v[2:3]
	s_or_b32 s9, vcc_lo, s1
	s_and_saveexec_b32 s10, s9
	s_xor_b32 s9, exec_lo, s10
; %bb.13:                               ;   in Loop: Header=BB529_8 Depth=1
	v_mov_b32_e32 v2, v3
	ds_write_b64 v11, v[2:3]
; %bb.14:                               ;   in Loop: Header=BB529_8 Depth=1
	s_andn2_saveexec_b32 s9, s9
	s_cbranch_execz .LBB529_7
; %bb.15:                               ;   in Loop: Header=BB529_8 Depth=1
	v_mad_u64_u32 v[24:25], null, s4, v2, 0
	v_mad_u64_u32 v[25:26], null, s5, v2, v[25:26]
	v_lshlrev_b64 v[24:25], 3, v[24:25]
	v_add_co_u32 v24, vcc_lo, v12, v24
	v_add_co_ci_u32_e64 v25, null, v13, v25, vcc_lo
	flat_load_dwordx2 v[24:25], v[24:25]
	s_waitcnt vmcnt(0) lgkmcnt(0)
	ds_write_b64 v11, v[24:25]
	s_branch .LBB529_7
.LBB529_16:                             ;   in Loop: Header=BB529_8 Depth=1
	v_add_nc_u32_e32 v2, s6, v9
	v_mov_b32_e32 v5, v3
	s_andn2_b32 s11, s8, exec_lo
	s_mov_b32 s9, exec_lo
	v_cmp_le_u64_e32 vcc_lo, s[16:17], v[2:3]
	v_mov_b32_e32 v4, v2
	s_and_b32 s12, vcc_lo, exec_lo
	s_or_b32 s11, s11, s12
	s_or_b32 exec_lo, exec_lo, s10
	s_and_saveexec_b32 s10, s11
	s_xor_b32 s10, exec_lo, s10
	s_cbranch_execz .LBB529_10
.LBB529_17:                             ;   in Loop: Header=BB529_8 Depth=1
	s_andn2_b32 s9, s9, exec_lo
	ds_write_b32 v10, v3
	s_or_b32 exec_lo, exec_lo, s10
	v_mov_b32_e32 v24, 0
	s_and_saveexec_b32 s10, s9
	s_cbranch_execnz .LBB529_11
	s_branch .LBB529_12
.LBB529_18:
	v_add_nc_u32_e32 v9, s31, v1
	s_lshl_b64 s[0:1], s[22:23], 3
	v_add_nc_u32_e32 v0, s30, v0
	v_cmp_neq_f32_e64 s6, s20, 0
	s_waitcnt lgkmcnt(0)
	s_add_u32 s4, s24, s0
	v_ashrrev_i32_e32 v3, 31, v9
	v_mul_lo_u32 v4, s3, v9
	v_mad_u64_u32 v[1:2], null, s2, v9, 0
	s_addc_u32 s5, s25, s1
	v_mul_lo_u32 v3, s2, v3
	s_xor_b32 s7, s29, -1
	v_cmp_gt_i32_e64 s0, s28, v9
	v_cmp_le_i32_e32 vcc_lo, v0, v9
	s_or_b32 s6, s6, s7
	v_cndmask_b32_e64 v8, 0, 1, s6
	s_and_b32 s7, s0, vcc_lo
	v_add3_u32 v2, v2, v3, v4
	v_lshlrev_b64 v[2:3], 3, v[1:2]
	v_ashrrev_i32_e32 v1, 31, v0
	v_add_co_u32 v6, s1, s4, v2
	v_add_co_ci_u32_e64 v7, null, s5, v3, s1
	s_and_saveexec_b32 s1, s7
	s_cbranch_execz .LBB529_22
; %bb.19:
	v_lshlrev_b64 v[4:5], 3, v[0:1]
	v_mul_f32_e32 v2, s19, v22
	v_mul_f32_e32 v3, s18, v22
	v_fma_f32 v2, v23, s18, -v2
	v_add_co_u32 v4, vcc_lo, v6, v4
	v_fmac_f32_e32 v3, s19, v23
	v_add_co_ci_u32_e64 v5, null, v7, v5, vcc_lo
	s_andn2_b32 vcc_lo, exec_lo, s6
	s_cbranch_vccnz .LBB529_21
; %bb.20:
	flat_load_dwordx2 v[10:11], v[4:5]
	s_waitcnt vmcnt(0) lgkmcnt(0)
	v_mul_f32_e32 v12, s21, v11
	v_mul_f32_e32 v11, s20, v11
	v_fma_f32 v12, v10, s20, -v12
	v_fmac_f32_e32 v11, s21, v10
	v_add_f32_e32 v2, v2, v12
	v_add_f32_e32 v3, v3, v11
.LBB529_21:
	flat_store_dwordx2 v[4:5], v[2:3]
.LBB529_22:
	s_or_b32 exec_lo, exec_lo, s1
	v_add_nc_u32_e32 v2, 16, v0
	v_cmp_le_i32_e32 vcc_lo, v2, v9
	v_ashrrev_i32_e32 v3, 31, v2
	s_and_b32 s0, s0, vcc_lo
	s_and_saveexec_b32 s1, s0
	s_cbranch_execz .LBB529_26
; %bb.23:
	v_lshlrev_b64 v[10:11], 3, v[2:3]
	v_mul_f32_e32 v4, s19, v21
	v_mul_f32_e32 v5, s18, v21
	v_cmp_ne_u32_e32 vcc_lo, 1, v8
	v_fma_f32 v4, v20, s18, -v4
	v_add_co_u32 v6, s0, v6, v10
	v_fmac_f32_e32 v5, s19, v20
	v_add_co_ci_u32_e64 v7, null, v7, v11, s0
	s_cbranch_vccnz .LBB529_25
; %bb.24:
	flat_load_dwordx2 v[10:11], v[6:7]
	s_waitcnt vmcnt(0) lgkmcnt(0)
	v_mul_f32_e32 v12, s21, v11
	v_mul_f32_e32 v11, s20, v11
	v_fma_f32 v12, v10, s20, -v12
	v_fmac_f32_e32 v11, s21, v10
	v_add_f32_e32 v4, v4, v12
	v_add_f32_e32 v5, v5, v11
.LBB529_25:
	flat_store_dwordx2 v[6:7], v[4:5]
.LBB529_26:
	s_or_b32 exec_lo, exec_lo, s1
	v_add_nc_u32_e32 v9, 16, v9
	v_ashrrev_i32_e32 v6, 31, v9
	v_mul_lo_u32 v7, s3, v9
	v_mad_u64_u32 v[4:5], null, s2, v9, 0
	v_cmp_gt_i32_e64 s0, s28, v9
	v_mul_lo_u32 v6, s2, v6
	v_cmp_le_i32_e32 vcc_lo, v0, v9
	v_add3_u32 v5, v5, v6, v7
	v_lshlrev_b64 v[4:5], 3, v[4:5]
	v_add_co_u32 v6, s1, s4, v4
	v_add_co_ci_u32_e64 v7, null, s5, v5, s1
	s_and_b32 s1, s0, vcc_lo
	s_and_saveexec_b32 s2, s1
	s_cbranch_execz .LBB529_30
; %bb.27:
	v_lshlrev_b64 v[0:1], 3, v[0:1]
	v_mul_f32_e32 v4, s19, v19
	v_mul_f32_e32 v5, s18, v19
	v_cmp_ne_u32_e32 vcc_lo, 1, v8
	v_fma_f32 v4, v18, s18, -v4
	v_add_co_u32 v0, s1, v6, v0
	v_fmac_f32_e32 v5, s19, v18
	v_add_co_ci_u32_e64 v1, null, v7, v1, s1
	s_cbranch_vccnz .LBB529_29
; %bb.28:
	flat_load_dwordx2 v[10:11], v[0:1]
	s_waitcnt vmcnt(0) lgkmcnt(0)
	v_mul_f32_e32 v12, s21, v11
	v_mul_f32_e32 v11, s20, v11
	v_fma_f32 v12, v10, s20, -v12
	v_fmac_f32_e32 v11, s21, v10
	v_add_f32_e32 v4, v4, v12
	v_add_f32_e32 v5, v5, v11
.LBB529_29:
	flat_store_dwordx2 v[0:1], v[4:5]
.LBB529_30:
	s_or_b32 exec_lo, exec_lo, s2
	v_cmp_le_i32_e32 vcc_lo, v2, v9
	s_and_b32 s0, s0, vcc_lo
	s_and_saveexec_b32 s1, s0
	s_cbranch_execz .LBB529_34
; %bb.31:
	v_lshlrev_b64 v[2:3], 3, v[2:3]
	v_mul_f32_e32 v0, s19, v17
	v_mul_f32_e32 v1, s18, v17
	v_cmp_ne_u32_e32 vcc_lo, 1, v8
	v_fma_f32 v0, v16, s18, -v0
	v_add_co_u32 v2, s0, v6, v2
	v_fmac_f32_e32 v1, s19, v16
	v_add_co_ci_u32_e64 v3, null, v7, v3, s0
	s_cbranch_vccnz .LBB529_33
; %bb.32:
	flat_load_dwordx2 v[4:5], v[2:3]
	s_waitcnt vmcnt(0) lgkmcnt(0)
	v_mul_f32_e32 v6, s21, v5
	v_mul_f32_e32 v5, s20, v5
	v_fma_f32 v6, v4, s20, -v6
	v_fmac_f32_e32 v5, s21, v4
	v_add_f32_e32 v0, v0, v6
	v_add_f32_e32 v1, v1, v5
.LBB529_33:
	flat_store_dwordx2 v[2:3], v[0:1]
.LBB529_34:
	s_endpgm
	.section	.rodata,"a",@progbits
	.p2align	6, 0x0
	.amdhsa_kernel _ZL29rocblas_internal_gemmt_kernelIlLi16ELi32ELi8ELc67ELc84ELc85ELb1ELb0E19rocblas_complex_numIfES1_PKPKS1_PKPS1_EviT_T9_T10_S9_lSB_S9_lSA_T11_S9_li
		.amdhsa_group_segment_fixed_size 4096
		.amdhsa_private_segment_fixed_size 0
		.amdhsa_kernarg_size 108
		.amdhsa_user_sgpr_count 6
		.amdhsa_user_sgpr_private_segment_buffer 1
		.amdhsa_user_sgpr_dispatch_ptr 0
		.amdhsa_user_sgpr_queue_ptr 0
		.amdhsa_user_sgpr_kernarg_segment_ptr 1
		.amdhsa_user_sgpr_dispatch_id 0
		.amdhsa_user_sgpr_flat_scratch_init 0
		.amdhsa_user_sgpr_private_segment_size 0
		.amdhsa_wavefront_size32 1
		.amdhsa_uses_dynamic_stack 0
		.amdhsa_system_sgpr_private_segment_wavefront_offset 0
		.amdhsa_system_sgpr_workgroup_id_x 1
		.amdhsa_system_sgpr_workgroup_id_y 1
		.amdhsa_system_sgpr_workgroup_id_z 1
		.amdhsa_system_sgpr_workgroup_info 0
		.amdhsa_system_vgpr_workitem_id 1
		.amdhsa_next_free_vgpr 61
		.amdhsa_next_free_sgpr 32
		.amdhsa_reserve_vcc 1
		.amdhsa_reserve_flat_scratch 0
		.amdhsa_float_round_mode_32 0
		.amdhsa_float_round_mode_16_64 0
		.amdhsa_float_denorm_mode_32 3
		.amdhsa_float_denorm_mode_16_64 3
		.amdhsa_dx10_clamp 1
		.amdhsa_ieee_mode 1
		.amdhsa_fp16_overflow 0
		.amdhsa_workgroup_processor_mode 1
		.amdhsa_memory_ordered 1
		.amdhsa_forward_progress 1
		.amdhsa_shared_vgpr_count 0
		.amdhsa_exception_fp_ieee_invalid_op 0
		.amdhsa_exception_fp_denorm_src 0
		.amdhsa_exception_fp_ieee_div_zero 0
		.amdhsa_exception_fp_ieee_overflow 0
		.amdhsa_exception_fp_ieee_underflow 0
		.amdhsa_exception_fp_ieee_inexact 0
		.amdhsa_exception_int_div_zero 0
	.end_amdhsa_kernel
	.section	.text._ZL29rocblas_internal_gemmt_kernelIlLi16ELi32ELi8ELc67ELc84ELc85ELb1ELb0E19rocblas_complex_numIfES1_PKPKS1_PKPS1_EviT_T9_T10_S9_lSB_S9_lSA_T11_S9_li,"axG",@progbits,_ZL29rocblas_internal_gemmt_kernelIlLi16ELi32ELi8ELc67ELc84ELc85ELb1ELb0E19rocblas_complex_numIfES1_PKPKS1_PKPS1_EviT_T9_T10_S9_lSB_S9_lSA_T11_S9_li,comdat
.Lfunc_end529:
	.size	_ZL29rocblas_internal_gemmt_kernelIlLi16ELi32ELi8ELc67ELc84ELc85ELb1ELb0E19rocblas_complex_numIfES1_PKPKS1_PKPS1_EviT_T9_T10_S9_lSB_S9_lSA_T11_S9_li, .Lfunc_end529-_ZL29rocblas_internal_gemmt_kernelIlLi16ELi32ELi8ELc67ELc84ELc85ELb1ELb0E19rocblas_complex_numIfES1_PKPKS1_PKPS1_EviT_T9_T10_S9_lSB_S9_lSA_T11_S9_li
                                        ; -- End function
	.set _ZL29rocblas_internal_gemmt_kernelIlLi16ELi32ELi8ELc67ELc84ELc85ELb1ELb0E19rocblas_complex_numIfES1_PKPKS1_PKPS1_EviT_T9_T10_S9_lSB_S9_lSA_T11_S9_li.num_vgpr, 61
	.set _ZL29rocblas_internal_gemmt_kernelIlLi16ELi32ELi8ELc67ELc84ELc85ELb1ELb0E19rocblas_complex_numIfES1_PKPKS1_PKPS1_EviT_T9_T10_S9_lSB_S9_lSA_T11_S9_li.num_agpr, 0
	.set _ZL29rocblas_internal_gemmt_kernelIlLi16ELi32ELi8ELc67ELc84ELc85ELb1ELb0E19rocblas_complex_numIfES1_PKPKS1_PKPS1_EviT_T9_T10_S9_lSB_S9_lSA_T11_S9_li.numbered_sgpr, 32
	.set _ZL29rocblas_internal_gemmt_kernelIlLi16ELi32ELi8ELc67ELc84ELc85ELb1ELb0E19rocblas_complex_numIfES1_PKPKS1_PKPS1_EviT_T9_T10_S9_lSB_S9_lSA_T11_S9_li.num_named_barrier, 0
	.set _ZL29rocblas_internal_gemmt_kernelIlLi16ELi32ELi8ELc67ELc84ELc85ELb1ELb0E19rocblas_complex_numIfES1_PKPKS1_PKPS1_EviT_T9_T10_S9_lSB_S9_lSA_T11_S9_li.private_seg_size, 0
	.set _ZL29rocblas_internal_gemmt_kernelIlLi16ELi32ELi8ELc67ELc84ELc85ELb1ELb0E19rocblas_complex_numIfES1_PKPKS1_PKPS1_EviT_T9_T10_S9_lSB_S9_lSA_T11_S9_li.uses_vcc, 1
	.set _ZL29rocblas_internal_gemmt_kernelIlLi16ELi32ELi8ELc67ELc84ELc85ELb1ELb0E19rocblas_complex_numIfES1_PKPKS1_PKPS1_EviT_T9_T10_S9_lSB_S9_lSA_T11_S9_li.uses_flat_scratch, 0
	.set _ZL29rocblas_internal_gemmt_kernelIlLi16ELi32ELi8ELc67ELc84ELc85ELb1ELb0E19rocblas_complex_numIfES1_PKPKS1_PKPS1_EviT_T9_T10_S9_lSB_S9_lSA_T11_S9_li.has_dyn_sized_stack, 0
	.set _ZL29rocblas_internal_gemmt_kernelIlLi16ELi32ELi8ELc67ELc84ELc85ELb1ELb0E19rocblas_complex_numIfES1_PKPKS1_PKPS1_EviT_T9_T10_S9_lSB_S9_lSA_T11_S9_li.has_recursion, 0
	.set _ZL29rocblas_internal_gemmt_kernelIlLi16ELi32ELi8ELc67ELc84ELc85ELb1ELb0E19rocblas_complex_numIfES1_PKPKS1_PKPS1_EviT_T9_T10_S9_lSB_S9_lSA_T11_S9_li.has_indirect_call, 0
	.section	.AMDGPU.csdata,"",@progbits
; Kernel info:
; codeLenInByte = 2660
; TotalNumSgprs: 34
; NumVgprs: 61
; ScratchSize: 0
; MemoryBound: 0
; FloatMode: 240
; IeeeMode: 1
; LDSByteSize: 4096 bytes/workgroup (compile time only)
; SGPRBlocks: 0
; VGPRBlocks: 7
; NumSGPRsForWavesPerEU: 34
; NumVGPRsForWavesPerEU: 61
; Occupancy: 16
; WaveLimiterHint : 1
; COMPUTE_PGM_RSRC2:SCRATCH_EN: 0
; COMPUTE_PGM_RSRC2:USER_SGPR: 6
; COMPUTE_PGM_RSRC2:TRAP_HANDLER: 0
; COMPUTE_PGM_RSRC2:TGID_X_EN: 1
; COMPUTE_PGM_RSRC2:TGID_Y_EN: 1
; COMPUTE_PGM_RSRC2:TGID_Z_EN: 1
; COMPUTE_PGM_RSRC2:TIDIG_COMP_CNT: 1
	.section	.text._ZL29rocblas_internal_gemmt_kernelIlLi16ELi32ELi8ELc67ELc67ELc85ELb1ELb1E19rocblas_complex_numIfES1_PKPKS1_PKPS1_EviT_T9_T10_S9_lSB_S9_lSA_T11_S9_li,"axG",@progbits,_ZL29rocblas_internal_gemmt_kernelIlLi16ELi32ELi8ELc67ELc67ELc85ELb1ELb1E19rocblas_complex_numIfES1_PKPKS1_PKPS1_EviT_T9_T10_S9_lSB_S9_lSA_T11_S9_li,comdat
	.globl	_ZL29rocblas_internal_gemmt_kernelIlLi16ELi32ELi8ELc67ELc67ELc85ELb1ELb1E19rocblas_complex_numIfES1_PKPKS1_PKPS1_EviT_T9_T10_S9_lSB_S9_lSA_T11_S9_li ; -- Begin function _ZL29rocblas_internal_gemmt_kernelIlLi16ELi32ELi8ELc67ELc67ELc85ELb1ELb1E19rocblas_complex_numIfES1_PKPKS1_PKPS1_EviT_T9_T10_S9_lSB_S9_lSA_T11_S9_li
	.p2align	8
	.type	_ZL29rocblas_internal_gemmt_kernelIlLi16ELi32ELi8ELc67ELc67ELc85ELb1ELb1E19rocblas_complex_numIfES1_PKPKS1_PKPS1_EviT_T9_T10_S9_lSB_S9_lSA_T11_S9_li,@function
_ZL29rocblas_internal_gemmt_kernelIlLi16ELi32ELi8ELc67ELc67ELc85ELb1ELb1E19rocblas_complex_numIfES1_PKPKS1_PKPS1_EviT_T9_T10_S9_lSB_S9_lSA_T11_S9_li: ; @_ZL29rocblas_internal_gemmt_kernelIlLi16ELi32ELi8ELc67ELc67ELc85ELb1ELb1E19rocblas_complex_numIfES1_PKPKS1_PKPS1_EviT_T9_T10_S9_lSB_S9_lSA_T11_S9_li
; %bb.0:
	s_clause 0x1
	s_load_dwordx2 s[20:21], s[4:5], 0x48
	s_load_dwordx4 s[16:19], s[4:5], 0x8
	s_waitcnt lgkmcnt(0)
	s_and_b32 s0, s21, 0x7fffffff
	v_cmp_eq_f32_e64 s1, s20, 1.0
	s_cmp_eq_u32 s0, 0
	s_mov_b32 s0, 0
	s_cselect_b32 s29, -1, 0
	s_and_b32 s1, s1, s29
	s_andn2_b32 vcc_lo, exec_lo, s1
	s_mov_b32 s1, -1
	s_cbranch_vccnz .LBB530_4
; %bb.1:
	s_cmp_lg_u64 s[16:17], 0
	s_cbranch_scc0 .LBB530_3
; %bb.2:
	v_cmp_neq_f32_e64 s0, s18, 0
	v_cmp_neq_f32_e64 s1, s19, 0
	s_or_b32 s0, s0, s1
.LBB530_3:
	s_mov_b32 s1, s0
.LBB530_4:
	s_and_b32 vcc_lo, exec_lo, s1
	s_cbranch_vccz .LBB530_34
; %bb.5:
	s_clause 0x1
	s_load_dwordx4 s[0:3], s[4:5], 0x50
	s_load_dword s28, s[4:5], 0x0
	s_mov_b32 s9, 0
	s_load_dwordx2 s[22:23], s[4:5], 0x60
	s_lshl_b64 s[26:27], s[8:9], 3
	v_cmp_eq_f32_e64 s8, s18, 0
	v_cmp_eq_f32_e64 s9, s19, 0
	v_mov_b32_e32 v23, 0
	v_mov_b32_e32 v22, 0
	;; [unrolled: 1-line block ×8, first 2 shown]
	s_waitcnt lgkmcnt(0)
	s_add_u32 s0, s0, s26
	s_addc_u32 s1, s1, s27
	s_lshl_b32 s30, s6, 5
	s_load_dwordx2 s[24:25], s[0:1], 0x0
	v_cmp_lt_i64_e64 s0, s[16:17], 1
	s_and_b32 s1, s8, s9
	s_lshl_b32 s31, s7, 5
	s_or_b32 s0, s1, s0
	s_and_b32 vcc_lo, exec_lo, s0
	s_cbranch_vccnz .LBB530_18
; %bb.6:
	s_clause 0x1
	s_load_dwordx8 s[8:15], s[4:5], 0x18
	s_load_dwordx4 s[4:7], s[4:5], 0x38
	v_lshl_add_u32 v2, v1, 4, v0
	v_and_b32_e32 v6, 7, v0
	v_lshlrev_b32_e32 v7, 3, v0
	v_lshl_add_u32 v8, v1, 6, 0x800
	v_mov_b32_e32 v3, 0
	v_and_b32_e32 v5, 31, v2
	v_lshrrev_b32_e32 v10, 3, v2
	v_lshlrev_b32_e32 v11, 3, v6
	v_lshrrev_b32_e32 v9, 5, v2
	v_mov_b32_e32 v17, 0
	v_or_b32_e32 v14, s30, v5
	v_add_nc_u32_e32 v4, s31, v10
	v_lshl_or_b32 v11, v10, 6, v11
	v_lshlrev_b32_e32 v2, 3, v5
	v_mov_b32_e32 v16, 0
	v_mov_b32_e32 v19, 0
	v_ashrrev_i32_e32 v5, 31, v4
	v_cmp_gt_i32_e32 vcc_lo, s28, v4
	s_waitcnt lgkmcnt(0)
	s_add_u32 s0, s14, s26
	s_addc_u32 s1, s15, s27
	s_lshl_b64 s[6:7], s[6:7], 3
	s_load_dwordx2 s[0:1], s[0:1], 0x0
	v_mul_lo_u32 v10, s11, v14
	v_mad_u64_u32 v[12:13], null, s10, v14, 0
	v_mov_b32_e32 v18, 0
	v_mov_b32_e32 v21, 0
	;; [unrolled: 1-line block ×4, first 2 shown]
	v_add_nc_u32_e32 v11, 0x800, v11
	v_mov_b32_e32 v23, 0
	s_waitcnt lgkmcnt(0)
	s_add_u32 s14, s0, s6
	s_addc_u32 s15, s1, s7
	s_add_u32 s0, s8, s26
	s_addc_u32 s1, s9, s27
	s_lshl_b64 s[6:7], s[12:13], 3
	s_load_dwordx2 s[0:1], s[0:1], 0x0
	v_cmp_le_i32_e64 s8, s28, v14
	s_waitcnt lgkmcnt(0)
	s_add_u32 s6, s0, s6
	s_addc_u32 s7, s1, s7
	s_ashr_i32 s1, s30, 31
	v_cmp_gt_i32_e64 s0, s28, v14
	s_mul_i32 s1, s10, s1
	v_lshlrev_b64 v[14:15], 3, v[4:5]
	v_add3_u32 v13, v13, s1, v10
	v_lshl_or_b32 v10, v9, 8, v2
	v_lshlrev_b64 v[4:5], 3, v[12:13]
	v_add_co_u32 v12, s1, s14, v14
	v_add_co_ci_u32_e64 v13, null, s15, v15, s1
	v_add_co_u32 v14, s1, s6, v4
	v_add_co_ci_u32_e64 v15, null, s7, v5, s1
	s_mov_b64 s[6:7], 0
	s_xor_b32 s1, vcc_lo, -1
                                        ; implicit-def: $vgpr4_vgpr5
	s_branch .LBB530_8
.LBB530_7:                              ;   in Loop: Header=BB530_8 Depth=1
	s_or_b32 exec_lo, exec_lo, s9
	ds_write_b32 v11, v24 offset:4
	s_waitcnt lgkmcnt(0)
	s_barrier
	buffer_gl0_inv
	ds_read_b128 v[24:27], v8
	ds_read2_b64 v[28:31], v7 offset1:16
	ds_read_b128 v[32:35], v8 offset:1024
	ds_read_b128 v[36:39], v8 offset:16
	ds_read_b128 v[40:43], v8 offset:32
	ds_read_b128 v[44:47], v8 offset:48
	ds_read2_b64 v[48:51], v7 offset0:32 offset1:48
	ds_read_b128 v[52:55], v8 offset:1040
	s_add_u32 s6, s6, 8
	s_addc_u32 s7, s7, 0
	v_cmp_gt_i64_e64 s9, s[16:17], s[6:7]
	s_and_b32 vcc_lo, exec_lo, s9
	s_waitcnt lgkmcnt(6)
	v_mul_f32_e32 v2, v25, v29
	v_mul_f32_e32 v56, v24, v29
	v_mul_f32_e32 v57, v25, v31
	v_mul_f32_e32 v58, v24, v31
	s_waitcnt lgkmcnt(5)
	v_mul_f32_e32 v59, v33, v29
	v_mul_f32_e32 v29, v32, v29
	;; [unrolled: 1-line block ×3, first 2 shown]
	v_fma_f32 v2, v24, v28, -v2
	v_fmac_f32_e32 v56, v25, v28
	v_fma_f32 v24, v24, v30, -v57
	v_fmac_f32_e32 v58, v25, v30
	v_fma_f32 v25, v32, v28, -v59
	v_fmac_f32_e32 v29, v33, v28
	v_mul_f32_e32 v31, v32, v31
	v_fma_f32 v28, v32, v30, -v60
	v_add_f32_e32 v2, v23, v2
	v_add_f32_e32 v23, v20, v24
	;; [unrolled: 1-line block ×5, first 2 shown]
	s_waitcnt lgkmcnt(1)
	v_mul_f32_e32 v32, v27, v49
	ds_read2_b64 v[18:21], v7 offset0:64 offset1:80
	v_fmac_f32_e32 v31, v33, v30
	v_add_f32_e32 v16, v16, v28
	v_mul_f32_e32 v28, v26, v49
	v_fma_f32 v30, v26, v48, -v32
	v_mul_f32_e32 v32, v27, v51
	v_add_f32_e32 v22, v22, v56
	v_add_f32_e32 v17, v17, v31
	v_fmac_f32_e32 v28, v27, v48
	v_mul_f32_e32 v31, v26, v51
	v_add_f32_e32 v2, v2, v30
	v_fma_f32 v26, v26, v50, -v32
	v_mul_f32_e32 v30, v35, v49
	v_add_f32_e32 v28, v22, v28
	v_fmac_f32_e32 v31, v27, v50
	v_mul_f32_e32 v22, v34, v49
	v_add_f32_e32 v26, v23, v26
	v_fma_f32 v23, v34, v48, -v30
	v_mul_f32_e32 v27, v35, v51
	v_add_f32_e32 v30, v24, v31
	v_fmac_f32_e32 v22, v35, v48
	v_mul_f32_e32 v31, v34, v51
	v_add_f32_e32 v32, v25, v23
	v_fma_f32 v23, v34, v50, -v27
	s_waitcnt lgkmcnt(0)
	v_mul_f32_e32 v24, v37, v19
	v_add_f32_e32 v27, v29, v22
	v_fmac_f32_e32 v31, v35, v50
	v_mul_f32_e32 v29, v36, v19
	v_add_f32_e32 v16, v16, v23
	v_fma_f32 v33, v36, v18, -v24
	v_mul_f32_e32 v34, v37, v21
	ds_read2_b64 v[22:25], v7 offset0:96 offset1:112
	v_fmac_f32_e32 v29, v37, v18
	v_add_f32_e32 v31, v17, v31
	v_add_f32_e32 v2, v2, v33
	v_mul_f32_e32 v17, v36, v21
	v_fma_f32 v33, v36, v20, -v34
	v_add_f32_e32 v28, v28, v29
	v_mul_f32_e32 v29, v53, v19
	v_mul_f32_e32 v19, v52, v19
	v_fmac_f32_e32 v17, v37, v20
	v_add_f32_e32 v26, v26, v33
	v_mul_f32_e32 v33, v53, v21
	v_mul_f32_e32 v21, v52, v21
	v_fmac_f32_e32 v19, v53, v18
	v_add_f32_e32 v30, v30, v17
	v_fma_f32 v29, v52, v18, -v29
	v_fma_f32 v17, v52, v20, -v33
	v_fmac_f32_e32 v21, v53, v20
	v_add_f32_e32 v33, v27, v19
	s_waitcnt lgkmcnt(0)
	v_mul_f32_e32 v20, v39, v23
	v_add_f32_e32 v34, v16, v17
	ds_read2_b64 v[16:19], v7 offset0:128 offset1:144
	v_add_f32_e32 v32, v32, v29
	v_mul_f32_e32 v27, v38, v23
	v_mul_f32_e32 v29, v39, v25
	v_fma_f32 v20, v38, v22, -v20
	v_add_f32_e32 v31, v31, v21
	v_mul_f32_e32 v21, v38, v25
	v_fmac_f32_e32 v27, v39, v22
	v_fma_f32 v29, v38, v24, -v29
	v_add_f32_e32 v2, v2, v20
	v_mul_f32_e32 v20, v55, v23
	v_fmac_f32_e32 v21, v39, v24
	v_add_f32_e32 v35, v28, v27
	v_add_f32_e32 v36, v26, v29
	v_mul_f32_e32 v23, v54, v23
	v_fma_f32 v20, v54, v22, -v20
	v_mul_f32_e32 v37, v55, v25
	ds_read_b128 v[26:29], v8 offset:1056
	v_add_f32_e32 v38, v30, v21
	v_fmac_f32_e32 v23, v55, v22
	v_mul_f32_e32 v25, v54, v25
	v_fma_f32 v21, v54, v24, -v37
	v_add_f32_e32 v37, v32, v20
	s_waitcnt lgkmcnt(1)
	v_mul_f32_e32 v20, v41, v17
	v_add_f32_e32 v39, v33, v23
	v_fmac_f32_e32 v25, v55, v24
	v_add_f32_e32 v24, v34, v21
	v_mul_f32_e32 v32, v41, v19
	v_fma_f32 v30, v40, v16, -v20
	ds_read2_b64 v[20:23], v7 offset0:160 offset1:176
	v_mul_f32_e32 v34, v40, v17
	v_add_f32_e32 v25, v31, v25
	v_fma_f32 v48, v40, v18, -v32
	v_mul_f32_e32 v40, v40, v19
	v_add_f32_e32 v2, v2, v30
	v_fmac_f32_e32 v34, v41, v16
	ds_read_b128 v[30:33], v8 offset:1072
	s_waitcnt lgkmcnt(2)
	v_mul_f32_e32 v49, v27, v17
	v_mul_f32_e32 v17, v26, v17
	v_fmac_f32_e32 v40, v41, v18
	v_mul_f32_e32 v41, v27, v19
	v_add_f32_e32 v34, v35, v34
	v_add_f32_e32 v35, v36, v48
	v_fma_f32 v36, v26, v16, -v49
	v_fmac_f32_e32 v17, v27, v16
	v_add_f32_e32 v38, v38, v40
	v_mul_f32_e32 v40, v26, v19
	v_fma_f32 v16, v26, v18, -v41
	v_add_f32_e32 v36, v37, v36
	v_add_f32_e32 v26, v39, v17
	s_waitcnt lgkmcnt(1)
	v_mul_f32_e32 v37, v43, v21
	v_fmac_f32_e32 v40, v27, v18
	v_add_f32_e32 v24, v24, v16
	ds_read2_b64 v[16:19], v7 offset0:192 offset1:208
	v_mul_f32_e32 v27, v42, v21
	v_fma_f32 v37, v42, v20, -v37
	v_mul_f32_e32 v39, v43, v23
	v_add_f32_e32 v40, v25, v40
	v_mul_f32_e32 v25, v42, v23
	v_fmac_f32_e32 v27, v43, v20
	v_add_f32_e32 v2, v2, v37
	v_fma_f32 v37, v42, v22, -v39
	v_fmac_f32_e32 v25, v43, v22
	v_add_f32_e32 v34, v34, v27
	v_mul_f32_e32 v27, v29, v21
	v_mul_f32_e32 v21, v28, v21
	v_add_f32_e32 v35, v35, v37
	v_mul_f32_e32 v37, v29, v23
	v_add_f32_e32 v38, v38, v25
	v_fma_f32 v27, v28, v20, -v27
	v_fmac_f32_e32 v21, v29, v20
	v_mul_f32_e32 v20, v28, v23
	v_fma_f32 v23, v28, v22, -v37
	s_waitcnt lgkmcnt(0)
	v_mul_f32_e32 v25, v45, v17
	v_add_f32_e32 v28, v36, v27
	v_add_f32_e32 v21, v26, v21
	v_fmac_f32_e32 v20, v29, v22
	v_add_f32_e32 v22, v24, v23
	v_fma_f32 v29, v44, v16, -v25
	ds_read2_b64 v[24:27], v7 offset0:224 offset1:240
	v_mul_f32_e32 v23, v44, v17
	v_mul_f32_e32 v37, v31, v17
	;; [unrolled: 1-line block ×4, first 2 shown]
	v_add_f32_e32 v2, v2, v29
	v_fmac_f32_e32 v23, v45, v16
	v_mul_f32_e32 v29, v44, v19
	v_fmac_f32_e32 v17, v31, v16
	v_fma_f32 v36, v44, v18, -v36
	v_add_f32_e32 v20, v40, v20
	v_add_f32_e32 v34, v34, v23
	v_fma_f32 v23, v30, v16, -v37
	v_mul_f32_e32 v16, v31, v19
	v_mul_f32_e32 v19, v30, v19
	v_fmac_f32_e32 v29, v45, v18
	v_add_f32_e32 v17, v21, v17
	v_add_f32_e32 v35, v35, v36
	v_fma_f32 v16, v30, v18, -v16
	v_fmac_f32_e32 v19, v31, v18
	s_waitcnt lgkmcnt(0)
	v_mul_f32_e32 v21, v47, v25
	v_mul_f32_e32 v18, v47, v27
	v_add_f32_e32 v28, v28, v23
	v_mul_f32_e32 v30, v46, v25
	v_mul_f32_e32 v31, v46, v27
	v_fma_f32 v21, v46, v24, -v21
	v_fma_f32 v18, v46, v26, -v18
	v_add_f32_e32 v36, v20, v19
	v_mul_f32_e32 v19, v32, v25
	v_add_f32_e32 v29, v38, v29
	v_add_f32_e32 v23, v2, v21
	;; [unrolled: 1-line block ×3, first 2 shown]
	v_mul_f32_e32 v2, v33, v25
	v_mul_f32_e32 v18, v33, v27
	;; [unrolled: 1-line block ×3, first 2 shown]
	v_add_f32_e32 v16, v22, v16
	v_fmac_f32_e32 v30, v47, v24
	v_fmac_f32_e32 v31, v47, v26
	v_fma_f32 v2, v32, v24, -v2
	v_fmac_f32_e32 v19, v33, v24
	v_fma_f32 v24, v32, v26, -v18
	v_fmac_f32_e32 v25, v33, v26
	v_add_f32_e32 v22, v34, v30
	v_add_f32_e32 v21, v29, v31
	;; [unrolled: 1-line block ×6, first 2 shown]
	s_barrier
	buffer_gl0_inv
	s_cbranch_vccz .LBB530_18
.LBB530_8:                              ; =>This Inner Loop Header: Depth=1
	s_mov_b32 s9, 0
	s_mov_b32 s11, s8
	s_and_saveexec_b32 s10, s0
	s_cbranch_execnz .LBB530_16
; %bb.9:                                ;   in Loop: Header=BB530_8 Depth=1
	s_or_b32 exec_lo, exec_lo, s10
	s_and_saveexec_b32 s10, s11
	s_xor_b32 s10, exec_lo, s10
	s_cbranch_execnz .LBB530_17
.LBB530_10:                             ;   in Loop: Header=BB530_8 Depth=1
	s_or_b32 exec_lo, exec_lo, s10
	v_mov_b32_e32 v24, 0
	s_and_saveexec_b32 s10, s9
	s_cbranch_execz .LBB530_12
.LBB530_11:                             ;   in Loop: Header=BB530_8 Depth=1
	v_lshlrev_b64 v[24:25], 3, v[4:5]
	v_add_co_u32 v24, vcc_lo, v14, v24
	v_add_co_ci_u32_e64 v25, null, v15, v25, vcc_lo
	flat_load_dwordx2 v[25:26], v[24:25]
	s_waitcnt vmcnt(0) lgkmcnt(0)
	v_xor_b32_e32 v24, 0x80000000, v26
	ds_write_b32 v10, v25
.LBB530_12:                             ;   in Loop: Header=BB530_8 Depth=1
	s_or_b32 exec_lo, exec_lo, s10
	v_add_nc_u32_e32 v2, s6, v6
	ds_write_b32 v10, v24 offset:4
	v_cmp_le_u64_e32 vcc_lo, s[16:17], v[2:3]
	s_or_b32 s9, vcc_lo, s1
	s_and_saveexec_b32 s10, s9
	s_xor_b32 s9, exec_lo, s10
; %bb.13:                               ;   in Loop: Header=BB530_8 Depth=1
	ds_write_b32 v11, v3
; %bb.14:                               ;   in Loop: Header=BB530_8 Depth=1
	s_or_saveexec_b32 s9, s9
	v_mov_b32_e32 v24, 0
	s_xor_b32 exec_lo, exec_lo, s9
	s_cbranch_execz .LBB530_7
; %bb.15:                               ;   in Loop: Header=BB530_8 Depth=1
	v_mad_u64_u32 v[24:25], null, s4, v2, 0
	v_mad_u64_u32 v[25:26], null, s5, v2, v[25:26]
	v_lshlrev_b64 v[24:25], 3, v[24:25]
	v_add_co_u32 v24, vcc_lo, v12, v24
	v_add_co_ci_u32_e64 v25, null, v13, v25, vcc_lo
	flat_load_dwordx2 v[25:26], v[24:25]
	s_waitcnt vmcnt(0) lgkmcnt(0)
	v_xor_b32_e32 v24, 0x80000000, v26
	ds_write_b32 v11, v25
	s_branch .LBB530_7
.LBB530_16:                             ;   in Loop: Header=BB530_8 Depth=1
	v_add_nc_u32_e32 v2, s6, v9
	v_mov_b32_e32 v5, v3
	s_andn2_b32 s11, s8, exec_lo
	s_mov_b32 s9, exec_lo
	v_cmp_le_u64_e32 vcc_lo, s[16:17], v[2:3]
	v_mov_b32_e32 v4, v2
	s_and_b32 s12, vcc_lo, exec_lo
	s_or_b32 s11, s11, s12
	s_or_b32 exec_lo, exec_lo, s10
	s_and_saveexec_b32 s10, s11
	s_xor_b32 s10, exec_lo, s10
	s_cbranch_execz .LBB530_10
.LBB530_17:                             ;   in Loop: Header=BB530_8 Depth=1
	s_andn2_b32 s9, s9, exec_lo
	ds_write_b32 v10, v3
	s_or_b32 exec_lo, exec_lo, s10
	v_mov_b32_e32 v24, 0
	s_and_saveexec_b32 s10, s9
	s_cbranch_execnz .LBB530_11
	s_branch .LBB530_12
.LBB530_18:
	v_add_nc_u32_e32 v9, s31, v1
	s_lshl_b64 s[0:1], s[22:23], 3
	v_add_nc_u32_e32 v0, s30, v0
	v_cmp_neq_f32_e64 s6, s20, 0
	s_waitcnt lgkmcnt(0)
	s_add_u32 s4, s24, s0
	v_ashrrev_i32_e32 v3, 31, v9
	v_mul_lo_u32 v4, s3, v9
	v_mad_u64_u32 v[1:2], null, s2, v9, 0
	s_addc_u32 s5, s25, s1
	v_mul_lo_u32 v3, s2, v3
	s_xor_b32 s7, s29, -1
	v_cmp_gt_i32_e64 s0, s28, v9
	v_cmp_le_i32_e32 vcc_lo, v0, v9
	s_or_b32 s6, s6, s7
	v_cndmask_b32_e64 v8, 0, 1, s6
	s_and_b32 s7, s0, vcc_lo
	v_add3_u32 v2, v2, v3, v4
	v_lshlrev_b64 v[2:3], 3, v[1:2]
	v_ashrrev_i32_e32 v1, 31, v0
	v_add_co_u32 v6, s1, s4, v2
	v_add_co_ci_u32_e64 v7, null, s5, v3, s1
	s_and_saveexec_b32 s1, s7
	s_cbranch_execz .LBB530_22
; %bb.19:
	v_lshlrev_b64 v[4:5], 3, v[0:1]
	v_mul_f32_e32 v2, s19, v22
	v_mul_f32_e32 v3, s18, v22
	v_fma_f32 v2, v23, s18, -v2
	v_add_co_u32 v4, vcc_lo, v6, v4
	v_fmac_f32_e32 v3, s19, v23
	v_add_co_ci_u32_e64 v5, null, v7, v5, vcc_lo
	s_andn2_b32 vcc_lo, exec_lo, s6
	s_cbranch_vccnz .LBB530_21
; %bb.20:
	flat_load_dwordx2 v[10:11], v[4:5]
	s_waitcnt vmcnt(0) lgkmcnt(0)
	v_mul_f32_e32 v12, s21, v11
	v_mul_f32_e32 v11, s20, v11
	v_fma_f32 v12, v10, s20, -v12
	v_fmac_f32_e32 v11, s21, v10
	v_add_f32_e32 v2, v2, v12
	v_add_f32_e32 v3, v3, v11
.LBB530_21:
	flat_store_dwordx2 v[4:5], v[2:3]
.LBB530_22:
	s_or_b32 exec_lo, exec_lo, s1
	v_add_nc_u32_e32 v2, 16, v0
	v_cmp_le_i32_e32 vcc_lo, v2, v9
	v_ashrrev_i32_e32 v3, 31, v2
	s_and_b32 s0, s0, vcc_lo
	s_and_saveexec_b32 s1, s0
	s_cbranch_execz .LBB530_26
; %bb.23:
	v_lshlrev_b64 v[10:11], 3, v[2:3]
	v_mul_f32_e32 v4, s19, v21
	v_mul_f32_e32 v5, s18, v21
	v_cmp_ne_u32_e32 vcc_lo, 1, v8
	v_fma_f32 v4, v20, s18, -v4
	v_add_co_u32 v6, s0, v6, v10
	v_fmac_f32_e32 v5, s19, v20
	v_add_co_ci_u32_e64 v7, null, v7, v11, s0
	s_cbranch_vccnz .LBB530_25
; %bb.24:
	flat_load_dwordx2 v[10:11], v[6:7]
	s_waitcnt vmcnt(0) lgkmcnt(0)
	v_mul_f32_e32 v12, s21, v11
	v_mul_f32_e32 v11, s20, v11
	v_fma_f32 v12, v10, s20, -v12
	v_fmac_f32_e32 v11, s21, v10
	v_add_f32_e32 v4, v4, v12
	v_add_f32_e32 v5, v5, v11
.LBB530_25:
	flat_store_dwordx2 v[6:7], v[4:5]
.LBB530_26:
	s_or_b32 exec_lo, exec_lo, s1
	v_add_nc_u32_e32 v9, 16, v9
	v_ashrrev_i32_e32 v6, 31, v9
	v_mul_lo_u32 v7, s3, v9
	v_mad_u64_u32 v[4:5], null, s2, v9, 0
	v_cmp_gt_i32_e64 s0, s28, v9
	v_mul_lo_u32 v6, s2, v6
	v_cmp_le_i32_e32 vcc_lo, v0, v9
	v_add3_u32 v5, v5, v6, v7
	v_lshlrev_b64 v[4:5], 3, v[4:5]
	v_add_co_u32 v6, s1, s4, v4
	v_add_co_ci_u32_e64 v7, null, s5, v5, s1
	s_and_b32 s1, s0, vcc_lo
	s_and_saveexec_b32 s2, s1
	s_cbranch_execz .LBB530_30
; %bb.27:
	v_lshlrev_b64 v[0:1], 3, v[0:1]
	v_mul_f32_e32 v4, s19, v19
	v_mul_f32_e32 v5, s18, v19
	v_cmp_ne_u32_e32 vcc_lo, 1, v8
	v_fma_f32 v4, v18, s18, -v4
	v_add_co_u32 v0, s1, v6, v0
	v_fmac_f32_e32 v5, s19, v18
	v_add_co_ci_u32_e64 v1, null, v7, v1, s1
	s_cbranch_vccnz .LBB530_29
; %bb.28:
	flat_load_dwordx2 v[10:11], v[0:1]
	s_waitcnt vmcnt(0) lgkmcnt(0)
	v_mul_f32_e32 v12, s21, v11
	v_mul_f32_e32 v11, s20, v11
	v_fma_f32 v12, v10, s20, -v12
	v_fmac_f32_e32 v11, s21, v10
	v_add_f32_e32 v4, v4, v12
	v_add_f32_e32 v5, v5, v11
.LBB530_29:
	flat_store_dwordx2 v[0:1], v[4:5]
.LBB530_30:
	s_or_b32 exec_lo, exec_lo, s2
	v_cmp_le_i32_e32 vcc_lo, v2, v9
	s_and_b32 s0, s0, vcc_lo
	s_and_saveexec_b32 s1, s0
	s_cbranch_execz .LBB530_34
; %bb.31:
	v_lshlrev_b64 v[2:3], 3, v[2:3]
	v_mul_f32_e32 v0, s19, v17
	v_mul_f32_e32 v1, s18, v17
	v_cmp_ne_u32_e32 vcc_lo, 1, v8
	v_fma_f32 v0, v16, s18, -v0
	v_add_co_u32 v2, s0, v6, v2
	v_fmac_f32_e32 v1, s19, v16
	v_add_co_ci_u32_e64 v3, null, v7, v3, s0
	s_cbranch_vccnz .LBB530_33
; %bb.32:
	flat_load_dwordx2 v[4:5], v[2:3]
	s_waitcnt vmcnt(0) lgkmcnt(0)
	v_mul_f32_e32 v6, s21, v5
	v_mul_f32_e32 v5, s20, v5
	v_fma_f32 v6, v4, s20, -v6
	v_fmac_f32_e32 v5, s21, v4
	v_add_f32_e32 v0, v0, v6
	v_add_f32_e32 v1, v1, v5
.LBB530_33:
	flat_store_dwordx2 v[2:3], v[0:1]
.LBB530_34:
	s_endpgm
	.section	.rodata,"a",@progbits
	.p2align	6, 0x0
	.amdhsa_kernel _ZL29rocblas_internal_gemmt_kernelIlLi16ELi32ELi8ELc67ELc67ELc85ELb1ELb1E19rocblas_complex_numIfES1_PKPKS1_PKPS1_EviT_T9_T10_S9_lSB_S9_lSA_T11_S9_li
		.amdhsa_group_segment_fixed_size 4096
		.amdhsa_private_segment_fixed_size 0
		.amdhsa_kernarg_size 108
		.amdhsa_user_sgpr_count 6
		.amdhsa_user_sgpr_private_segment_buffer 1
		.amdhsa_user_sgpr_dispatch_ptr 0
		.amdhsa_user_sgpr_queue_ptr 0
		.amdhsa_user_sgpr_kernarg_segment_ptr 1
		.amdhsa_user_sgpr_dispatch_id 0
		.amdhsa_user_sgpr_flat_scratch_init 0
		.amdhsa_user_sgpr_private_segment_size 0
		.amdhsa_wavefront_size32 1
		.amdhsa_uses_dynamic_stack 0
		.amdhsa_system_sgpr_private_segment_wavefront_offset 0
		.amdhsa_system_sgpr_workgroup_id_x 1
		.amdhsa_system_sgpr_workgroup_id_y 1
		.amdhsa_system_sgpr_workgroup_id_z 1
		.amdhsa_system_sgpr_workgroup_info 0
		.amdhsa_system_vgpr_workitem_id 1
		.amdhsa_next_free_vgpr 61
		.amdhsa_next_free_sgpr 32
		.amdhsa_reserve_vcc 1
		.amdhsa_reserve_flat_scratch 0
		.amdhsa_float_round_mode_32 0
		.amdhsa_float_round_mode_16_64 0
		.amdhsa_float_denorm_mode_32 3
		.amdhsa_float_denorm_mode_16_64 3
		.amdhsa_dx10_clamp 1
		.amdhsa_ieee_mode 1
		.amdhsa_fp16_overflow 0
		.amdhsa_workgroup_processor_mode 1
		.amdhsa_memory_ordered 1
		.amdhsa_forward_progress 1
		.amdhsa_shared_vgpr_count 0
		.amdhsa_exception_fp_ieee_invalid_op 0
		.amdhsa_exception_fp_denorm_src 0
		.amdhsa_exception_fp_ieee_div_zero 0
		.amdhsa_exception_fp_ieee_overflow 0
		.amdhsa_exception_fp_ieee_underflow 0
		.amdhsa_exception_fp_ieee_inexact 0
		.amdhsa_exception_int_div_zero 0
	.end_amdhsa_kernel
	.section	.text._ZL29rocblas_internal_gemmt_kernelIlLi16ELi32ELi8ELc67ELc67ELc85ELb1ELb1E19rocblas_complex_numIfES1_PKPKS1_PKPS1_EviT_T9_T10_S9_lSB_S9_lSA_T11_S9_li,"axG",@progbits,_ZL29rocblas_internal_gemmt_kernelIlLi16ELi32ELi8ELc67ELc67ELc85ELb1ELb1E19rocblas_complex_numIfES1_PKPKS1_PKPS1_EviT_T9_T10_S9_lSB_S9_lSA_T11_S9_li,comdat
.Lfunc_end530:
	.size	_ZL29rocblas_internal_gemmt_kernelIlLi16ELi32ELi8ELc67ELc67ELc85ELb1ELb1E19rocblas_complex_numIfES1_PKPKS1_PKPS1_EviT_T9_T10_S9_lSB_S9_lSA_T11_S9_li, .Lfunc_end530-_ZL29rocblas_internal_gemmt_kernelIlLi16ELi32ELi8ELc67ELc67ELc85ELb1ELb1E19rocblas_complex_numIfES1_PKPKS1_PKPS1_EviT_T9_T10_S9_lSB_S9_lSA_T11_S9_li
                                        ; -- End function
	.set _ZL29rocblas_internal_gemmt_kernelIlLi16ELi32ELi8ELc67ELc67ELc85ELb1ELb1E19rocblas_complex_numIfES1_PKPKS1_PKPS1_EviT_T9_T10_S9_lSB_S9_lSA_T11_S9_li.num_vgpr, 61
	.set _ZL29rocblas_internal_gemmt_kernelIlLi16ELi32ELi8ELc67ELc67ELc85ELb1ELb1E19rocblas_complex_numIfES1_PKPKS1_PKPS1_EviT_T9_T10_S9_lSB_S9_lSA_T11_S9_li.num_agpr, 0
	.set _ZL29rocblas_internal_gemmt_kernelIlLi16ELi32ELi8ELc67ELc67ELc85ELb1ELb1E19rocblas_complex_numIfES1_PKPKS1_PKPS1_EviT_T9_T10_S9_lSB_S9_lSA_T11_S9_li.numbered_sgpr, 32
	.set _ZL29rocblas_internal_gemmt_kernelIlLi16ELi32ELi8ELc67ELc67ELc85ELb1ELb1E19rocblas_complex_numIfES1_PKPKS1_PKPS1_EviT_T9_T10_S9_lSB_S9_lSA_T11_S9_li.num_named_barrier, 0
	.set _ZL29rocblas_internal_gemmt_kernelIlLi16ELi32ELi8ELc67ELc67ELc85ELb1ELb1E19rocblas_complex_numIfES1_PKPKS1_PKPS1_EviT_T9_T10_S9_lSB_S9_lSA_T11_S9_li.private_seg_size, 0
	.set _ZL29rocblas_internal_gemmt_kernelIlLi16ELi32ELi8ELc67ELc67ELc85ELb1ELb1E19rocblas_complex_numIfES1_PKPKS1_PKPS1_EviT_T9_T10_S9_lSB_S9_lSA_T11_S9_li.uses_vcc, 1
	.set _ZL29rocblas_internal_gemmt_kernelIlLi16ELi32ELi8ELc67ELc67ELc85ELb1ELb1E19rocblas_complex_numIfES1_PKPKS1_PKPS1_EviT_T9_T10_S9_lSB_S9_lSA_T11_S9_li.uses_flat_scratch, 0
	.set _ZL29rocblas_internal_gemmt_kernelIlLi16ELi32ELi8ELc67ELc67ELc85ELb1ELb1E19rocblas_complex_numIfES1_PKPKS1_PKPS1_EviT_T9_T10_S9_lSB_S9_lSA_T11_S9_li.has_dyn_sized_stack, 0
	.set _ZL29rocblas_internal_gemmt_kernelIlLi16ELi32ELi8ELc67ELc67ELc85ELb1ELb1E19rocblas_complex_numIfES1_PKPKS1_PKPS1_EviT_T9_T10_S9_lSB_S9_lSA_T11_S9_li.has_recursion, 0
	.set _ZL29rocblas_internal_gemmt_kernelIlLi16ELi32ELi8ELc67ELc67ELc85ELb1ELb1E19rocblas_complex_numIfES1_PKPKS1_PKPS1_EviT_T9_T10_S9_lSB_S9_lSA_T11_S9_li.has_indirect_call, 0
	.section	.AMDGPU.csdata,"",@progbits
; Kernel info:
; codeLenInByte = 2680
; TotalNumSgprs: 34
; NumVgprs: 61
; ScratchSize: 0
; MemoryBound: 0
; FloatMode: 240
; IeeeMode: 1
; LDSByteSize: 4096 bytes/workgroup (compile time only)
; SGPRBlocks: 0
; VGPRBlocks: 7
; NumSGPRsForWavesPerEU: 34
; NumVGPRsForWavesPerEU: 61
; Occupancy: 16
; WaveLimiterHint : 1
; COMPUTE_PGM_RSRC2:SCRATCH_EN: 0
; COMPUTE_PGM_RSRC2:USER_SGPR: 6
; COMPUTE_PGM_RSRC2:TRAP_HANDLER: 0
; COMPUTE_PGM_RSRC2:TGID_X_EN: 1
; COMPUTE_PGM_RSRC2:TGID_Y_EN: 1
; COMPUTE_PGM_RSRC2:TGID_Z_EN: 1
; COMPUTE_PGM_RSRC2:TIDIG_COMP_CNT: 1
	.section	.text._ZL29rocblas_internal_gemmt_kernelIlLi16ELi32ELi8ELc78ELc78ELc76ELb0ELb0E19rocblas_complex_numIfES1_PKPKS1_PKPS1_EviT_T9_T10_S9_lSB_S9_lSA_T11_S9_li,"axG",@progbits,_ZL29rocblas_internal_gemmt_kernelIlLi16ELi32ELi8ELc78ELc78ELc76ELb0ELb0E19rocblas_complex_numIfES1_PKPKS1_PKPS1_EviT_T9_T10_S9_lSB_S9_lSA_T11_S9_li,comdat
	.globl	_ZL29rocblas_internal_gemmt_kernelIlLi16ELi32ELi8ELc78ELc78ELc76ELb0ELb0E19rocblas_complex_numIfES1_PKPKS1_PKPS1_EviT_T9_T10_S9_lSB_S9_lSA_T11_S9_li ; -- Begin function _ZL29rocblas_internal_gemmt_kernelIlLi16ELi32ELi8ELc78ELc78ELc76ELb0ELb0E19rocblas_complex_numIfES1_PKPKS1_PKPS1_EviT_T9_T10_S9_lSB_S9_lSA_T11_S9_li
	.p2align	8
	.type	_ZL29rocblas_internal_gemmt_kernelIlLi16ELi32ELi8ELc78ELc78ELc76ELb0ELb0E19rocblas_complex_numIfES1_PKPKS1_PKPS1_EviT_T9_T10_S9_lSB_S9_lSA_T11_S9_li,@function
_ZL29rocblas_internal_gemmt_kernelIlLi16ELi32ELi8ELc78ELc78ELc76ELb0ELb0E19rocblas_complex_numIfES1_PKPKS1_PKPS1_EviT_T9_T10_S9_lSB_S9_lSA_T11_S9_li: ; @_ZL29rocblas_internal_gemmt_kernelIlLi16ELi32ELi8ELc78ELc78ELc76ELb0ELb0E19rocblas_complex_numIfES1_PKPKS1_PKPS1_EviT_T9_T10_S9_lSB_S9_lSA_T11_S9_li
; %bb.0:
	s_clause 0x1
	s_load_dwordx2 s[24:25], s[4:5], 0x48
	s_load_dwordx4 s[16:19], s[4:5], 0x8
	s_waitcnt lgkmcnt(0)
	s_and_b32 s0, s25, 0x7fffffff
	v_cmp_eq_f32_e64 s1, s24, 1.0
	s_cmp_eq_u32 s0, 0
	s_mov_b32 s0, 0
	s_cselect_b32 s31, -1, 0
	s_and_b32 s1, s1, s31
	s_andn2_b32 vcc_lo, exec_lo, s1
	s_mov_b32 s1, -1
	s_cbranch_vccnz .LBB531_4
; %bb.1:
	s_cmp_lg_u64 s[16:17], 0
	s_cbranch_scc0 .LBB531_3
; %bb.2:
	v_cmp_neq_f32_e64 s0, s18, 0
	v_cmp_neq_f32_e64 s1, s19, 0
	s_or_b32 s0, s0, s1
.LBB531_3:
	s_mov_b32 s1, s0
.LBB531_4:
	s_and_b32 vcc_lo, exec_lo, s1
	s_cbranch_vccz .LBB531_34
; %bb.5:
	s_clause 0x1
	s_load_dwordx4 s[20:23], s[4:5], 0x50
	s_load_dword s30, s[4:5], 0x0
	s_mov_b32 s9, 0
	s_load_dwordx2 s[26:27], s[4:5], 0x60
	s_lshl_b64 s[28:29], s[8:9], 3
	v_cmp_eq_f32_e64 s2, s18, 0
	v_cmp_eq_f32_e64 s3, s19, 0
	v_mov_b32_e32 v23, 0
	v_mov_b32_e32 v22, 0
	;; [unrolled: 1-line block ×8, first 2 shown]
	s_waitcnt lgkmcnt(0)
	s_add_u32 s0, s20, s28
	s_addc_u32 s1, s21, s29
	s_lshl_b32 s6, s6, 5
	s_load_dwordx2 s[20:21], s[0:1], 0x0
	v_cmp_lt_i64_e64 s0, s[16:17], 1
	s_and_b32 s1, s2, s3
	s_lshl_b32 s7, s7, 5
	s_or_b32 s0, s1, s0
	s_and_b32 vcc_lo, exec_lo, s0
	s_cbranch_vccnz .LBB531_18
; %bb.6:
	s_clause 0x1
	s_load_dwordx8 s[8:15], s[4:5], 0x18
	s_load_dwordx4 s[0:3], s[4:5], 0x38
	v_lshl_add_u32 v2, v1, 4, v0
	v_and_b32_e32 v6, 7, v0
	v_lshlrev_b32_e32 v7, 3, v0
	v_lshl_add_u32 v8, v1, 6, 0x800
	v_mov_b32_e32 v3, 0
	v_lshrrev_b32_e32 v10, 3, v2
	v_and_b32_e32 v13, 31, v2
	v_lshrrev_b32_e32 v9, 5, v2
	v_lshlrev_b32_e32 v23, 3, v6
	v_mov_b32_e32 v17, 0
	v_add_nc_u32_e32 v11, s7, v10
	v_or_b32_e32 v12, s6, v13
	v_lshlrev_b32_e32 v2, 3, v13
	v_lshl_or_b32 v23, v10, 6, v23
	v_mov_b32_e32 v16, 0
	v_ashrrev_i32_e32 v4, 31, v11
	v_ashrrev_i32_e32 v13, 31, v12
	v_cmp_gt_i32_e32 vcc_lo, s30, v11
	s_waitcnt lgkmcnt(0)
	s_add_u32 s4, s14, s28
	s_addc_u32 s5, s15, s29
	s_lshl_b64 s[2:3], s[2:3], 3
	s_load_dwordx2 s[4:5], s[4:5], 0x0
	v_mul_lo_u32 v14, s0, v4
	v_mad_u64_u32 v[4:5], null, s0, v11, 0
	v_mul_lo_u32 v15, s1, v11
	v_mov_b32_e32 v19, 0
	v_mov_b32_e32 v18, 0
	;; [unrolled: 1-line block ×5, first 2 shown]
	v_lshl_or_b32 v10, v9, 8, v2
	v_add_nc_u32_e32 v11, 0x800, v23
	v_add3_u32 v5, v5, v14, v15
	v_lshlrev_b64 v[14:15], 3, v[12:13]
	v_mov_b32_e32 v23, 0
	v_lshlrev_b64 v[4:5], 3, v[4:5]
	s_waitcnt lgkmcnt(0)
	s_add_u32 s14, s4, s2
	s_addc_u32 s5, s5, s3
	s_add_u32 s0, s8, s28
	s_addc_u32 s1, s9, s29
	v_cmp_le_i32_e64 s4, s30, v12
	s_load_dwordx2 s[2:3], s[0:1], 0x0
	v_cmp_gt_i32_e64 s0, s30, v12
	s_lshl_b64 s[8:9], s[12:13], 3
	v_add_co_u32 v12, s1, s14, v4
	v_add_co_ci_u32_e64 v13, null, s5, v5, s1
                                        ; implicit-def: $vgpr4_vgpr5
	s_waitcnt lgkmcnt(0)
	s_add_u32 s1, s2, s8
	s_addc_u32 s2, s3, s9
	v_add_co_u32 v14, s1, s1, v14
	v_add_co_ci_u32_e64 v15, null, s2, v15, s1
	s_mov_b64 s[2:3], 0
	s_xor_b32 s1, vcc_lo, -1
	s_branch .LBB531_8
.LBB531_7:                              ;   in Loop: Header=BB531_8 Depth=1
	s_or_b32 exec_lo, exec_lo, s5
	s_waitcnt lgkmcnt(0)
	s_barrier
	buffer_gl0_inv
	ds_read_b128 v[24:27], v8
	ds_read2_b64 v[28:31], v7 offset1:16
	ds_read_b128 v[32:35], v8 offset:1024
	ds_read_b128 v[36:39], v8 offset:16
	ds_read_b128 v[40:43], v8 offset:32
	ds_read_b128 v[44:47], v8 offset:48
	ds_read2_b64 v[48:51], v7 offset0:32 offset1:48
	ds_read_b128 v[52:55], v8 offset:1040
	s_add_u32 s2, s2, 8
	s_addc_u32 s3, s3, 0
	v_cmp_gt_i64_e64 s5, s[16:17], s[2:3]
	s_and_b32 vcc_lo, exec_lo, s5
	s_waitcnt lgkmcnt(6)
	v_mul_f32_e32 v2, v25, v29
	v_mul_f32_e32 v56, v24, v29
	;; [unrolled: 1-line block ×4, first 2 shown]
	s_waitcnt lgkmcnt(5)
	v_mul_f32_e32 v59, v33, v29
	v_mul_f32_e32 v29, v32, v29
	;; [unrolled: 1-line block ×3, first 2 shown]
	v_fma_f32 v2, v24, v28, -v2
	v_fmac_f32_e32 v56, v25, v28
	v_fma_f32 v24, v24, v30, -v57
	v_fmac_f32_e32 v58, v25, v30
	;; [unrolled: 2-line block ×3, first 2 shown]
	v_mul_f32_e32 v31, v32, v31
	v_fma_f32 v28, v32, v30, -v60
	v_add_f32_e32 v2, v23, v2
	v_add_f32_e32 v23, v20, v24
	;; [unrolled: 1-line block ×5, first 2 shown]
	s_waitcnt lgkmcnt(1)
	v_mul_f32_e32 v32, v27, v49
	ds_read2_b64 v[18:21], v7 offset0:64 offset1:80
	v_fmac_f32_e32 v31, v33, v30
	v_add_f32_e32 v16, v16, v28
	v_mul_f32_e32 v28, v26, v49
	v_fma_f32 v30, v26, v48, -v32
	v_mul_f32_e32 v32, v27, v51
	v_add_f32_e32 v22, v22, v56
	v_add_f32_e32 v17, v17, v31
	v_fmac_f32_e32 v28, v27, v48
	v_mul_f32_e32 v31, v26, v51
	v_add_f32_e32 v2, v2, v30
	v_fma_f32 v26, v26, v50, -v32
	v_mul_f32_e32 v30, v35, v49
	v_add_f32_e32 v28, v22, v28
	v_fmac_f32_e32 v31, v27, v50
	v_mul_f32_e32 v22, v34, v49
	v_add_f32_e32 v26, v23, v26
	v_fma_f32 v23, v34, v48, -v30
	v_mul_f32_e32 v27, v35, v51
	v_add_f32_e32 v30, v24, v31
	v_fmac_f32_e32 v22, v35, v48
	v_mul_f32_e32 v31, v34, v51
	v_add_f32_e32 v32, v25, v23
	v_fma_f32 v23, v34, v50, -v27
	s_waitcnt lgkmcnt(0)
	v_mul_f32_e32 v24, v37, v19
	v_add_f32_e32 v27, v29, v22
	v_fmac_f32_e32 v31, v35, v50
	v_mul_f32_e32 v29, v36, v19
	v_add_f32_e32 v16, v16, v23
	v_fma_f32 v33, v36, v18, -v24
	v_mul_f32_e32 v34, v37, v21
	ds_read2_b64 v[22:25], v7 offset0:96 offset1:112
	v_fmac_f32_e32 v29, v37, v18
	v_add_f32_e32 v31, v17, v31
	v_add_f32_e32 v2, v2, v33
	v_mul_f32_e32 v17, v36, v21
	v_fma_f32 v33, v36, v20, -v34
	v_add_f32_e32 v28, v28, v29
	v_mul_f32_e32 v29, v53, v19
	v_mul_f32_e32 v19, v52, v19
	v_fmac_f32_e32 v17, v37, v20
	v_add_f32_e32 v26, v26, v33
	v_mul_f32_e32 v33, v53, v21
	v_mul_f32_e32 v21, v52, v21
	v_fmac_f32_e32 v19, v53, v18
	v_add_f32_e32 v30, v30, v17
	v_fma_f32 v29, v52, v18, -v29
	v_fma_f32 v17, v52, v20, -v33
	v_fmac_f32_e32 v21, v53, v20
	v_add_f32_e32 v33, v27, v19
	s_waitcnt lgkmcnt(0)
	v_mul_f32_e32 v20, v39, v23
	v_add_f32_e32 v34, v16, v17
	ds_read2_b64 v[16:19], v7 offset0:128 offset1:144
	v_add_f32_e32 v32, v32, v29
	v_mul_f32_e32 v27, v38, v23
	v_mul_f32_e32 v29, v39, v25
	v_fma_f32 v20, v38, v22, -v20
	v_add_f32_e32 v31, v31, v21
	v_mul_f32_e32 v21, v38, v25
	v_fmac_f32_e32 v27, v39, v22
	v_fma_f32 v29, v38, v24, -v29
	v_add_f32_e32 v2, v2, v20
	v_mul_f32_e32 v20, v55, v23
	v_fmac_f32_e32 v21, v39, v24
	v_add_f32_e32 v35, v28, v27
	v_add_f32_e32 v36, v26, v29
	v_mul_f32_e32 v23, v54, v23
	v_fma_f32 v20, v54, v22, -v20
	v_mul_f32_e32 v37, v55, v25
	ds_read_b128 v[26:29], v8 offset:1056
	v_add_f32_e32 v38, v30, v21
	v_fmac_f32_e32 v23, v55, v22
	v_mul_f32_e32 v25, v54, v25
	v_fma_f32 v21, v54, v24, -v37
	v_add_f32_e32 v37, v32, v20
	s_waitcnt lgkmcnt(1)
	v_mul_f32_e32 v20, v41, v17
	v_add_f32_e32 v39, v33, v23
	v_fmac_f32_e32 v25, v55, v24
	v_add_f32_e32 v24, v34, v21
	v_mul_f32_e32 v32, v41, v19
	v_fma_f32 v30, v40, v16, -v20
	ds_read2_b64 v[20:23], v7 offset0:160 offset1:176
	v_mul_f32_e32 v34, v40, v17
	v_add_f32_e32 v25, v31, v25
	v_fma_f32 v48, v40, v18, -v32
	v_mul_f32_e32 v40, v40, v19
	v_add_f32_e32 v2, v2, v30
	v_fmac_f32_e32 v34, v41, v16
	ds_read_b128 v[30:33], v8 offset:1072
	s_waitcnt lgkmcnt(2)
	v_mul_f32_e32 v49, v27, v17
	v_mul_f32_e32 v17, v26, v17
	v_fmac_f32_e32 v40, v41, v18
	v_mul_f32_e32 v41, v27, v19
	v_add_f32_e32 v34, v35, v34
	v_add_f32_e32 v35, v36, v48
	v_fma_f32 v36, v26, v16, -v49
	v_fmac_f32_e32 v17, v27, v16
	v_add_f32_e32 v38, v38, v40
	v_mul_f32_e32 v40, v26, v19
	v_fma_f32 v16, v26, v18, -v41
	v_add_f32_e32 v36, v37, v36
	v_add_f32_e32 v26, v39, v17
	s_waitcnt lgkmcnt(1)
	v_mul_f32_e32 v37, v43, v21
	v_fmac_f32_e32 v40, v27, v18
	v_add_f32_e32 v24, v24, v16
	ds_read2_b64 v[16:19], v7 offset0:192 offset1:208
	v_mul_f32_e32 v27, v42, v21
	v_fma_f32 v37, v42, v20, -v37
	v_mul_f32_e32 v39, v43, v23
	v_add_f32_e32 v40, v25, v40
	v_mul_f32_e32 v25, v42, v23
	v_fmac_f32_e32 v27, v43, v20
	v_add_f32_e32 v2, v2, v37
	v_fma_f32 v37, v42, v22, -v39
	v_fmac_f32_e32 v25, v43, v22
	v_add_f32_e32 v34, v34, v27
	v_mul_f32_e32 v27, v29, v21
	v_mul_f32_e32 v21, v28, v21
	v_add_f32_e32 v35, v35, v37
	v_mul_f32_e32 v37, v29, v23
	v_add_f32_e32 v38, v38, v25
	v_fma_f32 v27, v28, v20, -v27
	v_fmac_f32_e32 v21, v29, v20
	v_mul_f32_e32 v20, v28, v23
	v_fma_f32 v23, v28, v22, -v37
	s_waitcnt lgkmcnt(0)
	v_mul_f32_e32 v25, v45, v17
	v_add_f32_e32 v28, v36, v27
	v_add_f32_e32 v21, v26, v21
	v_fmac_f32_e32 v20, v29, v22
	v_add_f32_e32 v22, v24, v23
	v_fma_f32 v29, v44, v16, -v25
	ds_read2_b64 v[24:27], v7 offset0:224 offset1:240
	v_mul_f32_e32 v23, v44, v17
	v_mul_f32_e32 v37, v31, v17
	;; [unrolled: 1-line block ×4, first 2 shown]
	v_add_f32_e32 v2, v2, v29
	v_fmac_f32_e32 v23, v45, v16
	v_mul_f32_e32 v29, v44, v19
	v_fmac_f32_e32 v17, v31, v16
	v_fma_f32 v36, v44, v18, -v36
	v_add_f32_e32 v20, v40, v20
	v_add_f32_e32 v34, v34, v23
	v_fma_f32 v23, v30, v16, -v37
	v_mul_f32_e32 v16, v31, v19
	v_mul_f32_e32 v19, v30, v19
	v_fmac_f32_e32 v29, v45, v18
	v_add_f32_e32 v17, v21, v17
	v_add_f32_e32 v35, v35, v36
	v_fma_f32 v16, v30, v18, -v16
	v_fmac_f32_e32 v19, v31, v18
	s_waitcnt lgkmcnt(0)
	v_mul_f32_e32 v21, v47, v25
	v_mul_f32_e32 v18, v47, v27
	v_add_f32_e32 v28, v28, v23
	v_mul_f32_e32 v30, v46, v25
	v_mul_f32_e32 v31, v46, v27
	v_fma_f32 v21, v46, v24, -v21
	v_fma_f32 v18, v46, v26, -v18
	v_add_f32_e32 v36, v20, v19
	v_mul_f32_e32 v19, v32, v25
	v_add_f32_e32 v29, v38, v29
	v_add_f32_e32 v23, v2, v21
	;; [unrolled: 1-line block ×3, first 2 shown]
	v_mul_f32_e32 v2, v33, v25
	v_mul_f32_e32 v18, v33, v27
	;; [unrolled: 1-line block ×3, first 2 shown]
	v_add_f32_e32 v16, v22, v16
	v_fmac_f32_e32 v30, v47, v24
	v_fmac_f32_e32 v31, v47, v26
	v_fma_f32 v2, v32, v24, -v2
	v_fmac_f32_e32 v19, v33, v24
	v_fma_f32 v24, v32, v26, -v18
	v_fmac_f32_e32 v25, v33, v26
	v_add_f32_e32 v22, v34, v30
	v_add_f32_e32 v21, v29, v31
	;; [unrolled: 1-line block ×6, first 2 shown]
	s_barrier
	buffer_gl0_inv
	s_cbranch_vccz .LBB531_18
.LBB531_8:                              ; =>This Inner Loop Header: Depth=1
	s_mov_b32 s9, s4
	s_mov_b32 s5, 0
	s_and_saveexec_b32 s8, s0
	s_cbranch_execnz .LBB531_16
; %bb.9:                                ;   in Loop: Header=BB531_8 Depth=1
	s_or_b32 exec_lo, exec_lo, s8
	s_and_saveexec_b32 s8, s9
	s_xor_b32 s8, exec_lo, s8
	s_cbranch_execnz .LBB531_17
.LBB531_10:                             ;   in Loop: Header=BB531_8 Depth=1
	s_or_b32 exec_lo, exec_lo, s8
	s_and_saveexec_b32 s8, s5
	s_cbranch_execz .LBB531_12
.LBB531_11:                             ;   in Loop: Header=BB531_8 Depth=1
	v_mul_lo_u32 v2, s11, v4
	v_mul_lo_u32 v26, s10, v5
	v_mad_u64_u32 v[24:25], null, s10, v4, 0
	v_add3_u32 v25, v25, v26, v2
	v_lshlrev_b64 v[24:25], 3, v[24:25]
	v_add_co_u32 v24, vcc_lo, v14, v24
	v_add_co_ci_u32_e64 v25, null, v15, v25, vcc_lo
	flat_load_dwordx2 v[24:25], v[24:25]
	s_waitcnt vmcnt(0) lgkmcnt(0)
	ds_write_b64 v10, v[24:25]
.LBB531_12:                             ;   in Loop: Header=BB531_8 Depth=1
	s_or_b32 exec_lo, exec_lo, s8
	v_add_nc_u32_e32 v2, s2, v6
	v_cmp_le_u64_e32 vcc_lo, s[16:17], v[2:3]
	s_or_b32 s5, vcc_lo, s1
	s_and_saveexec_b32 s8, s5
	s_xor_b32 s5, exec_lo, s8
; %bb.13:                               ;   in Loop: Header=BB531_8 Depth=1
	v_mov_b32_e32 v2, v3
	ds_write_b64 v11, v[2:3]
; %bb.14:                               ;   in Loop: Header=BB531_8 Depth=1
	s_andn2_saveexec_b32 s5, s5
	s_cbranch_execz .LBB531_7
; %bb.15:                               ;   in Loop: Header=BB531_8 Depth=1
	v_lshlrev_b64 v[24:25], 3, v[2:3]
	v_add_co_u32 v24, vcc_lo, v12, v24
	v_add_co_ci_u32_e64 v25, null, v13, v25, vcc_lo
	flat_load_dwordx2 v[24:25], v[24:25]
	s_waitcnt vmcnt(0) lgkmcnt(0)
	ds_write_b64 v11, v[24:25]
	s_branch .LBB531_7
.LBB531_16:                             ;   in Loop: Header=BB531_8 Depth=1
	v_add_nc_u32_e32 v2, s2, v9
	v_mov_b32_e32 v5, v3
	s_andn2_b32 s9, s4, exec_lo
	s_mov_b32 s5, exec_lo
	v_cmp_le_u64_e32 vcc_lo, s[16:17], v[2:3]
	v_mov_b32_e32 v4, v2
	s_and_b32 s12, vcc_lo, exec_lo
	s_or_b32 s9, s9, s12
	s_or_b32 exec_lo, exec_lo, s8
	s_and_saveexec_b32 s8, s9
	s_xor_b32 s8, exec_lo, s8
	s_cbranch_execz .LBB531_10
.LBB531_17:                             ;   in Loop: Header=BB531_8 Depth=1
	v_mov_b32_e32 v2, v3
	s_andn2_b32 s5, s5, exec_lo
	ds_write_b64 v10, v[2:3]
	s_or_b32 exec_lo, exec_lo, s8
	s_and_saveexec_b32 s8, s5
	s_cbranch_execnz .LBB531_11
	s_branch .LBB531_12
.LBB531_18:
	v_add_nc_u32_e32 v9, s7, v1
	s_lshl_b64 s[0:1], s[26:27], 3
	v_add_nc_u32_e32 v0, s6, v0
	v_cmp_neq_f32_e64 s2, s24, 0
	s_waitcnt lgkmcnt(0)
	s_add_u32 s3, s20, s0
	v_ashrrev_i32_e32 v3, 31, v9
	v_mul_lo_u32 v4, s23, v9
	v_mad_u64_u32 v[1:2], null, s22, v9, 0
	s_addc_u32 s4, s21, s1
	v_mul_lo_u32 v3, s22, v3
	s_xor_b32 s5, s31, -1
	v_cmp_le_i32_e32 vcc_lo, v9, v0
	v_cmp_gt_i32_e64 s0, s30, v0
	s_or_b32 s2, s2, s5
	v_cndmask_b32_e64 v8, 0, 1, s2
	s_and_b32 s5, vcc_lo, s0
	v_add3_u32 v2, v2, v3, v4
	v_lshlrev_b64 v[2:3], 3, v[1:2]
	v_ashrrev_i32_e32 v1, 31, v0
	v_add_co_u32 v6, s1, s3, v2
	v_add_co_ci_u32_e64 v7, null, s4, v3, s1
	s_and_saveexec_b32 s1, s5
	s_cbranch_execz .LBB531_22
; %bb.19:
	v_lshlrev_b64 v[4:5], 3, v[0:1]
	v_mul_f32_e32 v2, s19, v22
	v_mul_f32_e32 v3, s18, v22
	v_fma_f32 v2, v23, s18, -v2
	v_add_co_u32 v4, vcc_lo, v6, v4
	v_fmac_f32_e32 v3, s19, v23
	v_add_co_ci_u32_e64 v5, null, v7, v5, vcc_lo
	s_andn2_b32 vcc_lo, exec_lo, s2
	s_cbranch_vccnz .LBB531_21
; %bb.20:
	flat_load_dwordx2 v[10:11], v[4:5]
	s_waitcnt vmcnt(0) lgkmcnt(0)
	v_mul_f32_e32 v12, s25, v11
	v_mul_f32_e32 v11, s24, v11
	v_fma_f32 v12, v10, s24, -v12
	v_fmac_f32_e32 v11, s25, v10
	v_add_f32_e32 v2, v2, v12
	v_add_f32_e32 v3, v3, v11
.LBB531_21:
	flat_store_dwordx2 v[4:5], v[2:3]
.LBB531_22:
	s_or_b32 exec_lo, exec_lo, s1
	v_add_nc_u32_e32 v2, 16, v0
	v_cmp_le_i32_e32 vcc_lo, v9, v2
	v_cmp_gt_i32_e64 s1, s30, v2
	v_ashrrev_i32_e32 v3, 31, v2
	s_and_b32 s2, vcc_lo, s1
	s_and_saveexec_b32 s5, s2
	s_cbranch_execz .LBB531_26
; %bb.23:
	v_lshlrev_b64 v[10:11], 3, v[2:3]
	v_mul_f32_e32 v4, s19, v21
	v_mul_f32_e32 v5, s18, v21
	v_cmp_ne_u32_e32 vcc_lo, 1, v8
	v_fma_f32 v4, v20, s18, -v4
	v_add_co_u32 v6, s2, v6, v10
	v_fmac_f32_e32 v5, s19, v20
	v_add_co_ci_u32_e64 v7, null, v7, v11, s2
	s_cbranch_vccnz .LBB531_25
; %bb.24:
	flat_load_dwordx2 v[10:11], v[6:7]
	s_waitcnt vmcnt(0) lgkmcnt(0)
	v_mul_f32_e32 v12, s25, v11
	v_mul_f32_e32 v11, s24, v11
	v_fma_f32 v12, v10, s24, -v12
	v_fmac_f32_e32 v11, s25, v10
	v_add_f32_e32 v4, v4, v12
	v_add_f32_e32 v5, v5, v11
.LBB531_25:
	flat_store_dwordx2 v[6:7], v[4:5]
.LBB531_26:
	s_or_b32 exec_lo, exec_lo, s5
	v_add_nc_u32_e32 v9, 16, v9
	v_ashrrev_i32_e32 v6, 31, v9
	v_mul_lo_u32 v7, s23, v9
	v_mad_u64_u32 v[4:5], null, s22, v9, 0
	v_cmp_le_i32_e32 vcc_lo, v9, v0
	v_mul_lo_u32 v6, s22, v6
	s_and_b32 s0, vcc_lo, s0
	v_add3_u32 v5, v5, v6, v7
	v_lshlrev_b64 v[4:5], 3, v[4:5]
	v_add_co_u32 v6, s2, s3, v4
	v_add_co_ci_u32_e64 v7, null, s4, v5, s2
	s_and_saveexec_b32 s2, s0
	s_cbranch_execz .LBB531_30
; %bb.27:
	v_lshlrev_b64 v[0:1], 3, v[0:1]
	v_mul_f32_e32 v4, s19, v19
	v_mul_f32_e32 v5, s18, v19
	v_cmp_ne_u32_e32 vcc_lo, 1, v8
	v_fma_f32 v4, v18, s18, -v4
	v_add_co_u32 v0, s0, v6, v0
	v_fmac_f32_e32 v5, s19, v18
	v_add_co_ci_u32_e64 v1, null, v7, v1, s0
	s_cbranch_vccnz .LBB531_29
; %bb.28:
	flat_load_dwordx2 v[10:11], v[0:1]
	s_waitcnt vmcnt(0) lgkmcnt(0)
	v_mul_f32_e32 v12, s25, v11
	v_mul_f32_e32 v11, s24, v11
	v_fma_f32 v12, v10, s24, -v12
	v_fmac_f32_e32 v11, s25, v10
	v_add_f32_e32 v4, v4, v12
	v_add_f32_e32 v5, v5, v11
.LBB531_29:
	flat_store_dwordx2 v[0:1], v[4:5]
.LBB531_30:
	s_or_b32 exec_lo, exec_lo, s2
	v_cmp_le_i32_e32 vcc_lo, v9, v2
	s_and_b32 s0, vcc_lo, s1
	s_and_saveexec_b32 s1, s0
	s_cbranch_execz .LBB531_34
; %bb.31:
	v_lshlrev_b64 v[2:3], 3, v[2:3]
	v_mul_f32_e32 v0, s19, v17
	v_mul_f32_e32 v1, s18, v17
	v_cmp_ne_u32_e32 vcc_lo, 1, v8
	v_fma_f32 v0, v16, s18, -v0
	v_add_co_u32 v2, s0, v6, v2
	v_fmac_f32_e32 v1, s19, v16
	v_add_co_ci_u32_e64 v3, null, v7, v3, s0
	s_cbranch_vccnz .LBB531_33
; %bb.32:
	flat_load_dwordx2 v[4:5], v[2:3]
	s_waitcnt vmcnt(0) lgkmcnt(0)
	v_mul_f32_e32 v6, s25, v5
	v_mul_f32_e32 v5, s24, v5
	v_fma_f32 v6, v4, s24, -v6
	v_fmac_f32_e32 v5, s25, v4
	v_add_f32_e32 v0, v0, v6
	v_add_f32_e32 v1, v1, v5
.LBB531_33:
	flat_store_dwordx2 v[2:3], v[0:1]
.LBB531_34:
	s_endpgm
	.section	.rodata,"a",@progbits
	.p2align	6, 0x0
	.amdhsa_kernel _ZL29rocblas_internal_gemmt_kernelIlLi16ELi32ELi8ELc78ELc78ELc76ELb0ELb0E19rocblas_complex_numIfES1_PKPKS1_PKPS1_EviT_T9_T10_S9_lSB_S9_lSA_T11_S9_li
		.amdhsa_group_segment_fixed_size 4096
		.amdhsa_private_segment_fixed_size 0
		.amdhsa_kernarg_size 108
		.amdhsa_user_sgpr_count 6
		.amdhsa_user_sgpr_private_segment_buffer 1
		.amdhsa_user_sgpr_dispatch_ptr 0
		.amdhsa_user_sgpr_queue_ptr 0
		.amdhsa_user_sgpr_kernarg_segment_ptr 1
		.amdhsa_user_sgpr_dispatch_id 0
		.amdhsa_user_sgpr_flat_scratch_init 0
		.amdhsa_user_sgpr_private_segment_size 0
		.amdhsa_wavefront_size32 1
		.amdhsa_uses_dynamic_stack 0
		.amdhsa_system_sgpr_private_segment_wavefront_offset 0
		.amdhsa_system_sgpr_workgroup_id_x 1
		.amdhsa_system_sgpr_workgroup_id_y 1
		.amdhsa_system_sgpr_workgroup_id_z 1
		.amdhsa_system_sgpr_workgroup_info 0
		.amdhsa_system_vgpr_workitem_id 1
		.amdhsa_next_free_vgpr 61
		.amdhsa_next_free_sgpr 32
		.amdhsa_reserve_vcc 1
		.amdhsa_reserve_flat_scratch 0
		.amdhsa_float_round_mode_32 0
		.amdhsa_float_round_mode_16_64 0
		.amdhsa_float_denorm_mode_32 3
		.amdhsa_float_denorm_mode_16_64 3
		.amdhsa_dx10_clamp 1
		.amdhsa_ieee_mode 1
		.amdhsa_fp16_overflow 0
		.amdhsa_workgroup_processor_mode 1
		.amdhsa_memory_ordered 1
		.amdhsa_forward_progress 1
		.amdhsa_shared_vgpr_count 0
		.amdhsa_exception_fp_ieee_invalid_op 0
		.amdhsa_exception_fp_denorm_src 0
		.amdhsa_exception_fp_ieee_div_zero 0
		.amdhsa_exception_fp_ieee_overflow 0
		.amdhsa_exception_fp_ieee_underflow 0
		.amdhsa_exception_fp_ieee_inexact 0
		.amdhsa_exception_int_div_zero 0
	.end_amdhsa_kernel
	.section	.text._ZL29rocblas_internal_gemmt_kernelIlLi16ELi32ELi8ELc78ELc78ELc76ELb0ELb0E19rocblas_complex_numIfES1_PKPKS1_PKPS1_EviT_T9_T10_S9_lSB_S9_lSA_T11_S9_li,"axG",@progbits,_ZL29rocblas_internal_gemmt_kernelIlLi16ELi32ELi8ELc78ELc78ELc76ELb0ELb0E19rocblas_complex_numIfES1_PKPKS1_PKPS1_EviT_T9_T10_S9_lSB_S9_lSA_T11_S9_li,comdat
.Lfunc_end531:
	.size	_ZL29rocblas_internal_gemmt_kernelIlLi16ELi32ELi8ELc78ELc78ELc76ELb0ELb0E19rocblas_complex_numIfES1_PKPKS1_PKPS1_EviT_T9_T10_S9_lSB_S9_lSA_T11_S9_li, .Lfunc_end531-_ZL29rocblas_internal_gemmt_kernelIlLi16ELi32ELi8ELc78ELc78ELc76ELb0ELb0E19rocblas_complex_numIfES1_PKPKS1_PKPS1_EviT_T9_T10_S9_lSB_S9_lSA_T11_S9_li
                                        ; -- End function
	.set _ZL29rocblas_internal_gemmt_kernelIlLi16ELi32ELi8ELc78ELc78ELc76ELb0ELb0E19rocblas_complex_numIfES1_PKPKS1_PKPS1_EviT_T9_T10_S9_lSB_S9_lSA_T11_S9_li.num_vgpr, 61
	.set _ZL29rocblas_internal_gemmt_kernelIlLi16ELi32ELi8ELc78ELc78ELc76ELb0ELb0E19rocblas_complex_numIfES1_PKPKS1_PKPS1_EviT_T9_T10_S9_lSB_S9_lSA_T11_S9_li.num_agpr, 0
	.set _ZL29rocblas_internal_gemmt_kernelIlLi16ELi32ELi8ELc78ELc78ELc76ELb0ELb0E19rocblas_complex_numIfES1_PKPKS1_PKPS1_EviT_T9_T10_S9_lSB_S9_lSA_T11_S9_li.numbered_sgpr, 32
	.set _ZL29rocblas_internal_gemmt_kernelIlLi16ELi32ELi8ELc78ELc78ELc76ELb0ELb0E19rocblas_complex_numIfES1_PKPKS1_PKPS1_EviT_T9_T10_S9_lSB_S9_lSA_T11_S9_li.num_named_barrier, 0
	.set _ZL29rocblas_internal_gemmt_kernelIlLi16ELi32ELi8ELc78ELc78ELc76ELb0ELb0E19rocblas_complex_numIfES1_PKPKS1_PKPS1_EviT_T9_T10_S9_lSB_S9_lSA_T11_S9_li.private_seg_size, 0
	.set _ZL29rocblas_internal_gemmt_kernelIlLi16ELi32ELi8ELc78ELc78ELc76ELb0ELb0E19rocblas_complex_numIfES1_PKPKS1_PKPS1_EviT_T9_T10_S9_lSB_S9_lSA_T11_S9_li.uses_vcc, 1
	.set _ZL29rocblas_internal_gemmt_kernelIlLi16ELi32ELi8ELc78ELc78ELc76ELb0ELb0E19rocblas_complex_numIfES1_PKPKS1_PKPS1_EviT_T9_T10_S9_lSB_S9_lSA_T11_S9_li.uses_flat_scratch, 0
	.set _ZL29rocblas_internal_gemmt_kernelIlLi16ELi32ELi8ELc78ELc78ELc76ELb0ELb0E19rocblas_complex_numIfES1_PKPKS1_PKPS1_EviT_T9_T10_S9_lSB_S9_lSA_T11_S9_li.has_dyn_sized_stack, 0
	.set _ZL29rocblas_internal_gemmt_kernelIlLi16ELi32ELi8ELc78ELc78ELc76ELb0ELb0E19rocblas_complex_numIfES1_PKPKS1_PKPS1_EviT_T9_T10_S9_lSB_S9_lSA_T11_S9_li.has_recursion, 0
	.set _ZL29rocblas_internal_gemmt_kernelIlLi16ELi32ELi8ELc78ELc78ELc76ELb0ELb0E19rocblas_complex_numIfES1_PKPKS1_PKPS1_EviT_T9_T10_S9_lSB_S9_lSA_T11_S9_li.has_indirect_call, 0
	.section	.AMDGPU.csdata,"",@progbits
; Kernel info:
; codeLenInByte = 2660
; TotalNumSgprs: 34
; NumVgprs: 61
; ScratchSize: 0
; MemoryBound: 0
; FloatMode: 240
; IeeeMode: 1
; LDSByteSize: 4096 bytes/workgroup (compile time only)
; SGPRBlocks: 0
; VGPRBlocks: 7
; NumSGPRsForWavesPerEU: 34
; NumVGPRsForWavesPerEU: 61
; Occupancy: 16
; WaveLimiterHint : 1
; COMPUTE_PGM_RSRC2:SCRATCH_EN: 0
; COMPUTE_PGM_RSRC2:USER_SGPR: 6
; COMPUTE_PGM_RSRC2:TRAP_HANDLER: 0
; COMPUTE_PGM_RSRC2:TGID_X_EN: 1
; COMPUTE_PGM_RSRC2:TGID_Y_EN: 1
; COMPUTE_PGM_RSRC2:TGID_Z_EN: 1
; COMPUTE_PGM_RSRC2:TIDIG_COMP_CNT: 1
	.section	.text._ZL29rocblas_internal_gemmt_kernelIlLi16ELi32ELi8ELc78ELc84ELc76ELb0ELb0E19rocblas_complex_numIfES1_PKPKS1_PKPS1_EviT_T9_T10_S9_lSB_S9_lSA_T11_S9_li,"axG",@progbits,_ZL29rocblas_internal_gemmt_kernelIlLi16ELi32ELi8ELc78ELc84ELc76ELb0ELb0E19rocblas_complex_numIfES1_PKPKS1_PKPS1_EviT_T9_T10_S9_lSB_S9_lSA_T11_S9_li,comdat
	.globl	_ZL29rocblas_internal_gemmt_kernelIlLi16ELi32ELi8ELc78ELc84ELc76ELb0ELb0E19rocblas_complex_numIfES1_PKPKS1_PKPS1_EviT_T9_T10_S9_lSB_S9_lSA_T11_S9_li ; -- Begin function _ZL29rocblas_internal_gemmt_kernelIlLi16ELi32ELi8ELc78ELc84ELc76ELb0ELb0E19rocblas_complex_numIfES1_PKPKS1_PKPS1_EviT_T9_T10_S9_lSB_S9_lSA_T11_S9_li
	.p2align	8
	.type	_ZL29rocblas_internal_gemmt_kernelIlLi16ELi32ELi8ELc78ELc84ELc76ELb0ELb0E19rocblas_complex_numIfES1_PKPKS1_PKPS1_EviT_T9_T10_S9_lSB_S9_lSA_T11_S9_li,@function
_ZL29rocblas_internal_gemmt_kernelIlLi16ELi32ELi8ELc78ELc84ELc76ELb0ELb0E19rocblas_complex_numIfES1_PKPKS1_PKPS1_EviT_T9_T10_S9_lSB_S9_lSA_T11_S9_li: ; @_ZL29rocblas_internal_gemmt_kernelIlLi16ELi32ELi8ELc78ELc84ELc76ELb0ELb0E19rocblas_complex_numIfES1_PKPKS1_PKPS1_EviT_T9_T10_S9_lSB_S9_lSA_T11_S9_li
; %bb.0:
	s_clause 0x1
	s_load_dwordx2 s[24:25], s[4:5], 0x48
	s_load_dwordx4 s[16:19], s[4:5], 0x8
	s_waitcnt lgkmcnt(0)
	s_and_b32 s0, s25, 0x7fffffff
	v_cmp_eq_f32_e64 s1, s24, 1.0
	s_cmp_eq_u32 s0, 0
	s_mov_b32 s0, 0
	s_cselect_b32 s27, -1, 0
	s_and_b32 s1, s1, s27
	s_andn2_b32 vcc_lo, exec_lo, s1
	s_mov_b32 s1, -1
	s_cbranch_vccnz .LBB532_4
; %bb.1:
	s_cmp_lg_u64 s[16:17], 0
	s_cbranch_scc0 .LBB532_3
; %bb.2:
	v_cmp_neq_f32_e64 s0, s18, 0
	v_cmp_neq_f32_e64 s1, s19, 0
	s_or_b32 s0, s0, s1
.LBB532_3:
	s_mov_b32 s1, s0
.LBB532_4:
	s_and_b32 vcc_lo, exec_lo, s1
	s_cbranch_vccz .LBB532_34
; %bb.5:
	s_clause 0x1
	s_load_dwordx4 s[20:23], s[4:5], 0x50
	s_load_dword s26, s[4:5], 0x0
	s_mov_b32 s9, 0
	s_load_dwordx2 s[2:3], s[4:5], 0x60
	s_lshl_b64 s[0:1], s[8:9], 3
	v_cmp_eq_f32_e64 s10, s18, 0
	v_cmp_eq_f32_e64 s11, s19, 0
	v_mov_b32_e32 v23, 0
	v_mov_b32_e32 v22, 0
	;; [unrolled: 1-line block ×8, first 2 shown]
	s_waitcnt lgkmcnt(0)
	s_add_u32 s8, s20, s0
	s_addc_u32 s9, s21, s1
	s_lshl_b32 s28, s6, 5
	s_load_dwordx2 s[20:21], s[8:9], 0x0
	v_cmp_lt_i64_e64 s8, s[16:17], 1
	s_and_b32 s9, s10, s11
	s_lshl_b32 s29, s7, 5
	s_or_b32 s6, s9, s8
	s_and_b32 vcc_lo, exec_lo, s6
	s_cbranch_vccnz .LBB532_18
; %bb.6:
	s_clause 0x1
	s_load_dwordx8 s[8:15], s[4:5], 0x18
	s_load_dwordx4 s[4:7], s[4:5], 0x38
	v_lshl_add_u32 v2, v1, 4, v0
	v_and_b32_e32 v6, 7, v0
	v_lshlrev_b32_e32 v7, 3, v0
	v_lshl_add_u32 v8, v1, 6, 0x800
	v_mov_b32_e32 v3, 0
	v_lshrrev_b32_e32 v5, 3, v2
	v_and_b32_e32 v10, 31, v2
	v_lshlrev_b32_e32 v11, 3, v6
	v_lshrrev_b32_e32 v9, 5, v2
	v_mov_b32_e32 v17, 0
	v_add_nc_u32_e32 v4, s29, v5
	v_or_b32_e32 v12, s28, v10
	v_lshl_or_b32 v11, v5, 6, v11
	v_lshlrev_b32_e32 v2, 3, v10
	v_mov_b32_e32 v16, 0
	v_ashrrev_i32_e32 v5, 31, v4
	v_ashrrev_i32_e32 v13, 31, v12
	v_cmp_gt_i32_e32 vcc_lo, s26, v4
	s_waitcnt lgkmcnt(0)
	s_add_u32 s14, s14, s0
	s_addc_u32 s15, s15, s1
	s_lshl_b64 s[6:7], s[6:7], 3
	s_load_dwordx2 s[14:15], s[14:15], 0x0
	v_lshlrev_b64 v[14:15], 3, v[4:5]
	v_lshlrev_b64 v[4:5], 3, v[12:13]
	v_mov_b32_e32 v19, 0
	v_mov_b32_e32 v18, 0
	;; [unrolled: 1-line block ×5, first 2 shown]
	v_lshl_or_b32 v10, v9, 8, v2
	v_add_nc_u32_e32 v11, 0x800, v11
	v_mov_b32_e32 v23, 0
	s_waitcnt lgkmcnt(0)
	s_add_u32 s14, s14, s6
	s_addc_u32 s15, s15, s7
	s_add_u32 s0, s8, s0
	s_addc_u32 s1, s9, s1
	v_cmp_le_i32_e64 s8, s26, v12
	s_load_dwordx2 s[6:7], s[0:1], 0x0
	v_cmp_gt_i32_e64 s0, s26, v12
	s_lshl_b64 s[12:13], s[12:13], 3
	v_add_co_u32 v12, s1, s14, v14
	v_add_co_ci_u32_e64 v13, null, s15, v15, s1
	s_waitcnt lgkmcnt(0)
	s_add_u32 s1, s6, s12
	s_addc_u32 s6, s7, s13
	v_add_co_u32 v14, s1, s1, v4
	v_add_co_ci_u32_e64 v15, null, s6, v5, s1
	s_mov_b64 s[6:7], 0
	s_xor_b32 s1, vcc_lo, -1
                                        ; implicit-def: $vgpr4_vgpr5
	s_branch .LBB532_8
.LBB532_7:                              ;   in Loop: Header=BB532_8 Depth=1
	s_or_b32 exec_lo, exec_lo, s9
	s_waitcnt lgkmcnt(0)
	s_barrier
	buffer_gl0_inv
	ds_read_b128 v[24:27], v8
	ds_read2_b64 v[28:31], v7 offset1:16
	ds_read_b128 v[32:35], v8 offset:1024
	ds_read_b128 v[36:39], v8 offset:16
	;; [unrolled: 1-line block ×4, first 2 shown]
	ds_read2_b64 v[48:51], v7 offset0:32 offset1:48
	ds_read_b128 v[52:55], v8 offset:1040
	s_add_u32 s6, s6, 8
	s_addc_u32 s7, s7, 0
	v_cmp_gt_i64_e64 s9, s[16:17], s[6:7]
	s_and_b32 vcc_lo, exec_lo, s9
	s_waitcnt lgkmcnt(6)
	v_mul_f32_e32 v2, v25, v29
	v_mul_f32_e32 v56, v24, v29
	;; [unrolled: 1-line block ×4, first 2 shown]
	s_waitcnt lgkmcnt(5)
	v_mul_f32_e32 v59, v33, v29
	v_mul_f32_e32 v29, v32, v29
	;; [unrolled: 1-line block ×3, first 2 shown]
	v_fma_f32 v2, v24, v28, -v2
	v_fmac_f32_e32 v56, v25, v28
	v_fma_f32 v24, v24, v30, -v57
	v_fmac_f32_e32 v58, v25, v30
	;; [unrolled: 2-line block ×3, first 2 shown]
	v_mul_f32_e32 v31, v32, v31
	v_fma_f32 v28, v32, v30, -v60
	v_add_f32_e32 v2, v23, v2
	v_add_f32_e32 v23, v20, v24
	;; [unrolled: 1-line block ×5, first 2 shown]
	s_waitcnt lgkmcnt(1)
	v_mul_f32_e32 v32, v27, v49
	ds_read2_b64 v[18:21], v7 offset0:64 offset1:80
	v_fmac_f32_e32 v31, v33, v30
	v_add_f32_e32 v16, v16, v28
	v_mul_f32_e32 v28, v26, v49
	v_fma_f32 v30, v26, v48, -v32
	v_mul_f32_e32 v32, v27, v51
	v_add_f32_e32 v22, v22, v56
	v_add_f32_e32 v17, v17, v31
	v_fmac_f32_e32 v28, v27, v48
	v_mul_f32_e32 v31, v26, v51
	v_add_f32_e32 v2, v2, v30
	v_fma_f32 v26, v26, v50, -v32
	v_mul_f32_e32 v30, v35, v49
	v_add_f32_e32 v28, v22, v28
	v_fmac_f32_e32 v31, v27, v50
	v_mul_f32_e32 v22, v34, v49
	v_add_f32_e32 v26, v23, v26
	v_fma_f32 v23, v34, v48, -v30
	v_mul_f32_e32 v27, v35, v51
	v_add_f32_e32 v30, v24, v31
	v_fmac_f32_e32 v22, v35, v48
	v_mul_f32_e32 v31, v34, v51
	v_add_f32_e32 v32, v25, v23
	v_fma_f32 v23, v34, v50, -v27
	s_waitcnt lgkmcnt(0)
	v_mul_f32_e32 v24, v37, v19
	v_add_f32_e32 v27, v29, v22
	v_fmac_f32_e32 v31, v35, v50
	v_mul_f32_e32 v29, v36, v19
	v_add_f32_e32 v16, v16, v23
	v_fma_f32 v33, v36, v18, -v24
	v_mul_f32_e32 v34, v37, v21
	ds_read2_b64 v[22:25], v7 offset0:96 offset1:112
	v_fmac_f32_e32 v29, v37, v18
	v_add_f32_e32 v31, v17, v31
	v_add_f32_e32 v2, v2, v33
	v_mul_f32_e32 v17, v36, v21
	v_fma_f32 v33, v36, v20, -v34
	v_add_f32_e32 v28, v28, v29
	v_mul_f32_e32 v29, v53, v19
	v_mul_f32_e32 v19, v52, v19
	v_fmac_f32_e32 v17, v37, v20
	v_add_f32_e32 v26, v26, v33
	v_mul_f32_e32 v33, v53, v21
	v_mul_f32_e32 v21, v52, v21
	v_fmac_f32_e32 v19, v53, v18
	v_add_f32_e32 v30, v30, v17
	v_fma_f32 v29, v52, v18, -v29
	v_fma_f32 v17, v52, v20, -v33
	v_fmac_f32_e32 v21, v53, v20
	v_add_f32_e32 v33, v27, v19
	s_waitcnt lgkmcnt(0)
	v_mul_f32_e32 v20, v39, v23
	v_add_f32_e32 v34, v16, v17
	ds_read2_b64 v[16:19], v7 offset0:128 offset1:144
	v_add_f32_e32 v32, v32, v29
	v_mul_f32_e32 v27, v38, v23
	v_mul_f32_e32 v29, v39, v25
	v_fma_f32 v20, v38, v22, -v20
	v_add_f32_e32 v31, v31, v21
	v_mul_f32_e32 v21, v38, v25
	v_fmac_f32_e32 v27, v39, v22
	v_fma_f32 v29, v38, v24, -v29
	v_add_f32_e32 v2, v2, v20
	v_mul_f32_e32 v20, v55, v23
	v_fmac_f32_e32 v21, v39, v24
	v_add_f32_e32 v35, v28, v27
	v_add_f32_e32 v36, v26, v29
	v_mul_f32_e32 v23, v54, v23
	v_fma_f32 v20, v54, v22, -v20
	v_mul_f32_e32 v37, v55, v25
	ds_read_b128 v[26:29], v8 offset:1056
	v_add_f32_e32 v38, v30, v21
	v_fmac_f32_e32 v23, v55, v22
	v_mul_f32_e32 v25, v54, v25
	v_fma_f32 v21, v54, v24, -v37
	v_add_f32_e32 v37, v32, v20
	s_waitcnt lgkmcnt(1)
	v_mul_f32_e32 v20, v41, v17
	v_add_f32_e32 v39, v33, v23
	v_fmac_f32_e32 v25, v55, v24
	v_add_f32_e32 v24, v34, v21
	v_mul_f32_e32 v32, v41, v19
	v_fma_f32 v30, v40, v16, -v20
	ds_read2_b64 v[20:23], v7 offset0:160 offset1:176
	v_mul_f32_e32 v34, v40, v17
	v_add_f32_e32 v25, v31, v25
	v_fma_f32 v48, v40, v18, -v32
	v_mul_f32_e32 v40, v40, v19
	v_add_f32_e32 v2, v2, v30
	v_fmac_f32_e32 v34, v41, v16
	ds_read_b128 v[30:33], v8 offset:1072
	s_waitcnt lgkmcnt(2)
	v_mul_f32_e32 v49, v27, v17
	v_mul_f32_e32 v17, v26, v17
	v_fmac_f32_e32 v40, v41, v18
	v_mul_f32_e32 v41, v27, v19
	v_add_f32_e32 v34, v35, v34
	v_add_f32_e32 v35, v36, v48
	v_fma_f32 v36, v26, v16, -v49
	v_fmac_f32_e32 v17, v27, v16
	v_add_f32_e32 v38, v38, v40
	v_mul_f32_e32 v40, v26, v19
	v_fma_f32 v16, v26, v18, -v41
	v_add_f32_e32 v36, v37, v36
	v_add_f32_e32 v26, v39, v17
	s_waitcnt lgkmcnt(1)
	v_mul_f32_e32 v37, v43, v21
	v_fmac_f32_e32 v40, v27, v18
	v_add_f32_e32 v24, v24, v16
	ds_read2_b64 v[16:19], v7 offset0:192 offset1:208
	v_mul_f32_e32 v27, v42, v21
	v_fma_f32 v37, v42, v20, -v37
	v_mul_f32_e32 v39, v43, v23
	v_add_f32_e32 v40, v25, v40
	v_mul_f32_e32 v25, v42, v23
	v_fmac_f32_e32 v27, v43, v20
	v_add_f32_e32 v2, v2, v37
	v_fma_f32 v37, v42, v22, -v39
	v_fmac_f32_e32 v25, v43, v22
	v_add_f32_e32 v34, v34, v27
	v_mul_f32_e32 v27, v29, v21
	v_mul_f32_e32 v21, v28, v21
	v_add_f32_e32 v35, v35, v37
	v_mul_f32_e32 v37, v29, v23
	v_add_f32_e32 v38, v38, v25
	v_fma_f32 v27, v28, v20, -v27
	v_fmac_f32_e32 v21, v29, v20
	v_mul_f32_e32 v20, v28, v23
	v_fma_f32 v23, v28, v22, -v37
	s_waitcnt lgkmcnt(0)
	v_mul_f32_e32 v25, v45, v17
	v_add_f32_e32 v28, v36, v27
	v_add_f32_e32 v21, v26, v21
	v_fmac_f32_e32 v20, v29, v22
	v_add_f32_e32 v22, v24, v23
	v_fma_f32 v29, v44, v16, -v25
	ds_read2_b64 v[24:27], v7 offset0:224 offset1:240
	v_mul_f32_e32 v23, v44, v17
	v_mul_f32_e32 v37, v31, v17
	;; [unrolled: 1-line block ×4, first 2 shown]
	v_add_f32_e32 v2, v2, v29
	v_fmac_f32_e32 v23, v45, v16
	v_mul_f32_e32 v29, v44, v19
	v_fmac_f32_e32 v17, v31, v16
	v_fma_f32 v36, v44, v18, -v36
	v_add_f32_e32 v20, v40, v20
	v_add_f32_e32 v34, v34, v23
	v_fma_f32 v23, v30, v16, -v37
	v_mul_f32_e32 v16, v31, v19
	v_mul_f32_e32 v19, v30, v19
	v_fmac_f32_e32 v29, v45, v18
	v_add_f32_e32 v17, v21, v17
	v_add_f32_e32 v35, v35, v36
	v_fma_f32 v16, v30, v18, -v16
	v_fmac_f32_e32 v19, v31, v18
	s_waitcnt lgkmcnt(0)
	v_mul_f32_e32 v21, v47, v25
	v_mul_f32_e32 v18, v47, v27
	v_add_f32_e32 v28, v28, v23
	v_mul_f32_e32 v30, v46, v25
	v_mul_f32_e32 v31, v46, v27
	v_fma_f32 v21, v46, v24, -v21
	v_fma_f32 v18, v46, v26, -v18
	v_add_f32_e32 v36, v20, v19
	v_mul_f32_e32 v19, v32, v25
	v_add_f32_e32 v29, v38, v29
	v_add_f32_e32 v23, v2, v21
	;; [unrolled: 1-line block ×3, first 2 shown]
	v_mul_f32_e32 v2, v33, v25
	v_mul_f32_e32 v18, v33, v27
	v_mul_f32_e32 v25, v32, v27
	v_add_f32_e32 v16, v22, v16
	v_fmac_f32_e32 v30, v47, v24
	v_fmac_f32_e32 v31, v47, v26
	v_fma_f32 v2, v32, v24, -v2
	v_fmac_f32_e32 v19, v33, v24
	v_fma_f32 v24, v32, v26, -v18
	v_fmac_f32_e32 v25, v33, v26
	v_add_f32_e32 v22, v34, v30
	v_add_f32_e32 v21, v29, v31
	v_add_f32_e32 v18, v28, v2
	v_add_f32_e32 v19, v17, v19
	v_add_f32_e32 v16, v16, v24
	v_add_f32_e32 v17, v36, v25
	s_barrier
	buffer_gl0_inv
	s_cbranch_vccz .LBB532_18
.LBB532_8:                              ; =>This Inner Loop Header: Depth=1
	s_mov_b32 s13, s8
	s_mov_b32 s9, 0
	s_and_saveexec_b32 s12, s0
	s_cbranch_execnz .LBB532_16
; %bb.9:                                ;   in Loop: Header=BB532_8 Depth=1
	s_or_b32 exec_lo, exec_lo, s12
	s_and_saveexec_b32 s12, s13
	s_xor_b32 s12, exec_lo, s12
	s_cbranch_execnz .LBB532_17
.LBB532_10:                             ;   in Loop: Header=BB532_8 Depth=1
	s_or_b32 exec_lo, exec_lo, s12
	s_and_saveexec_b32 s12, s9
	s_cbranch_execz .LBB532_12
.LBB532_11:                             ;   in Loop: Header=BB532_8 Depth=1
	v_mul_lo_u32 v2, s11, v4
	v_mul_lo_u32 v26, s10, v5
	v_mad_u64_u32 v[24:25], null, s10, v4, 0
	v_add3_u32 v25, v25, v26, v2
	v_lshlrev_b64 v[24:25], 3, v[24:25]
	v_add_co_u32 v24, vcc_lo, v14, v24
	v_add_co_ci_u32_e64 v25, null, v15, v25, vcc_lo
	flat_load_dwordx2 v[24:25], v[24:25]
	s_waitcnt vmcnt(0) lgkmcnt(0)
	ds_write_b64 v10, v[24:25]
.LBB532_12:                             ;   in Loop: Header=BB532_8 Depth=1
	s_or_b32 exec_lo, exec_lo, s12
	v_add_nc_u32_e32 v2, s6, v6
	v_cmp_le_u64_e32 vcc_lo, s[16:17], v[2:3]
	s_or_b32 s9, vcc_lo, s1
	s_and_saveexec_b32 s12, s9
	s_xor_b32 s9, exec_lo, s12
; %bb.13:                               ;   in Loop: Header=BB532_8 Depth=1
	v_mov_b32_e32 v2, v3
	ds_write_b64 v11, v[2:3]
; %bb.14:                               ;   in Loop: Header=BB532_8 Depth=1
	s_andn2_saveexec_b32 s9, s9
	s_cbranch_execz .LBB532_7
; %bb.15:                               ;   in Loop: Header=BB532_8 Depth=1
	v_mad_u64_u32 v[24:25], null, s4, v2, 0
	v_mad_u64_u32 v[25:26], null, s5, v2, v[25:26]
	v_lshlrev_b64 v[24:25], 3, v[24:25]
	v_add_co_u32 v24, vcc_lo, v12, v24
	v_add_co_ci_u32_e64 v25, null, v13, v25, vcc_lo
	flat_load_dwordx2 v[24:25], v[24:25]
	s_waitcnt vmcnt(0) lgkmcnt(0)
	ds_write_b64 v11, v[24:25]
	s_branch .LBB532_7
.LBB532_16:                             ;   in Loop: Header=BB532_8 Depth=1
	v_add_nc_u32_e32 v2, s6, v9
	v_mov_b32_e32 v5, v3
	s_andn2_b32 s13, s8, exec_lo
	s_mov_b32 s9, exec_lo
	v_cmp_le_u64_e32 vcc_lo, s[16:17], v[2:3]
	v_mov_b32_e32 v4, v2
	s_and_b32 s14, vcc_lo, exec_lo
	s_or_b32 s13, s13, s14
	s_or_b32 exec_lo, exec_lo, s12
	s_and_saveexec_b32 s12, s13
	s_xor_b32 s12, exec_lo, s12
	s_cbranch_execz .LBB532_10
.LBB532_17:                             ;   in Loop: Header=BB532_8 Depth=1
	v_mov_b32_e32 v2, v3
	s_andn2_b32 s9, s9, exec_lo
	ds_write_b64 v10, v[2:3]
	s_or_b32 exec_lo, exec_lo, s12
	s_and_saveexec_b32 s12, s9
	s_cbranch_execnz .LBB532_11
	s_branch .LBB532_12
.LBB532_18:
	v_add_nc_u32_e32 v9, s29, v1
	s_lshl_b64 s[0:1], s[2:3], 3
	v_add_nc_u32_e32 v0, s28, v0
	v_cmp_neq_f32_e64 s2, s24, 0
	s_waitcnt lgkmcnt(0)
	s_add_u32 s3, s20, s0
	v_ashrrev_i32_e32 v3, 31, v9
	v_mul_lo_u32 v4, s23, v9
	v_mad_u64_u32 v[1:2], null, s22, v9, 0
	s_addc_u32 s4, s21, s1
	v_mul_lo_u32 v3, s22, v3
	s_xor_b32 s5, s27, -1
	v_cmp_le_i32_e32 vcc_lo, v9, v0
	v_cmp_gt_i32_e64 s0, s26, v0
	s_or_b32 s2, s2, s5
	v_cndmask_b32_e64 v8, 0, 1, s2
	s_and_b32 s5, vcc_lo, s0
	v_add3_u32 v2, v2, v3, v4
	v_lshlrev_b64 v[2:3], 3, v[1:2]
	v_ashrrev_i32_e32 v1, 31, v0
	v_add_co_u32 v6, s1, s3, v2
	v_add_co_ci_u32_e64 v7, null, s4, v3, s1
	s_and_saveexec_b32 s1, s5
	s_cbranch_execz .LBB532_22
; %bb.19:
	v_lshlrev_b64 v[4:5], 3, v[0:1]
	v_mul_f32_e32 v2, s19, v22
	v_mul_f32_e32 v3, s18, v22
	v_fma_f32 v2, v23, s18, -v2
	v_add_co_u32 v4, vcc_lo, v6, v4
	v_fmac_f32_e32 v3, s19, v23
	v_add_co_ci_u32_e64 v5, null, v7, v5, vcc_lo
	s_andn2_b32 vcc_lo, exec_lo, s2
	s_cbranch_vccnz .LBB532_21
; %bb.20:
	flat_load_dwordx2 v[10:11], v[4:5]
	s_waitcnt vmcnt(0) lgkmcnt(0)
	v_mul_f32_e32 v12, s25, v11
	v_mul_f32_e32 v11, s24, v11
	v_fma_f32 v12, v10, s24, -v12
	v_fmac_f32_e32 v11, s25, v10
	v_add_f32_e32 v2, v2, v12
	v_add_f32_e32 v3, v3, v11
.LBB532_21:
	flat_store_dwordx2 v[4:5], v[2:3]
.LBB532_22:
	s_or_b32 exec_lo, exec_lo, s1
	v_add_nc_u32_e32 v2, 16, v0
	v_cmp_le_i32_e32 vcc_lo, v9, v2
	v_cmp_gt_i32_e64 s1, s26, v2
	v_ashrrev_i32_e32 v3, 31, v2
	s_and_b32 s2, vcc_lo, s1
	s_and_saveexec_b32 s5, s2
	s_cbranch_execz .LBB532_26
; %bb.23:
	v_lshlrev_b64 v[10:11], 3, v[2:3]
	v_mul_f32_e32 v4, s19, v21
	v_mul_f32_e32 v5, s18, v21
	v_cmp_ne_u32_e32 vcc_lo, 1, v8
	v_fma_f32 v4, v20, s18, -v4
	v_add_co_u32 v6, s2, v6, v10
	v_fmac_f32_e32 v5, s19, v20
	v_add_co_ci_u32_e64 v7, null, v7, v11, s2
	s_cbranch_vccnz .LBB532_25
; %bb.24:
	flat_load_dwordx2 v[10:11], v[6:7]
	s_waitcnt vmcnt(0) lgkmcnt(0)
	v_mul_f32_e32 v12, s25, v11
	v_mul_f32_e32 v11, s24, v11
	v_fma_f32 v12, v10, s24, -v12
	v_fmac_f32_e32 v11, s25, v10
	v_add_f32_e32 v4, v4, v12
	v_add_f32_e32 v5, v5, v11
.LBB532_25:
	flat_store_dwordx2 v[6:7], v[4:5]
.LBB532_26:
	s_or_b32 exec_lo, exec_lo, s5
	v_add_nc_u32_e32 v9, 16, v9
	v_ashrrev_i32_e32 v6, 31, v9
	v_mul_lo_u32 v7, s23, v9
	v_mad_u64_u32 v[4:5], null, s22, v9, 0
	v_cmp_le_i32_e32 vcc_lo, v9, v0
	v_mul_lo_u32 v6, s22, v6
	s_and_b32 s0, vcc_lo, s0
	v_add3_u32 v5, v5, v6, v7
	v_lshlrev_b64 v[4:5], 3, v[4:5]
	v_add_co_u32 v6, s2, s3, v4
	v_add_co_ci_u32_e64 v7, null, s4, v5, s2
	s_and_saveexec_b32 s2, s0
	s_cbranch_execz .LBB532_30
; %bb.27:
	v_lshlrev_b64 v[0:1], 3, v[0:1]
	v_mul_f32_e32 v4, s19, v19
	v_mul_f32_e32 v5, s18, v19
	v_cmp_ne_u32_e32 vcc_lo, 1, v8
	v_fma_f32 v4, v18, s18, -v4
	v_add_co_u32 v0, s0, v6, v0
	v_fmac_f32_e32 v5, s19, v18
	v_add_co_ci_u32_e64 v1, null, v7, v1, s0
	s_cbranch_vccnz .LBB532_29
; %bb.28:
	flat_load_dwordx2 v[10:11], v[0:1]
	s_waitcnt vmcnt(0) lgkmcnt(0)
	v_mul_f32_e32 v12, s25, v11
	v_mul_f32_e32 v11, s24, v11
	v_fma_f32 v12, v10, s24, -v12
	v_fmac_f32_e32 v11, s25, v10
	v_add_f32_e32 v4, v4, v12
	v_add_f32_e32 v5, v5, v11
.LBB532_29:
	flat_store_dwordx2 v[0:1], v[4:5]
.LBB532_30:
	s_or_b32 exec_lo, exec_lo, s2
	v_cmp_le_i32_e32 vcc_lo, v9, v2
	s_and_b32 s0, vcc_lo, s1
	s_and_saveexec_b32 s1, s0
	s_cbranch_execz .LBB532_34
; %bb.31:
	v_lshlrev_b64 v[2:3], 3, v[2:3]
	v_mul_f32_e32 v0, s19, v17
	v_mul_f32_e32 v1, s18, v17
	v_cmp_ne_u32_e32 vcc_lo, 1, v8
	v_fma_f32 v0, v16, s18, -v0
	v_add_co_u32 v2, s0, v6, v2
	v_fmac_f32_e32 v1, s19, v16
	v_add_co_ci_u32_e64 v3, null, v7, v3, s0
	s_cbranch_vccnz .LBB532_33
; %bb.32:
	flat_load_dwordx2 v[4:5], v[2:3]
	s_waitcnt vmcnt(0) lgkmcnt(0)
	v_mul_f32_e32 v6, s25, v5
	v_mul_f32_e32 v5, s24, v5
	v_fma_f32 v6, v4, s24, -v6
	v_fmac_f32_e32 v5, s25, v4
	v_add_f32_e32 v0, v0, v6
	v_add_f32_e32 v1, v1, v5
.LBB532_33:
	flat_store_dwordx2 v[2:3], v[0:1]
.LBB532_34:
	s_endpgm
	.section	.rodata,"a",@progbits
	.p2align	6, 0x0
	.amdhsa_kernel _ZL29rocblas_internal_gemmt_kernelIlLi16ELi32ELi8ELc78ELc84ELc76ELb0ELb0E19rocblas_complex_numIfES1_PKPKS1_PKPS1_EviT_T9_T10_S9_lSB_S9_lSA_T11_S9_li
		.amdhsa_group_segment_fixed_size 4096
		.amdhsa_private_segment_fixed_size 0
		.amdhsa_kernarg_size 108
		.amdhsa_user_sgpr_count 6
		.amdhsa_user_sgpr_private_segment_buffer 1
		.amdhsa_user_sgpr_dispatch_ptr 0
		.amdhsa_user_sgpr_queue_ptr 0
		.amdhsa_user_sgpr_kernarg_segment_ptr 1
		.amdhsa_user_sgpr_dispatch_id 0
		.amdhsa_user_sgpr_flat_scratch_init 0
		.amdhsa_user_sgpr_private_segment_size 0
		.amdhsa_wavefront_size32 1
		.amdhsa_uses_dynamic_stack 0
		.amdhsa_system_sgpr_private_segment_wavefront_offset 0
		.amdhsa_system_sgpr_workgroup_id_x 1
		.amdhsa_system_sgpr_workgroup_id_y 1
		.amdhsa_system_sgpr_workgroup_id_z 1
		.amdhsa_system_sgpr_workgroup_info 0
		.amdhsa_system_vgpr_workitem_id 1
		.amdhsa_next_free_vgpr 61
		.amdhsa_next_free_sgpr 30
		.amdhsa_reserve_vcc 1
		.amdhsa_reserve_flat_scratch 0
		.amdhsa_float_round_mode_32 0
		.amdhsa_float_round_mode_16_64 0
		.amdhsa_float_denorm_mode_32 3
		.amdhsa_float_denorm_mode_16_64 3
		.amdhsa_dx10_clamp 1
		.amdhsa_ieee_mode 1
		.amdhsa_fp16_overflow 0
		.amdhsa_workgroup_processor_mode 1
		.amdhsa_memory_ordered 1
		.amdhsa_forward_progress 1
		.amdhsa_shared_vgpr_count 0
		.amdhsa_exception_fp_ieee_invalid_op 0
		.amdhsa_exception_fp_denorm_src 0
		.amdhsa_exception_fp_ieee_div_zero 0
		.amdhsa_exception_fp_ieee_overflow 0
		.amdhsa_exception_fp_ieee_underflow 0
		.amdhsa_exception_fp_ieee_inexact 0
		.amdhsa_exception_int_div_zero 0
	.end_amdhsa_kernel
	.section	.text._ZL29rocblas_internal_gemmt_kernelIlLi16ELi32ELi8ELc78ELc84ELc76ELb0ELb0E19rocblas_complex_numIfES1_PKPKS1_PKPS1_EviT_T9_T10_S9_lSB_S9_lSA_T11_S9_li,"axG",@progbits,_ZL29rocblas_internal_gemmt_kernelIlLi16ELi32ELi8ELc78ELc84ELc76ELb0ELb0E19rocblas_complex_numIfES1_PKPKS1_PKPS1_EviT_T9_T10_S9_lSB_S9_lSA_T11_S9_li,comdat
.Lfunc_end532:
	.size	_ZL29rocblas_internal_gemmt_kernelIlLi16ELi32ELi8ELc78ELc84ELc76ELb0ELb0E19rocblas_complex_numIfES1_PKPKS1_PKPS1_EviT_T9_T10_S9_lSB_S9_lSA_T11_S9_li, .Lfunc_end532-_ZL29rocblas_internal_gemmt_kernelIlLi16ELi32ELi8ELc78ELc84ELc76ELb0ELb0E19rocblas_complex_numIfES1_PKPKS1_PKPS1_EviT_T9_T10_S9_lSB_S9_lSA_T11_S9_li
                                        ; -- End function
	.set _ZL29rocblas_internal_gemmt_kernelIlLi16ELi32ELi8ELc78ELc84ELc76ELb0ELb0E19rocblas_complex_numIfES1_PKPKS1_PKPS1_EviT_T9_T10_S9_lSB_S9_lSA_T11_S9_li.num_vgpr, 61
	.set _ZL29rocblas_internal_gemmt_kernelIlLi16ELi32ELi8ELc78ELc84ELc76ELb0ELb0E19rocblas_complex_numIfES1_PKPKS1_PKPS1_EviT_T9_T10_S9_lSB_S9_lSA_T11_S9_li.num_agpr, 0
	.set _ZL29rocblas_internal_gemmt_kernelIlLi16ELi32ELi8ELc78ELc84ELc76ELb0ELb0E19rocblas_complex_numIfES1_PKPKS1_PKPS1_EviT_T9_T10_S9_lSB_S9_lSA_T11_S9_li.numbered_sgpr, 30
	.set _ZL29rocblas_internal_gemmt_kernelIlLi16ELi32ELi8ELc78ELc84ELc76ELb0ELb0E19rocblas_complex_numIfES1_PKPKS1_PKPS1_EviT_T9_T10_S9_lSB_S9_lSA_T11_S9_li.num_named_barrier, 0
	.set _ZL29rocblas_internal_gemmt_kernelIlLi16ELi32ELi8ELc78ELc84ELc76ELb0ELb0E19rocblas_complex_numIfES1_PKPKS1_PKPS1_EviT_T9_T10_S9_lSB_S9_lSA_T11_S9_li.private_seg_size, 0
	.set _ZL29rocblas_internal_gemmt_kernelIlLi16ELi32ELi8ELc78ELc84ELc76ELb0ELb0E19rocblas_complex_numIfES1_PKPKS1_PKPS1_EviT_T9_T10_S9_lSB_S9_lSA_T11_S9_li.uses_vcc, 1
	.set _ZL29rocblas_internal_gemmt_kernelIlLi16ELi32ELi8ELc78ELc84ELc76ELb0ELb0E19rocblas_complex_numIfES1_PKPKS1_PKPS1_EviT_T9_T10_S9_lSB_S9_lSA_T11_S9_li.uses_flat_scratch, 0
	.set _ZL29rocblas_internal_gemmt_kernelIlLi16ELi32ELi8ELc78ELc84ELc76ELb0ELb0E19rocblas_complex_numIfES1_PKPKS1_PKPS1_EviT_T9_T10_S9_lSB_S9_lSA_T11_S9_li.has_dyn_sized_stack, 0
	.set _ZL29rocblas_internal_gemmt_kernelIlLi16ELi32ELi8ELc78ELc84ELc76ELb0ELb0E19rocblas_complex_numIfES1_PKPKS1_PKPS1_EviT_T9_T10_S9_lSB_S9_lSA_T11_S9_li.has_recursion, 0
	.set _ZL29rocblas_internal_gemmt_kernelIlLi16ELi32ELi8ELc78ELc84ELc76ELb0ELb0E19rocblas_complex_numIfES1_PKPKS1_PKPS1_EviT_T9_T10_S9_lSB_S9_lSA_T11_S9_li.has_indirect_call, 0
	.section	.AMDGPU.csdata,"",@progbits
; Kernel info:
; codeLenInByte = 2644
; TotalNumSgprs: 32
; NumVgprs: 61
; ScratchSize: 0
; MemoryBound: 0
; FloatMode: 240
; IeeeMode: 1
; LDSByteSize: 4096 bytes/workgroup (compile time only)
; SGPRBlocks: 0
; VGPRBlocks: 7
; NumSGPRsForWavesPerEU: 32
; NumVGPRsForWavesPerEU: 61
; Occupancy: 16
; WaveLimiterHint : 1
; COMPUTE_PGM_RSRC2:SCRATCH_EN: 0
; COMPUTE_PGM_RSRC2:USER_SGPR: 6
; COMPUTE_PGM_RSRC2:TRAP_HANDLER: 0
; COMPUTE_PGM_RSRC2:TGID_X_EN: 1
; COMPUTE_PGM_RSRC2:TGID_Y_EN: 1
; COMPUTE_PGM_RSRC2:TGID_Z_EN: 1
; COMPUTE_PGM_RSRC2:TIDIG_COMP_CNT: 1
	.section	.text._ZL29rocblas_internal_gemmt_kernelIlLi16ELi32ELi8ELc78ELc67ELc76ELb0ELb1E19rocblas_complex_numIfES1_PKPKS1_PKPS1_EviT_T9_T10_S9_lSB_S9_lSA_T11_S9_li,"axG",@progbits,_ZL29rocblas_internal_gemmt_kernelIlLi16ELi32ELi8ELc78ELc67ELc76ELb0ELb1E19rocblas_complex_numIfES1_PKPKS1_PKPS1_EviT_T9_T10_S9_lSB_S9_lSA_T11_S9_li,comdat
	.globl	_ZL29rocblas_internal_gemmt_kernelIlLi16ELi32ELi8ELc78ELc67ELc76ELb0ELb1E19rocblas_complex_numIfES1_PKPKS1_PKPS1_EviT_T9_T10_S9_lSB_S9_lSA_T11_S9_li ; -- Begin function _ZL29rocblas_internal_gemmt_kernelIlLi16ELi32ELi8ELc78ELc67ELc76ELb0ELb1E19rocblas_complex_numIfES1_PKPKS1_PKPS1_EviT_T9_T10_S9_lSB_S9_lSA_T11_S9_li
	.p2align	8
	.type	_ZL29rocblas_internal_gemmt_kernelIlLi16ELi32ELi8ELc78ELc67ELc76ELb0ELb1E19rocblas_complex_numIfES1_PKPKS1_PKPS1_EviT_T9_T10_S9_lSB_S9_lSA_T11_S9_li,@function
_ZL29rocblas_internal_gemmt_kernelIlLi16ELi32ELi8ELc78ELc67ELc76ELb0ELb1E19rocblas_complex_numIfES1_PKPKS1_PKPS1_EviT_T9_T10_S9_lSB_S9_lSA_T11_S9_li: ; @_ZL29rocblas_internal_gemmt_kernelIlLi16ELi32ELi8ELc78ELc67ELc76ELb0ELb1E19rocblas_complex_numIfES1_PKPKS1_PKPS1_EviT_T9_T10_S9_lSB_S9_lSA_T11_S9_li
; %bb.0:
	s_clause 0x1
	s_load_dwordx2 s[24:25], s[4:5], 0x48
	s_load_dwordx4 s[16:19], s[4:5], 0x8
	s_waitcnt lgkmcnt(0)
	s_and_b32 s0, s25, 0x7fffffff
	v_cmp_eq_f32_e64 s1, s24, 1.0
	s_cmp_eq_u32 s0, 0
	s_mov_b32 s0, 0
	s_cselect_b32 s27, -1, 0
	s_and_b32 s1, s1, s27
	s_andn2_b32 vcc_lo, exec_lo, s1
	s_mov_b32 s1, -1
	s_cbranch_vccnz .LBB533_4
; %bb.1:
	s_cmp_lg_u64 s[16:17], 0
	s_cbranch_scc0 .LBB533_3
; %bb.2:
	v_cmp_neq_f32_e64 s0, s18, 0
	v_cmp_neq_f32_e64 s1, s19, 0
	s_or_b32 s0, s0, s1
.LBB533_3:
	s_mov_b32 s1, s0
.LBB533_4:
	s_and_b32 vcc_lo, exec_lo, s1
	s_cbranch_vccz .LBB533_34
; %bb.5:
	s_clause 0x1
	s_load_dwordx4 s[20:23], s[4:5], 0x50
	s_load_dword s26, s[4:5], 0x0
	s_mov_b32 s9, 0
	s_load_dwordx2 s[2:3], s[4:5], 0x60
	s_lshl_b64 s[0:1], s[8:9], 3
	v_cmp_eq_f32_e64 s10, s18, 0
	v_cmp_eq_f32_e64 s11, s19, 0
	v_mov_b32_e32 v23, 0
	v_mov_b32_e32 v22, 0
	;; [unrolled: 1-line block ×8, first 2 shown]
	s_waitcnt lgkmcnt(0)
	s_add_u32 s8, s20, s0
	s_addc_u32 s9, s21, s1
	s_lshl_b32 s28, s6, 5
	s_load_dwordx2 s[20:21], s[8:9], 0x0
	v_cmp_lt_i64_e64 s8, s[16:17], 1
	s_and_b32 s9, s10, s11
	s_lshl_b32 s29, s7, 5
	s_or_b32 s6, s9, s8
	s_and_b32 vcc_lo, exec_lo, s6
	s_cbranch_vccnz .LBB533_18
; %bb.6:
	s_clause 0x1
	s_load_dwordx8 s[8:15], s[4:5], 0x18
	s_load_dwordx4 s[4:7], s[4:5], 0x38
	v_lshl_add_u32 v2, v1, 4, v0
	v_and_b32_e32 v6, 7, v0
	v_lshlrev_b32_e32 v7, 3, v0
	v_lshl_add_u32 v8, v1, 6, 0x800
	v_mov_b32_e32 v3, 0
	v_lshrrev_b32_e32 v5, 3, v2
	v_and_b32_e32 v10, 31, v2
	v_lshlrev_b32_e32 v11, 3, v6
	v_lshrrev_b32_e32 v9, 5, v2
	v_mov_b32_e32 v17, 0
	v_add_nc_u32_e32 v4, s29, v5
	v_or_b32_e32 v12, s28, v10
	v_lshl_or_b32 v11, v5, 6, v11
	v_lshlrev_b32_e32 v2, 3, v10
	v_mov_b32_e32 v16, 0
	v_ashrrev_i32_e32 v5, 31, v4
	v_ashrrev_i32_e32 v13, 31, v12
	v_cmp_gt_i32_e32 vcc_lo, s26, v4
	s_waitcnt lgkmcnt(0)
	s_add_u32 s14, s14, s0
	s_addc_u32 s15, s15, s1
	s_lshl_b64 s[6:7], s[6:7], 3
	s_load_dwordx2 s[14:15], s[14:15], 0x0
	v_lshlrev_b64 v[14:15], 3, v[4:5]
	v_lshlrev_b64 v[4:5], 3, v[12:13]
	v_mov_b32_e32 v19, 0
	v_mov_b32_e32 v18, 0
	;; [unrolled: 1-line block ×5, first 2 shown]
	v_lshl_or_b32 v10, v9, 8, v2
	v_add_nc_u32_e32 v11, 0x800, v11
	v_mov_b32_e32 v23, 0
	s_waitcnt lgkmcnt(0)
	s_add_u32 s14, s14, s6
	s_addc_u32 s15, s15, s7
	s_add_u32 s0, s8, s0
	s_addc_u32 s1, s9, s1
	v_cmp_le_i32_e64 s8, s26, v12
	s_load_dwordx2 s[6:7], s[0:1], 0x0
	v_cmp_gt_i32_e64 s0, s26, v12
	s_lshl_b64 s[12:13], s[12:13], 3
	v_add_co_u32 v12, s1, s14, v14
	v_add_co_ci_u32_e64 v13, null, s15, v15, s1
	s_waitcnt lgkmcnt(0)
	s_add_u32 s1, s6, s12
	s_addc_u32 s6, s7, s13
	v_add_co_u32 v14, s1, s1, v4
	v_add_co_ci_u32_e64 v15, null, s6, v5, s1
	s_mov_b64 s[6:7], 0
	s_xor_b32 s1, vcc_lo, -1
                                        ; implicit-def: $vgpr4_vgpr5
	s_branch .LBB533_8
.LBB533_7:                              ;   in Loop: Header=BB533_8 Depth=1
	s_or_b32 exec_lo, exec_lo, s9
	ds_write_b32 v11, v24 offset:4
	s_waitcnt lgkmcnt(0)
	s_barrier
	buffer_gl0_inv
	ds_read_b128 v[24:27], v8
	ds_read2_b64 v[28:31], v7 offset1:16
	ds_read_b128 v[32:35], v8 offset:1024
	ds_read_b128 v[36:39], v8 offset:16
	;; [unrolled: 1-line block ×4, first 2 shown]
	ds_read2_b64 v[48:51], v7 offset0:32 offset1:48
	ds_read_b128 v[52:55], v8 offset:1040
	s_add_u32 s6, s6, 8
	s_addc_u32 s7, s7, 0
	v_cmp_gt_i64_e64 s9, s[16:17], s[6:7]
	s_and_b32 vcc_lo, exec_lo, s9
	s_waitcnt lgkmcnt(6)
	v_mul_f32_e32 v2, v25, v29
	v_mul_f32_e32 v56, v24, v29
	;; [unrolled: 1-line block ×4, first 2 shown]
	s_waitcnt lgkmcnt(5)
	v_mul_f32_e32 v59, v33, v29
	v_mul_f32_e32 v29, v32, v29
	v_mul_f32_e32 v60, v33, v31
	v_fma_f32 v2, v24, v28, -v2
	v_fmac_f32_e32 v56, v25, v28
	v_fma_f32 v24, v24, v30, -v57
	v_fmac_f32_e32 v58, v25, v30
	;; [unrolled: 2-line block ×3, first 2 shown]
	v_mul_f32_e32 v31, v32, v31
	v_fma_f32 v28, v32, v30, -v60
	v_add_f32_e32 v2, v23, v2
	v_add_f32_e32 v23, v20, v24
	;; [unrolled: 1-line block ×5, first 2 shown]
	s_waitcnt lgkmcnt(1)
	v_mul_f32_e32 v32, v27, v49
	ds_read2_b64 v[18:21], v7 offset0:64 offset1:80
	v_fmac_f32_e32 v31, v33, v30
	v_add_f32_e32 v16, v16, v28
	v_mul_f32_e32 v28, v26, v49
	v_fma_f32 v30, v26, v48, -v32
	v_mul_f32_e32 v32, v27, v51
	v_add_f32_e32 v22, v22, v56
	v_add_f32_e32 v17, v17, v31
	v_fmac_f32_e32 v28, v27, v48
	v_mul_f32_e32 v31, v26, v51
	v_add_f32_e32 v2, v2, v30
	v_fma_f32 v26, v26, v50, -v32
	v_mul_f32_e32 v30, v35, v49
	v_add_f32_e32 v28, v22, v28
	v_fmac_f32_e32 v31, v27, v50
	v_mul_f32_e32 v22, v34, v49
	v_add_f32_e32 v26, v23, v26
	v_fma_f32 v23, v34, v48, -v30
	v_mul_f32_e32 v27, v35, v51
	v_add_f32_e32 v30, v24, v31
	v_fmac_f32_e32 v22, v35, v48
	v_mul_f32_e32 v31, v34, v51
	v_add_f32_e32 v32, v25, v23
	v_fma_f32 v23, v34, v50, -v27
	s_waitcnt lgkmcnt(0)
	v_mul_f32_e32 v24, v37, v19
	v_add_f32_e32 v27, v29, v22
	v_fmac_f32_e32 v31, v35, v50
	v_mul_f32_e32 v29, v36, v19
	v_add_f32_e32 v16, v16, v23
	v_fma_f32 v33, v36, v18, -v24
	v_mul_f32_e32 v34, v37, v21
	ds_read2_b64 v[22:25], v7 offset0:96 offset1:112
	v_fmac_f32_e32 v29, v37, v18
	v_add_f32_e32 v31, v17, v31
	v_add_f32_e32 v2, v2, v33
	v_mul_f32_e32 v17, v36, v21
	v_fma_f32 v33, v36, v20, -v34
	v_add_f32_e32 v28, v28, v29
	v_mul_f32_e32 v29, v53, v19
	v_mul_f32_e32 v19, v52, v19
	v_fmac_f32_e32 v17, v37, v20
	v_add_f32_e32 v26, v26, v33
	v_mul_f32_e32 v33, v53, v21
	v_mul_f32_e32 v21, v52, v21
	v_fmac_f32_e32 v19, v53, v18
	v_add_f32_e32 v30, v30, v17
	v_fma_f32 v29, v52, v18, -v29
	v_fma_f32 v17, v52, v20, -v33
	v_fmac_f32_e32 v21, v53, v20
	v_add_f32_e32 v33, v27, v19
	s_waitcnt lgkmcnt(0)
	v_mul_f32_e32 v20, v39, v23
	v_add_f32_e32 v34, v16, v17
	ds_read2_b64 v[16:19], v7 offset0:128 offset1:144
	v_add_f32_e32 v32, v32, v29
	v_mul_f32_e32 v27, v38, v23
	v_mul_f32_e32 v29, v39, v25
	v_fma_f32 v20, v38, v22, -v20
	v_add_f32_e32 v31, v31, v21
	v_mul_f32_e32 v21, v38, v25
	v_fmac_f32_e32 v27, v39, v22
	v_fma_f32 v29, v38, v24, -v29
	v_add_f32_e32 v2, v2, v20
	v_mul_f32_e32 v20, v55, v23
	v_fmac_f32_e32 v21, v39, v24
	v_add_f32_e32 v35, v28, v27
	v_add_f32_e32 v36, v26, v29
	v_mul_f32_e32 v23, v54, v23
	v_fma_f32 v20, v54, v22, -v20
	v_mul_f32_e32 v37, v55, v25
	ds_read_b128 v[26:29], v8 offset:1056
	v_add_f32_e32 v38, v30, v21
	v_fmac_f32_e32 v23, v55, v22
	v_mul_f32_e32 v25, v54, v25
	v_fma_f32 v21, v54, v24, -v37
	v_add_f32_e32 v37, v32, v20
	s_waitcnt lgkmcnt(1)
	v_mul_f32_e32 v20, v41, v17
	v_add_f32_e32 v39, v33, v23
	v_fmac_f32_e32 v25, v55, v24
	v_add_f32_e32 v24, v34, v21
	v_mul_f32_e32 v32, v41, v19
	v_fma_f32 v30, v40, v16, -v20
	ds_read2_b64 v[20:23], v7 offset0:160 offset1:176
	v_mul_f32_e32 v34, v40, v17
	v_add_f32_e32 v25, v31, v25
	v_fma_f32 v48, v40, v18, -v32
	v_mul_f32_e32 v40, v40, v19
	v_add_f32_e32 v2, v2, v30
	v_fmac_f32_e32 v34, v41, v16
	ds_read_b128 v[30:33], v8 offset:1072
	s_waitcnt lgkmcnt(2)
	v_mul_f32_e32 v49, v27, v17
	v_mul_f32_e32 v17, v26, v17
	v_fmac_f32_e32 v40, v41, v18
	v_mul_f32_e32 v41, v27, v19
	v_add_f32_e32 v34, v35, v34
	v_add_f32_e32 v35, v36, v48
	v_fma_f32 v36, v26, v16, -v49
	v_fmac_f32_e32 v17, v27, v16
	v_add_f32_e32 v38, v38, v40
	v_mul_f32_e32 v40, v26, v19
	v_fma_f32 v16, v26, v18, -v41
	v_add_f32_e32 v36, v37, v36
	v_add_f32_e32 v26, v39, v17
	s_waitcnt lgkmcnt(1)
	v_mul_f32_e32 v37, v43, v21
	v_fmac_f32_e32 v40, v27, v18
	v_add_f32_e32 v24, v24, v16
	ds_read2_b64 v[16:19], v7 offset0:192 offset1:208
	v_mul_f32_e32 v27, v42, v21
	v_fma_f32 v37, v42, v20, -v37
	v_mul_f32_e32 v39, v43, v23
	v_add_f32_e32 v40, v25, v40
	v_mul_f32_e32 v25, v42, v23
	v_fmac_f32_e32 v27, v43, v20
	v_add_f32_e32 v2, v2, v37
	v_fma_f32 v37, v42, v22, -v39
	v_fmac_f32_e32 v25, v43, v22
	v_add_f32_e32 v34, v34, v27
	v_mul_f32_e32 v27, v29, v21
	v_mul_f32_e32 v21, v28, v21
	v_add_f32_e32 v35, v35, v37
	v_mul_f32_e32 v37, v29, v23
	v_add_f32_e32 v38, v38, v25
	v_fma_f32 v27, v28, v20, -v27
	v_fmac_f32_e32 v21, v29, v20
	v_mul_f32_e32 v20, v28, v23
	v_fma_f32 v23, v28, v22, -v37
	s_waitcnt lgkmcnt(0)
	v_mul_f32_e32 v25, v45, v17
	v_add_f32_e32 v28, v36, v27
	v_add_f32_e32 v21, v26, v21
	v_fmac_f32_e32 v20, v29, v22
	v_add_f32_e32 v22, v24, v23
	v_fma_f32 v29, v44, v16, -v25
	ds_read2_b64 v[24:27], v7 offset0:224 offset1:240
	v_mul_f32_e32 v23, v44, v17
	v_mul_f32_e32 v37, v31, v17
	;; [unrolled: 1-line block ×4, first 2 shown]
	v_add_f32_e32 v2, v2, v29
	v_fmac_f32_e32 v23, v45, v16
	v_mul_f32_e32 v29, v44, v19
	v_fmac_f32_e32 v17, v31, v16
	v_fma_f32 v36, v44, v18, -v36
	v_add_f32_e32 v20, v40, v20
	v_add_f32_e32 v34, v34, v23
	v_fma_f32 v23, v30, v16, -v37
	v_mul_f32_e32 v16, v31, v19
	v_mul_f32_e32 v19, v30, v19
	v_fmac_f32_e32 v29, v45, v18
	v_add_f32_e32 v17, v21, v17
	v_add_f32_e32 v35, v35, v36
	v_fma_f32 v16, v30, v18, -v16
	v_fmac_f32_e32 v19, v31, v18
	s_waitcnt lgkmcnt(0)
	v_mul_f32_e32 v21, v47, v25
	v_mul_f32_e32 v18, v47, v27
	v_add_f32_e32 v28, v28, v23
	v_mul_f32_e32 v30, v46, v25
	v_mul_f32_e32 v31, v46, v27
	v_fma_f32 v21, v46, v24, -v21
	v_fma_f32 v18, v46, v26, -v18
	v_add_f32_e32 v36, v20, v19
	v_mul_f32_e32 v19, v32, v25
	v_add_f32_e32 v29, v38, v29
	v_add_f32_e32 v23, v2, v21
	;; [unrolled: 1-line block ×3, first 2 shown]
	v_mul_f32_e32 v2, v33, v25
	v_mul_f32_e32 v18, v33, v27
	;; [unrolled: 1-line block ×3, first 2 shown]
	v_add_f32_e32 v16, v22, v16
	v_fmac_f32_e32 v30, v47, v24
	v_fmac_f32_e32 v31, v47, v26
	v_fma_f32 v2, v32, v24, -v2
	v_fmac_f32_e32 v19, v33, v24
	v_fma_f32 v24, v32, v26, -v18
	v_fmac_f32_e32 v25, v33, v26
	v_add_f32_e32 v22, v34, v30
	v_add_f32_e32 v21, v29, v31
	;; [unrolled: 1-line block ×6, first 2 shown]
	s_barrier
	buffer_gl0_inv
	s_cbranch_vccz .LBB533_18
.LBB533_8:                              ; =>This Inner Loop Header: Depth=1
	s_mov_b32 s13, s8
	s_mov_b32 s9, 0
	s_and_saveexec_b32 s12, s0
	s_cbranch_execnz .LBB533_16
; %bb.9:                                ;   in Loop: Header=BB533_8 Depth=1
	s_or_b32 exec_lo, exec_lo, s12
	s_and_saveexec_b32 s12, s13
	s_xor_b32 s12, exec_lo, s12
	s_cbranch_execnz .LBB533_17
.LBB533_10:                             ;   in Loop: Header=BB533_8 Depth=1
	s_or_b32 exec_lo, exec_lo, s12
	s_and_saveexec_b32 s12, s9
	s_cbranch_execz .LBB533_12
.LBB533_11:                             ;   in Loop: Header=BB533_8 Depth=1
	v_mul_lo_u32 v2, s11, v4
	v_mul_lo_u32 v26, s10, v5
	v_mad_u64_u32 v[24:25], null, s10, v4, 0
	v_add3_u32 v25, v25, v26, v2
	v_lshlrev_b64 v[24:25], 3, v[24:25]
	v_add_co_u32 v24, vcc_lo, v14, v24
	v_add_co_ci_u32_e64 v25, null, v15, v25, vcc_lo
	flat_load_dwordx2 v[24:25], v[24:25]
	s_waitcnt vmcnt(0) lgkmcnt(0)
	ds_write_b64 v10, v[24:25]
.LBB533_12:                             ;   in Loop: Header=BB533_8 Depth=1
	s_or_b32 exec_lo, exec_lo, s12
	v_add_nc_u32_e32 v2, s6, v6
	v_cmp_le_u64_e32 vcc_lo, s[16:17], v[2:3]
	s_or_b32 s9, vcc_lo, s1
	s_and_saveexec_b32 s12, s9
	s_xor_b32 s9, exec_lo, s12
; %bb.13:                               ;   in Loop: Header=BB533_8 Depth=1
	ds_write_b32 v11, v3
; %bb.14:                               ;   in Loop: Header=BB533_8 Depth=1
	s_or_saveexec_b32 s9, s9
	v_mov_b32_e32 v24, 0
	s_xor_b32 exec_lo, exec_lo, s9
	s_cbranch_execz .LBB533_7
; %bb.15:                               ;   in Loop: Header=BB533_8 Depth=1
	v_mad_u64_u32 v[24:25], null, s4, v2, 0
	v_mad_u64_u32 v[25:26], null, s5, v2, v[25:26]
	v_lshlrev_b64 v[24:25], 3, v[24:25]
	v_add_co_u32 v24, vcc_lo, v12, v24
	v_add_co_ci_u32_e64 v25, null, v13, v25, vcc_lo
	flat_load_dwordx2 v[25:26], v[24:25]
	s_waitcnt vmcnt(0) lgkmcnt(0)
	v_xor_b32_e32 v24, 0x80000000, v26
	ds_write_b32 v11, v25
	s_branch .LBB533_7
.LBB533_16:                             ;   in Loop: Header=BB533_8 Depth=1
	v_add_nc_u32_e32 v2, s6, v9
	v_mov_b32_e32 v5, v3
	s_andn2_b32 s13, s8, exec_lo
	s_mov_b32 s9, exec_lo
	v_cmp_le_u64_e32 vcc_lo, s[16:17], v[2:3]
	v_mov_b32_e32 v4, v2
	s_and_b32 s14, vcc_lo, exec_lo
	s_or_b32 s13, s13, s14
	s_or_b32 exec_lo, exec_lo, s12
	s_and_saveexec_b32 s12, s13
	s_xor_b32 s12, exec_lo, s12
	s_cbranch_execz .LBB533_10
.LBB533_17:                             ;   in Loop: Header=BB533_8 Depth=1
	v_mov_b32_e32 v2, v3
	s_andn2_b32 s9, s9, exec_lo
	ds_write_b64 v10, v[2:3]
	s_or_b32 exec_lo, exec_lo, s12
	s_and_saveexec_b32 s12, s9
	s_cbranch_execnz .LBB533_11
	s_branch .LBB533_12
.LBB533_18:
	v_add_nc_u32_e32 v9, s29, v1
	s_lshl_b64 s[0:1], s[2:3], 3
	v_add_nc_u32_e32 v0, s28, v0
	v_cmp_neq_f32_e64 s2, s24, 0
	s_waitcnt lgkmcnt(0)
	s_add_u32 s3, s20, s0
	v_ashrrev_i32_e32 v3, 31, v9
	v_mul_lo_u32 v4, s23, v9
	v_mad_u64_u32 v[1:2], null, s22, v9, 0
	s_addc_u32 s4, s21, s1
	v_mul_lo_u32 v3, s22, v3
	s_xor_b32 s5, s27, -1
	v_cmp_le_i32_e32 vcc_lo, v9, v0
	v_cmp_gt_i32_e64 s0, s26, v0
	s_or_b32 s2, s2, s5
	v_cndmask_b32_e64 v8, 0, 1, s2
	s_and_b32 s5, vcc_lo, s0
	v_add3_u32 v2, v2, v3, v4
	v_lshlrev_b64 v[2:3], 3, v[1:2]
	v_ashrrev_i32_e32 v1, 31, v0
	v_add_co_u32 v6, s1, s3, v2
	v_add_co_ci_u32_e64 v7, null, s4, v3, s1
	s_and_saveexec_b32 s1, s5
	s_cbranch_execz .LBB533_22
; %bb.19:
	v_lshlrev_b64 v[4:5], 3, v[0:1]
	v_mul_f32_e32 v2, s19, v22
	v_mul_f32_e32 v3, s18, v22
	v_fma_f32 v2, v23, s18, -v2
	v_add_co_u32 v4, vcc_lo, v6, v4
	v_fmac_f32_e32 v3, s19, v23
	v_add_co_ci_u32_e64 v5, null, v7, v5, vcc_lo
	s_andn2_b32 vcc_lo, exec_lo, s2
	s_cbranch_vccnz .LBB533_21
; %bb.20:
	flat_load_dwordx2 v[10:11], v[4:5]
	s_waitcnt vmcnt(0) lgkmcnt(0)
	v_mul_f32_e32 v12, s25, v11
	v_mul_f32_e32 v11, s24, v11
	v_fma_f32 v12, v10, s24, -v12
	v_fmac_f32_e32 v11, s25, v10
	v_add_f32_e32 v2, v2, v12
	v_add_f32_e32 v3, v3, v11
.LBB533_21:
	flat_store_dwordx2 v[4:5], v[2:3]
.LBB533_22:
	s_or_b32 exec_lo, exec_lo, s1
	v_add_nc_u32_e32 v2, 16, v0
	v_cmp_le_i32_e32 vcc_lo, v9, v2
	v_cmp_gt_i32_e64 s1, s26, v2
	v_ashrrev_i32_e32 v3, 31, v2
	s_and_b32 s2, vcc_lo, s1
	s_and_saveexec_b32 s5, s2
	s_cbranch_execz .LBB533_26
; %bb.23:
	v_lshlrev_b64 v[10:11], 3, v[2:3]
	v_mul_f32_e32 v4, s19, v21
	v_mul_f32_e32 v5, s18, v21
	v_cmp_ne_u32_e32 vcc_lo, 1, v8
	v_fma_f32 v4, v20, s18, -v4
	v_add_co_u32 v6, s2, v6, v10
	v_fmac_f32_e32 v5, s19, v20
	v_add_co_ci_u32_e64 v7, null, v7, v11, s2
	s_cbranch_vccnz .LBB533_25
; %bb.24:
	flat_load_dwordx2 v[10:11], v[6:7]
	s_waitcnt vmcnt(0) lgkmcnt(0)
	v_mul_f32_e32 v12, s25, v11
	v_mul_f32_e32 v11, s24, v11
	v_fma_f32 v12, v10, s24, -v12
	v_fmac_f32_e32 v11, s25, v10
	v_add_f32_e32 v4, v4, v12
	v_add_f32_e32 v5, v5, v11
.LBB533_25:
	flat_store_dwordx2 v[6:7], v[4:5]
.LBB533_26:
	s_or_b32 exec_lo, exec_lo, s5
	v_add_nc_u32_e32 v9, 16, v9
	v_ashrrev_i32_e32 v6, 31, v9
	v_mul_lo_u32 v7, s23, v9
	v_mad_u64_u32 v[4:5], null, s22, v9, 0
	v_cmp_le_i32_e32 vcc_lo, v9, v0
	v_mul_lo_u32 v6, s22, v6
	s_and_b32 s0, vcc_lo, s0
	v_add3_u32 v5, v5, v6, v7
	v_lshlrev_b64 v[4:5], 3, v[4:5]
	v_add_co_u32 v6, s2, s3, v4
	v_add_co_ci_u32_e64 v7, null, s4, v5, s2
	s_and_saveexec_b32 s2, s0
	s_cbranch_execz .LBB533_30
; %bb.27:
	v_lshlrev_b64 v[0:1], 3, v[0:1]
	v_mul_f32_e32 v4, s19, v19
	v_mul_f32_e32 v5, s18, v19
	v_cmp_ne_u32_e32 vcc_lo, 1, v8
	v_fma_f32 v4, v18, s18, -v4
	v_add_co_u32 v0, s0, v6, v0
	v_fmac_f32_e32 v5, s19, v18
	v_add_co_ci_u32_e64 v1, null, v7, v1, s0
	s_cbranch_vccnz .LBB533_29
; %bb.28:
	flat_load_dwordx2 v[10:11], v[0:1]
	s_waitcnt vmcnt(0) lgkmcnt(0)
	v_mul_f32_e32 v12, s25, v11
	v_mul_f32_e32 v11, s24, v11
	v_fma_f32 v12, v10, s24, -v12
	v_fmac_f32_e32 v11, s25, v10
	v_add_f32_e32 v4, v4, v12
	v_add_f32_e32 v5, v5, v11
.LBB533_29:
	flat_store_dwordx2 v[0:1], v[4:5]
.LBB533_30:
	s_or_b32 exec_lo, exec_lo, s2
	v_cmp_le_i32_e32 vcc_lo, v9, v2
	s_and_b32 s0, vcc_lo, s1
	s_and_saveexec_b32 s1, s0
	s_cbranch_execz .LBB533_34
; %bb.31:
	v_lshlrev_b64 v[2:3], 3, v[2:3]
	v_mul_f32_e32 v0, s19, v17
	v_mul_f32_e32 v1, s18, v17
	v_cmp_ne_u32_e32 vcc_lo, 1, v8
	v_fma_f32 v0, v16, s18, -v0
	v_add_co_u32 v2, s0, v6, v2
	v_fmac_f32_e32 v1, s19, v16
	v_add_co_ci_u32_e64 v3, null, v7, v3, s0
	s_cbranch_vccnz .LBB533_33
; %bb.32:
	flat_load_dwordx2 v[4:5], v[2:3]
	s_waitcnt vmcnt(0) lgkmcnt(0)
	v_mul_f32_e32 v6, s25, v5
	v_mul_f32_e32 v5, s24, v5
	v_fma_f32 v6, v4, s24, -v6
	v_fmac_f32_e32 v5, s25, v4
	v_add_f32_e32 v0, v0, v6
	v_add_f32_e32 v1, v1, v5
.LBB533_33:
	flat_store_dwordx2 v[2:3], v[0:1]
.LBB533_34:
	s_endpgm
	.section	.rodata,"a",@progbits
	.p2align	6, 0x0
	.amdhsa_kernel _ZL29rocblas_internal_gemmt_kernelIlLi16ELi32ELi8ELc78ELc67ELc76ELb0ELb1E19rocblas_complex_numIfES1_PKPKS1_PKPS1_EviT_T9_T10_S9_lSB_S9_lSA_T11_S9_li
		.amdhsa_group_segment_fixed_size 4096
		.amdhsa_private_segment_fixed_size 0
		.amdhsa_kernarg_size 108
		.amdhsa_user_sgpr_count 6
		.amdhsa_user_sgpr_private_segment_buffer 1
		.amdhsa_user_sgpr_dispatch_ptr 0
		.amdhsa_user_sgpr_queue_ptr 0
		.amdhsa_user_sgpr_kernarg_segment_ptr 1
		.amdhsa_user_sgpr_dispatch_id 0
		.amdhsa_user_sgpr_flat_scratch_init 0
		.amdhsa_user_sgpr_private_segment_size 0
		.amdhsa_wavefront_size32 1
		.amdhsa_uses_dynamic_stack 0
		.amdhsa_system_sgpr_private_segment_wavefront_offset 0
		.amdhsa_system_sgpr_workgroup_id_x 1
		.amdhsa_system_sgpr_workgroup_id_y 1
		.amdhsa_system_sgpr_workgroup_id_z 1
		.amdhsa_system_sgpr_workgroup_info 0
		.amdhsa_system_vgpr_workitem_id 1
		.amdhsa_next_free_vgpr 61
		.amdhsa_next_free_sgpr 30
		.amdhsa_reserve_vcc 1
		.amdhsa_reserve_flat_scratch 0
		.amdhsa_float_round_mode_32 0
		.amdhsa_float_round_mode_16_64 0
		.amdhsa_float_denorm_mode_32 3
		.amdhsa_float_denorm_mode_16_64 3
		.amdhsa_dx10_clamp 1
		.amdhsa_ieee_mode 1
		.amdhsa_fp16_overflow 0
		.amdhsa_workgroup_processor_mode 1
		.amdhsa_memory_ordered 1
		.amdhsa_forward_progress 1
		.amdhsa_shared_vgpr_count 0
		.amdhsa_exception_fp_ieee_invalid_op 0
		.amdhsa_exception_fp_denorm_src 0
		.amdhsa_exception_fp_ieee_div_zero 0
		.amdhsa_exception_fp_ieee_overflow 0
		.amdhsa_exception_fp_ieee_underflow 0
		.amdhsa_exception_fp_ieee_inexact 0
		.amdhsa_exception_int_div_zero 0
	.end_amdhsa_kernel
	.section	.text._ZL29rocblas_internal_gemmt_kernelIlLi16ELi32ELi8ELc78ELc67ELc76ELb0ELb1E19rocblas_complex_numIfES1_PKPKS1_PKPS1_EviT_T9_T10_S9_lSB_S9_lSA_T11_S9_li,"axG",@progbits,_ZL29rocblas_internal_gemmt_kernelIlLi16ELi32ELi8ELc78ELc67ELc76ELb0ELb1E19rocblas_complex_numIfES1_PKPKS1_PKPS1_EviT_T9_T10_S9_lSB_S9_lSA_T11_S9_li,comdat
.Lfunc_end533:
	.size	_ZL29rocblas_internal_gemmt_kernelIlLi16ELi32ELi8ELc78ELc67ELc76ELb0ELb1E19rocblas_complex_numIfES1_PKPKS1_PKPS1_EviT_T9_T10_S9_lSB_S9_lSA_T11_S9_li, .Lfunc_end533-_ZL29rocblas_internal_gemmt_kernelIlLi16ELi32ELi8ELc78ELc67ELc76ELb0ELb1E19rocblas_complex_numIfES1_PKPKS1_PKPS1_EviT_T9_T10_S9_lSB_S9_lSA_T11_S9_li
                                        ; -- End function
	.set _ZL29rocblas_internal_gemmt_kernelIlLi16ELi32ELi8ELc78ELc67ELc76ELb0ELb1E19rocblas_complex_numIfES1_PKPKS1_PKPS1_EviT_T9_T10_S9_lSB_S9_lSA_T11_S9_li.num_vgpr, 61
	.set _ZL29rocblas_internal_gemmt_kernelIlLi16ELi32ELi8ELc78ELc67ELc76ELb0ELb1E19rocblas_complex_numIfES1_PKPKS1_PKPS1_EviT_T9_T10_S9_lSB_S9_lSA_T11_S9_li.num_agpr, 0
	.set _ZL29rocblas_internal_gemmt_kernelIlLi16ELi32ELi8ELc78ELc67ELc76ELb0ELb1E19rocblas_complex_numIfES1_PKPKS1_PKPS1_EviT_T9_T10_S9_lSB_S9_lSA_T11_S9_li.numbered_sgpr, 30
	.set _ZL29rocblas_internal_gemmt_kernelIlLi16ELi32ELi8ELc78ELc67ELc76ELb0ELb1E19rocblas_complex_numIfES1_PKPKS1_PKPS1_EviT_T9_T10_S9_lSB_S9_lSA_T11_S9_li.num_named_barrier, 0
	.set _ZL29rocblas_internal_gemmt_kernelIlLi16ELi32ELi8ELc78ELc67ELc76ELb0ELb1E19rocblas_complex_numIfES1_PKPKS1_PKPS1_EviT_T9_T10_S9_lSB_S9_lSA_T11_S9_li.private_seg_size, 0
	.set _ZL29rocblas_internal_gemmt_kernelIlLi16ELi32ELi8ELc78ELc67ELc76ELb0ELb1E19rocblas_complex_numIfES1_PKPKS1_PKPS1_EviT_T9_T10_S9_lSB_S9_lSA_T11_S9_li.uses_vcc, 1
	.set _ZL29rocblas_internal_gemmt_kernelIlLi16ELi32ELi8ELc78ELc67ELc76ELb0ELb1E19rocblas_complex_numIfES1_PKPKS1_PKPS1_EviT_T9_T10_S9_lSB_S9_lSA_T11_S9_li.uses_flat_scratch, 0
	.set _ZL29rocblas_internal_gemmt_kernelIlLi16ELi32ELi8ELc78ELc67ELc76ELb0ELb1E19rocblas_complex_numIfES1_PKPKS1_PKPS1_EviT_T9_T10_S9_lSB_S9_lSA_T11_S9_li.has_dyn_sized_stack, 0
	.set _ZL29rocblas_internal_gemmt_kernelIlLi16ELi32ELi8ELc78ELc67ELc76ELb0ELb1E19rocblas_complex_numIfES1_PKPKS1_PKPS1_EviT_T9_T10_S9_lSB_S9_lSA_T11_S9_li.has_recursion, 0
	.set _ZL29rocblas_internal_gemmt_kernelIlLi16ELi32ELi8ELc78ELc67ELc76ELb0ELb1E19rocblas_complex_numIfES1_PKPKS1_PKPS1_EviT_T9_T10_S9_lSB_S9_lSA_T11_S9_li.has_indirect_call, 0
	.section	.AMDGPU.csdata,"",@progbits
; Kernel info:
; codeLenInByte = 2664
; TotalNumSgprs: 32
; NumVgprs: 61
; ScratchSize: 0
; MemoryBound: 0
; FloatMode: 240
; IeeeMode: 1
; LDSByteSize: 4096 bytes/workgroup (compile time only)
; SGPRBlocks: 0
; VGPRBlocks: 7
; NumSGPRsForWavesPerEU: 32
; NumVGPRsForWavesPerEU: 61
; Occupancy: 16
; WaveLimiterHint : 1
; COMPUTE_PGM_RSRC2:SCRATCH_EN: 0
; COMPUTE_PGM_RSRC2:USER_SGPR: 6
; COMPUTE_PGM_RSRC2:TRAP_HANDLER: 0
; COMPUTE_PGM_RSRC2:TGID_X_EN: 1
; COMPUTE_PGM_RSRC2:TGID_Y_EN: 1
; COMPUTE_PGM_RSRC2:TGID_Z_EN: 1
; COMPUTE_PGM_RSRC2:TIDIG_COMP_CNT: 1
	.section	.text._ZL29rocblas_internal_gemmt_kernelIlLi16ELi32ELi8ELc84ELc78ELc76ELb0ELb0E19rocblas_complex_numIfES1_PKPKS1_PKPS1_EviT_T9_T10_S9_lSB_S9_lSA_T11_S9_li,"axG",@progbits,_ZL29rocblas_internal_gemmt_kernelIlLi16ELi32ELi8ELc84ELc78ELc76ELb0ELb0E19rocblas_complex_numIfES1_PKPKS1_PKPS1_EviT_T9_T10_S9_lSB_S9_lSA_T11_S9_li,comdat
	.globl	_ZL29rocblas_internal_gemmt_kernelIlLi16ELi32ELi8ELc84ELc78ELc76ELb0ELb0E19rocblas_complex_numIfES1_PKPKS1_PKPS1_EviT_T9_T10_S9_lSB_S9_lSA_T11_S9_li ; -- Begin function _ZL29rocblas_internal_gemmt_kernelIlLi16ELi32ELi8ELc84ELc78ELc76ELb0ELb0E19rocblas_complex_numIfES1_PKPKS1_PKPS1_EviT_T9_T10_S9_lSB_S9_lSA_T11_S9_li
	.p2align	8
	.type	_ZL29rocblas_internal_gemmt_kernelIlLi16ELi32ELi8ELc84ELc78ELc76ELb0ELb0E19rocblas_complex_numIfES1_PKPKS1_PKPS1_EviT_T9_T10_S9_lSB_S9_lSA_T11_S9_li,@function
_ZL29rocblas_internal_gemmt_kernelIlLi16ELi32ELi8ELc84ELc78ELc76ELb0ELb0E19rocblas_complex_numIfES1_PKPKS1_PKPS1_EviT_T9_T10_S9_lSB_S9_lSA_T11_S9_li: ; @_ZL29rocblas_internal_gemmt_kernelIlLi16ELi32ELi8ELc84ELc78ELc76ELb0ELb0E19rocblas_complex_numIfES1_PKPKS1_PKPS1_EviT_T9_T10_S9_lSB_S9_lSA_T11_S9_li
; %bb.0:
	s_clause 0x1
	s_load_dwordx2 s[24:25], s[4:5], 0x48
	s_load_dwordx4 s[16:19], s[4:5], 0x8
	s_waitcnt lgkmcnt(0)
	s_and_b32 s0, s25, 0x7fffffff
	v_cmp_eq_f32_e64 s1, s24, 1.0
	s_cmp_eq_u32 s0, 0
	s_mov_b32 s0, 0
	s_cselect_b32 s31, -1, 0
	s_and_b32 s1, s1, s31
	s_andn2_b32 vcc_lo, exec_lo, s1
	s_mov_b32 s1, -1
	s_cbranch_vccnz .LBB534_4
; %bb.1:
	s_cmp_lg_u64 s[16:17], 0
	s_cbranch_scc0 .LBB534_3
; %bb.2:
	v_cmp_neq_f32_e64 s0, s18, 0
	v_cmp_neq_f32_e64 s1, s19, 0
	s_or_b32 s0, s0, s1
.LBB534_3:
	s_mov_b32 s1, s0
.LBB534_4:
	s_and_b32 vcc_lo, exec_lo, s1
	s_cbranch_vccz .LBB534_34
; %bb.5:
	s_clause 0x1
	s_load_dwordx4 s[20:23], s[4:5], 0x50
	s_load_dword s30, s[4:5], 0x0
	s_mov_b32 s9, 0
	s_load_dwordx2 s[26:27], s[4:5], 0x60
	s_lshl_b64 s[28:29], s[8:9], 3
	v_cmp_eq_f32_e64 s2, s18, 0
	v_cmp_eq_f32_e64 s3, s19, 0
	v_mov_b32_e32 v23, 0
	v_mov_b32_e32 v22, 0
	;; [unrolled: 1-line block ×8, first 2 shown]
	s_waitcnt lgkmcnt(0)
	s_add_u32 s0, s20, s28
	s_addc_u32 s1, s21, s29
	s_lshl_b32 s6, s6, 5
	s_load_dwordx2 s[20:21], s[0:1], 0x0
	v_cmp_lt_i64_e64 s0, s[16:17], 1
	s_and_b32 s1, s2, s3
	s_lshl_b32 s7, s7, 5
	s_or_b32 s0, s1, s0
	s_and_b32 vcc_lo, exec_lo, s0
	s_cbranch_vccnz .LBB534_18
; %bb.6:
	s_clause 0x1
	s_load_dwordx8 s[8:15], s[4:5], 0x18
	s_load_dwordx4 s[0:3], s[4:5], 0x38
	v_lshl_add_u32 v2, v1, 4, v0
	v_and_b32_e32 v6, 7, v0
	v_lshlrev_b32_e32 v7, 3, v0
	v_lshl_add_u32 v8, v1, 6, 0x800
	v_mov_b32_e32 v3, 0
	v_lshrrev_b32_e32 v10, 3, v2
	v_and_b32_e32 v12, 31, v2
	v_lshlrev_b32_e32 v13, 3, v6
	v_lshrrev_b32_e32 v9, 5, v2
	v_mov_b32_e32 v17, 0
	v_add_nc_u32_e32 v11, s7, v10
	v_or_b32_e32 v14, s6, v12
	v_lshlrev_b32_e32 v2, 3, v12
	v_lshl_or_b32 v24, v10, 6, v13
	v_mov_b32_e32 v16, 0
	v_ashrrev_i32_e32 v4, 31, v11
	v_cmp_gt_i32_e32 vcc_lo, s30, v11
	v_mov_b32_e32 v19, 0
	s_waitcnt lgkmcnt(0)
	s_add_u32 s4, s14, s28
	s_addc_u32 s5, s15, s29
	s_lshl_b64 s[2:3], s[2:3], 3
	s_load_dwordx2 s[4:5], s[4:5], 0x0
	v_mul_lo_u32 v15, s0, v4
	v_mul_lo_u32 v23, s1, v11
	v_mad_u64_u32 v[4:5], null, s0, v11, 0
	v_mul_lo_u32 v10, s11, v14
	v_mad_u64_u32 v[12:13], null, s10, v14, 0
	v_mov_b32_e32 v18, 0
	v_mov_b32_e32 v21, 0
	;; [unrolled: 1-line block ×3, first 2 shown]
	v_add3_u32 v5, v5, v15, v23
	v_mov_b32_e32 v22, 0
	v_add_nc_u32_e32 v11, 0x800, v24
	v_mov_b32_e32 v23, 0
	v_lshlrev_b64 v[4:5], 3, v[4:5]
	s_waitcnt lgkmcnt(0)
	s_add_u32 s14, s4, s2
	s_addc_u32 s5, s5, s3
	s_add_u32 s2, s8, s28
	s_addc_u32 s3, s9, s29
	s_lshl_b64 s[0:1], s[12:13], 3
	s_load_dwordx2 s[2:3], s[2:3], 0x0
	v_cmp_le_i32_e64 s4, s30, v14
	s_waitcnt lgkmcnt(0)
	s_add_u32 s2, s2, s0
	s_addc_u32 s3, s3, s1
	s_ashr_i32 s1, s6, 31
	v_cmp_gt_i32_e64 s0, s30, v14
	s_mul_i32 s1, s10, s1
	v_add3_u32 v13, v13, s1, v10
	v_lshl_or_b32 v10, v9, 8, v2
	v_lshlrev_b64 v[14:15], 3, v[12:13]
	v_add_co_u32 v12, s1, s14, v4
	v_add_co_ci_u32_e64 v13, null, s5, v5, s1
                                        ; implicit-def: $vgpr4_vgpr5
	v_add_co_u32 v14, s1, s2, v14
	v_add_co_ci_u32_e64 v15, null, s3, v15, s1
	s_mov_b64 s[2:3], 0
	s_xor_b32 s1, vcc_lo, -1
	s_branch .LBB534_8
.LBB534_7:                              ;   in Loop: Header=BB534_8 Depth=1
	s_or_b32 exec_lo, exec_lo, s5
	s_waitcnt lgkmcnt(0)
	s_barrier
	buffer_gl0_inv
	ds_read_b128 v[24:27], v8
	ds_read2_b64 v[28:31], v7 offset1:16
	ds_read_b128 v[32:35], v8 offset:1024
	ds_read_b128 v[36:39], v8 offset:16
	;; [unrolled: 1-line block ×4, first 2 shown]
	ds_read2_b64 v[48:51], v7 offset0:32 offset1:48
	ds_read_b128 v[52:55], v8 offset:1040
	s_add_u32 s2, s2, 8
	s_addc_u32 s3, s3, 0
	v_cmp_gt_i64_e64 s5, s[16:17], s[2:3]
	s_and_b32 vcc_lo, exec_lo, s5
	s_waitcnt lgkmcnt(6)
	v_mul_f32_e32 v2, v25, v29
	v_mul_f32_e32 v56, v24, v29
	;; [unrolled: 1-line block ×4, first 2 shown]
	s_waitcnt lgkmcnt(5)
	v_mul_f32_e32 v59, v33, v29
	v_mul_f32_e32 v29, v32, v29
	;; [unrolled: 1-line block ×3, first 2 shown]
	v_fma_f32 v2, v24, v28, -v2
	v_fmac_f32_e32 v56, v25, v28
	v_fma_f32 v24, v24, v30, -v57
	v_fmac_f32_e32 v58, v25, v30
	;; [unrolled: 2-line block ×3, first 2 shown]
	v_mul_f32_e32 v31, v32, v31
	v_fma_f32 v28, v32, v30, -v60
	v_add_f32_e32 v2, v23, v2
	v_add_f32_e32 v23, v20, v24
	;; [unrolled: 1-line block ×5, first 2 shown]
	s_waitcnt lgkmcnt(1)
	v_mul_f32_e32 v32, v27, v49
	ds_read2_b64 v[18:21], v7 offset0:64 offset1:80
	v_fmac_f32_e32 v31, v33, v30
	v_add_f32_e32 v16, v16, v28
	v_mul_f32_e32 v28, v26, v49
	v_fma_f32 v30, v26, v48, -v32
	v_mul_f32_e32 v32, v27, v51
	v_add_f32_e32 v22, v22, v56
	v_add_f32_e32 v17, v17, v31
	v_fmac_f32_e32 v28, v27, v48
	v_mul_f32_e32 v31, v26, v51
	v_add_f32_e32 v2, v2, v30
	v_fma_f32 v26, v26, v50, -v32
	v_mul_f32_e32 v30, v35, v49
	v_add_f32_e32 v28, v22, v28
	v_fmac_f32_e32 v31, v27, v50
	v_mul_f32_e32 v22, v34, v49
	v_add_f32_e32 v26, v23, v26
	v_fma_f32 v23, v34, v48, -v30
	v_mul_f32_e32 v27, v35, v51
	v_add_f32_e32 v30, v24, v31
	v_fmac_f32_e32 v22, v35, v48
	v_mul_f32_e32 v31, v34, v51
	v_add_f32_e32 v32, v25, v23
	v_fma_f32 v23, v34, v50, -v27
	s_waitcnt lgkmcnt(0)
	v_mul_f32_e32 v24, v37, v19
	v_add_f32_e32 v27, v29, v22
	v_fmac_f32_e32 v31, v35, v50
	v_mul_f32_e32 v29, v36, v19
	v_add_f32_e32 v16, v16, v23
	v_fma_f32 v33, v36, v18, -v24
	v_mul_f32_e32 v34, v37, v21
	ds_read2_b64 v[22:25], v7 offset0:96 offset1:112
	v_fmac_f32_e32 v29, v37, v18
	v_add_f32_e32 v31, v17, v31
	v_add_f32_e32 v2, v2, v33
	v_mul_f32_e32 v17, v36, v21
	v_fma_f32 v33, v36, v20, -v34
	v_add_f32_e32 v28, v28, v29
	v_mul_f32_e32 v29, v53, v19
	v_mul_f32_e32 v19, v52, v19
	v_fmac_f32_e32 v17, v37, v20
	v_add_f32_e32 v26, v26, v33
	v_mul_f32_e32 v33, v53, v21
	v_mul_f32_e32 v21, v52, v21
	v_fmac_f32_e32 v19, v53, v18
	v_add_f32_e32 v30, v30, v17
	v_fma_f32 v29, v52, v18, -v29
	v_fma_f32 v17, v52, v20, -v33
	v_fmac_f32_e32 v21, v53, v20
	v_add_f32_e32 v33, v27, v19
	s_waitcnt lgkmcnt(0)
	v_mul_f32_e32 v20, v39, v23
	v_add_f32_e32 v34, v16, v17
	ds_read2_b64 v[16:19], v7 offset0:128 offset1:144
	v_add_f32_e32 v32, v32, v29
	v_mul_f32_e32 v27, v38, v23
	v_mul_f32_e32 v29, v39, v25
	v_fma_f32 v20, v38, v22, -v20
	v_add_f32_e32 v31, v31, v21
	v_mul_f32_e32 v21, v38, v25
	v_fmac_f32_e32 v27, v39, v22
	v_fma_f32 v29, v38, v24, -v29
	v_add_f32_e32 v2, v2, v20
	v_mul_f32_e32 v20, v55, v23
	v_fmac_f32_e32 v21, v39, v24
	v_add_f32_e32 v35, v28, v27
	v_add_f32_e32 v36, v26, v29
	v_mul_f32_e32 v23, v54, v23
	v_fma_f32 v20, v54, v22, -v20
	v_mul_f32_e32 v37, v55, v25
	ds_read_b128 v[26:29], v8 offset:1056
	v_add_f32_e32 v38, v30, v21
	v_fmac_f32_e32 v23, v55, v22
	v_mul_f32_e32 v25, v54, v25
	v_fma_f32 v21, v54, v24, -v37
	v_add_f32_e32 v37, v32, v20
	s_waitcnt lgkmcnt(1)
	v_mul_f32_e32 v20, v41, v17
	v_add_f32_e32 v39, v33, v23
	v_fmac_f32_e32 v25, v55, v24
	v_add_f32_e32 v24, v34, v21
	v_mul_f32_e32 v32, v41, v19
	v_fma_f32 v30, v40, v16, -v20
	ds_read2_b64 v[20:23], v7 offset0:160 offset1:176
	v_mul_f32_e32 v34, v40, v17
	v_add_f32_e32 v25, v31, v25
	v_fma_f32 v48, v40, v18, -v32
	v_mul_f32_e32 v40, v40, v19
	v_add_f32_e32 v2, v2, v30
	v_fmac_f32_e32 v34, v41, v16
	ds_read_b128 v[30:33], v8 offset:1072
	s_waitcnt lgkmcnt(2)
	v_mul_f32_e32 v49, v27, v17
	v_mul_f32_e32 v17, v26, v17
	v_fmac_f32_e32 v40, v41, v18
	v_mul_f32_e32 v41, v27, v19
	v_add_f32_e32 v34, v35, v34
	v_add_f32_e32 v35, v36, v48
	v_fma_f32 v36, v26, v16, -v49
	v_fmac_f32_e32 v17, v27, v16
	v_add_f32_e32 v38, v38, v40
	v_mul_f32_e32 v40, v26, v19
	v_fma_f32 v16, v26, v18, -v41
	v_add_f32_e32 v36, v37, v36
	v_add_f32_e32 v26, v39, v17
	s_waitcnt lgkmcnt(1)
	v_mul_f32_e32 v37, v43, v21
	v_fmac_f32_e32 v40, v27, v18
	v_add_f32_e32 v24, v24, v16
	ds_read2_b64 v[16:19], v7 offset0:192 offset1:208
	v_mul_f32_e32 v27, v42, v21
	v_fma_f32 v37, v42, v20, -v37
	v_mul_f32_e32 v39, v43, v23
	v_add_f32_e32 v40, v25, v40
	v_mul_f32_e32 v25, v42, v23
	v_fmac_f32_e32 v27, v43, v20
	v_add_f32_e32 v2, v2, v37
	v_fma_f32 v37, v42, v22, -v39
	v_fmac_f32_e32 v25, v43, v22
	v_add_f32_e32 v34, v34, v27
	v_mul_f32_e32 v27, v29, v21
	v_mul_f32_e32 v21, v28, v21
	v_add_f32_e32 v35, v35, v37
	v_mul_f32_e32 v37, v29, v23
	v_add_f32_e32 v38, v38, v25
	v_fma_f32 v27, v28, v20, -v27
	v_fmac_f32_e32 v21, v29, v20
	v_mul_f32_e32 v20, v28, v23
	v_fma_f32 v23, v28, v22, -v37
	s_waitcnt lgkmcnt(0)
	v_mul_f32_e32 v25, v45, v17
	v_add_f32_e32 v28, v36, v27
	v_add_f32_e32 v21, v26, v21
	v_fmac_f32_e32 v20, v29, v22
	v_add_f32_e32 v22, v24, v23
	v_fma_f32 v29, v44, v16, -v25
	ds_read2_b64 v[24:27], v7 offset0:224 offset1:240
	v_mul_f32_e32 v23, v44, v17
	v_mul_f32_e32 v37, v31, v17
	;; [unrolled: 1-line block ×4, first 2 shown]
	v_add_f32_e32 v2, v2, v29
	v_fmac_f32_e32 v23, v45, v16
	v_mul_f32_e32 v29, v44, v19
	v_fmac_f32_e32 v17, v31, v16
	v_fma_f32 v36, v44, v18, -v36
	v_add_f32_e32 v20, v40, v20
	v_add_f32_e32 v34, v34, v23
	v_fma_f32 v23, v30, v16, -v37
	v_mul_f32_e32 v16, v31, v19
	v_mul_f32_e32 v19, v30, v19
	v_fmac_f32_e32 v29, v45, v18
	v_add_f32_e32 v17, v21, v17
	v_add_f32_e32 v35, v35, v36
	v_fma_f32 v16, v30, v18, -v16
	v_fmac_f32_e32 v19, v31, v18
	s_waitcnt lgkmcnt(0)
	v_mul_f32_e32 v21, v47, v25
	v_mul_f32_e32 v18, v47, v27
	v_add_f32_e32 v28, v28, v23
	v_mul_f32_e32 v30, v46, v25
	v_mul_f32_e32 v31, v46, v27
	v_fma_f32 v21, v46, v24, -v21
	v_fma_f32 v18, v46, v26, -v18
	v_add_f32_e32 v36, v20, v19
	v_mul_f32_e32 v19, v32, v25
	v_add_f32_e32 v29, v38, v29
	v_add_f32_e32 v23, v2, v21
	;; [unrolled: 1-line block ×3, first 2 shown]
	v_mul_f32_e32 v2, v33, v25
	v_mul_f32_e32 v18, v33, v27
	;; [unrolled: 1-line block ×3, first 2 shown]
	v_add_f32_e32 v16, v22, v16
	v_fmac_f32_e32 v30, v47, v24
	v_fmac_f32_e32 v31, v47, v26
	v_fma_f32 v2, v32, v24, -v2
	v_fmac_f32_e32 v19, v33, v24
	v_fma_f32 v24, v32, v26, -v18
	v_fmac_f32_e32 v25, v33, v26
	v_add_f32_e32 v22, v34, v30
	v_add_f32_e32 v21, v29, v31
	v_add_f32_e32 v18, v28, v2
	v_add_f32_e32 v19, v17, v19
	v_add_f32_e32 v16, v16, v24
	v_add_f32_e32 v17, v36, v25
	s_barrier
	buffer_gl0_inv
	s_cbranch_vccz .LBB534_18
.LBB534_8:                              ; =>This Inner Loop Header: Depth=1
	s_mov_b32 s9, s4
	s_mov_b32 s5, 0
	s_and_saveexec_b32 s8, s0
	s_cbranch_execnz .LBB534_16
; %bb.9:                                ;   in Loop: Header=BB534_8 Depth=1
	s_or_b32 exec_lo, exec_lo, s8
	s_and_saveexec_b32 s8, s9
	s_xor_b32 s8, exec_lo, s8
	s_cbranch_execnz .LBB534_17
.LBB534_10:                             ;   in Loop: Header=BB534_8 Depth=1
	s_or_b32 exec_lo, exec_lo, s8
	s_and_saveexec_b32 s8, s5
	s_cbranch_execz .LBB534_12
.LBB534_11:                             ;   in Loop: Header=BB534_8 Depth=1
	v_lshlrev_b64 v[24:25], 3, v[4:5]
	v_add_co_u32 v24, vcc_lo, v14, v24
	v_add_co_ci_u32_e64 v25, null, v15, v25, vcc_lo
	flat_load_dwordx2 v[24:25], v[24:25]
	s_waitcnt vmcnt(0) lgkmcnt(0)
	ds_write_b64 v10, v[24:25]
.LBB534_12:                             ;   in Loop: Header=BB534_8 Depth=1
	s_or_b32 exec_lo, exec_lo, s8
	v_add_nc_u32_e32 v2, s2, v6
	v_cmp_le_u64_e32 vcc_lo, s[16:17], v[2:3]
	s_or_b32 s5, vcc_lo, s1
	s_and_saveexec_b32 s8, s5
	s_xor_b32 s5, exec_lo, s8
; %bb.13:                               ;   in Loop: Header=BB534_8 Depth=1
	v_mov_b32_e32 v2, v3
	ds_write_b64 v11, v[2:3]
; %bb.14:                               ;   in Loop: Header=BB534_8 Depth=1
	s_andn2_saveexec_b32 s5, s5
	s_cbranch_execz .LBB534_7
; %bb.15:                               ;   in Loop: Header=BB534_8 Depth=1
	v_lshlrev_b64 v[24:25], 3, v[2:3]
	v_add_co_u32 v24, vcc_lo, v12, v24
	v_add_co_ci_u32_e64 v25, null, v13, v25, vcc_lo
	flat_load_dwordx2 v[24:25], v[24:25]
	s_waitcnt vmcnt(0) lgkmcnt(0)
	ds_write_b64 v11, v[24:25]
	s_branch .LBB534_7
.LBB534_16:                             ;   in Loop: Header=BB534_8 Depth=1
	v_add_nc_u32_e32 v2, s2, v9
	v_mov_b32_e32 v5, v3
	s_andn2_b32 s9, s4, exec_lo
	s_mov_b32 s5, exec_lo
	v_cmp_le_u64_e32 vcc_lo, s[16:17], v[2:3]
	v_mov_b32_e32 v4, v2
	s_and_b32 s10, vcc_lo, exec_lo
	s_or_b32 s9, s9, s10
	s_or_b32 exec_lo, exec_lo, s8
	s_and_saveexec_b32 s8, s9
	s_xor_b32 s8, exec_lo, s8
	s_cbranch_execz .LBB534_10
.LBB534_17:                             ;   in Loop: Header=BB534_8 Depth=1
	v_mov_b32_e32 v2, v3
	s_andn2_b32 s5, s5, exec_lo
	ds_write_b64 v10, v[2:3]
	s_or_b32 exec_lo, exec_lo, s8
	s_and_saveexec_b32 s8, s5
	s_cbranch_execnz .LBB534_11
	s_branch .LBB534_12
.LBB534_18:
	v_add_nc_u32_e32 v9, s7, v1
	s_lshl_b64 s[0:1], s[26:27], 3
	v_add_nc_u32_e32 v0, s6, v0
	v_cmp_neq_f32_e64 s2, s24, 0
	s_waitcnt lgkmcnt(0)
	s_add_u32 s3, s20, s0
	v_ashrrev_i32_e32 v3, 31, v9
	v_mul_lo_u32 v4, s23, v9
	v_mad_u64_u32 v[1:2], null, s22, v9, 0
	s_addc_u32 s4, s21, s1
	v_mul_lo_u32 v3, s22, v3
	s_xor_b32 s5, s31, -1
	v_cmp_le_i32_e32 vcc_lo, v9, v0
	v_cmp_gt_i32_e64 s0, s30, v0
	s_or_b32 s2, s2, s5
	v_cndmask_b32_e64 v8, 0, 1, s2
	s_and_b32 s5, vcc_lo, s0
	v_add3_u32 v2, v2, v3, v4
	v_lshlrev_b64 v[2:3], 3, v[1:2]
	v_ashrrev_i32_e32 v1, 31, v0
	v_add_co_u32 v6, s1, s3, v2
	v_add_co_ci_u32_e64 v7, null, s4, v3, s1
	s_and_saveexec_b32 s1, s5
	s_cbranch_execz .LBB534_22
; %bb.19:
	v_lshlrev_b64 v[4:5], 3, v[0:1]
	v_mul_f32_e32 v2, s19, v22
	v_mul_f32_e32 v3, s18, v22
	v_fma_f32 v2, v23, s18, -v2
	v_add_co_u32 v4, vcc_lo, v6, v4
	v_fmac_f32_e32 v3, s19, v23
	v_add_co_ci_u32_e64 v5, null, v7, v5, vcc_lo
	s_andn2_b32 vcc_lo, exec_lo, s2
	s_cbranch_vccnz .LBB534_21
; %bb.20:
	flat_load_dwordx2 v[10:11], v[4:5]
	s_waitcnt vmcnt(0) lgkmcnt(0)
	v_mul_f32_e32 v12, s25, v11
	v_mul_f32_e32 v11, s24, v11
	v_fma_f32 v12, v10, s24, -v12
	v_fmac_f32_e32 v11, s25, v10
	v_add_f32_e32 v2, v2, v12
	v_add_f32_e32 v3, v3, v11
.LBB534_21:
	flat_store_dwordx2 v[4:5], v[2:3]
.LBB534_22:
	s_or_b32 exec_lo, exec_lo, s1
	v_add_nc_u32_e32 v2, 16, v0
	v_cmp_le_i32_e32 vcc_lo, v9, v2
	v_cmp_gt_i32_e64 s1, s30, v2
	v_ashrrev_i32_e32 v3, 31, v2
	s_and_b32 s2, vcc_lo, s1
	s_and_saveexec_b32 s5, s2
	s_cbranch_execz .LBB534_26
; %bb.23:
	v_lshlrev_b64 v[10:11], 3, v[2:3]
	v_mul_f32_e32 v4, s19, v21
	v_mul_f32_e32 v5, s18, v21
	v_cmp_ne_u32_e32 vcc_lo, 1, v8
	v_fma_f32 v4, v20, s18, -v4
	v_add_co_u32 v6, s2, v6, v10
	v_fmac_f32_e32 v5, s19, v20
	v_add_co_ci_u32_e64 v7, null, v7, v11, s2
	s_cbranch_vccnz .LBB534_25
; %bb.24:
	flat_load_dwordx2 v[10:11], v[6:7]
	s_waitcnt vmcnt(0) lgkmcnt(0)
	v_mul_f32_e32 v12, s25, v11
	v_mul_f32_e32 v11, s24, v11
	v_fma_f32 v12, v10, s24, -v12
	v_fmac_f32_e32 v11, s25, v10
	v_add_f32_e32 v4, v4, v12
	v_add_f32_e32 v5, v5, v11
.LBB534_25:
	flat_store_dwordx2 v[6:7], v[4:5]
.LBB534_26:
	s_or_b32 exec_lo, exec_lo, s5
	v_add_nc_u32_e32 v9, 16, v9
	v_ashrrev_i32_e32 v6, 31, v9
	v_mul_lo_u32 v7, s23, v9
	v_mad_u64_u32 v[4:5], null, s22, v9, 0
	v_cmp_le_i32_e32 vcc_lo, v9, v0
	v_mul_lo_u32 v6, s22, v6
	s_and_b32 s0, vcc_lo, s0
	v_add3_u32 v5, v5, v6, v7
	v_lshlrev_b64 v[4:5], 3, v[4:5]
	v_add_co_u32 v6, s2, s3, v4
	v_add_co_ci_u32_e64 v7, null, s4, v5, s2
	s_and_saveexec_b32 s2, s0
	s_cbranch_execz .LBB534_30
; %bb.27:
	v_lshlrev_b64 v[0:1], 3, v[0:1]
	v_mul_f32_e32 v4, s19, v19
	v_mul_f32_e32 v5, s18, v19
	v_cmp_ne_u32_e32 vcc_lo, 1, v8
	v_fma_f32 v4, v18, s18, -v4
	v_add_co_u32 v0, s0, v6, v0
	v_fmac_f32_e32 v5, s19, v18
	v_add_co_ci_u32_e64 v1, null, v7, v1, s0
	s_cbranch_vccnz .LBB534_29
; %bb.28:
	flat_load_dwordx2 v[10:11], v[0:1]
	s_waitcnt vmcnt(0) lgkmcnt(0)
	v_mul_f32_e32 v12, s25, v11
	v_mul_f32_e32 v11, s24, v11
	v_fma_f32 v12, v10, s24, -v12
	v_fmac_f32_e32 v11, s25, v10
	v_add_f32_e32 v4, v4, v12
	v_add_f32_e32 v5, v5, v11
.LBB534_29:
	flat_store_dwordx2 v[0:1], v[4:5]
.LBB534_30:
	s_or_b32 exec_lo, exec_lo, s2
	v_cmp_le_i32_e32 vcc_lo, v9, v2
	s_and_b32 s0, vcc_lo, s1
	s_and_saveexec_b32 s1, s0
	s_cbranch_execz .LBB534_34
; %bb.31:
	v_lshlrev_b64 v[2:3], 3, v[2:3]
	v_mul_f32_e32 v0, s19, v17
	v_mul_f32_e32 v1, s18, v17
	v_cmp_ne_u32_e32 vcc_lo, 1, v8
	v_fma_f32 v0, v16, s18, -v0
	v_add_co_u32 v2, s0, v6, v2
	v_fmac_f32_e32 v1, s19, v16
	v_add_co_ci_u32_e64 v3, null, v7, v3, s0
	s_cbranch_vccnz .LBB534_33
; %bb.32:
	flat_load_dwordx2 v[4:5], v[2:3]
	s_waitcnt vmcnt(0) lgkmcnt(0)
	v_mul_f32_e32 v6, s25, v5
	v_mul_f32_e32 v5, s24, v5
	v_fma_f32 v6, v4, s24, -v6
	v_fmac_f32_e32 v5, s25, v4
	v_add_f32_e32 v0, v0, v6
	v_add_f32_e32 v1, v1, v5
.LBB534_33:
	flat_store_dwordx2 v[2:3], v[0:1]
.LBB534_34:
	s_endpgm
	.section	.rodata,"a",@progbits
	.p2align	6, 0x0
	.amdhsa_kernel _ZL29rocblas_internal_gemmt_kernelIlLi16ELi32ELi8ELc84ELc78ELc76ELb0ELb0E19rocblas_complex_numIfES1_PKPKS1_PKPS1_EviT_T9_T10_S9_lSB_S9_lSA_T11_S9_li
		.amdhsa_group_segment_fixed_size 4096
		.amdhsa_private_segment_fixed_size 0
		.amdhsa_kernarg_size 108
		.amdhsa_user_sgpr_count 6
		.amdhsa_user_sgpr_private_segment_buffer 1
		.amdhsa_user_sgpr_dispatch_ptr 0
		.amdhsa_user_sgpr_queue_ptr 0
		.amdhsa_user_sgpr_kernarg_segment_ptr 1
		.amdhsa_user_sgpr_dispatch_id 0
		.amdhsa_user_sgpr_flat_scratch_init 0
		.amdhsa_user_sgpr_private_segment_size 0
		.amdhsa_wavefront_size32 1
		.amdhsa_uses_dynamic_stack 0
		.amdhsa_system_sgpr_private_segment_wavefront_offset 0
		.amdhsa_system_sgpr_workgroup_id_x 1
		.amdhsa_system_sgpr_workgroup_id_y 1
		.amdhsa_system_sgpr_workgroup_id_z 1
		.amdhsa_system_sgpr_workgroup_info 0
		.amdhsa_system_vgpr_workitem_id 1
		.amdhsa_next_free_vgpr 61
		.amdhsa_next_free_sgpr 32
		.amdhsa_reserve_vcc 1
		.amdhsa_reserve_flat_scratch 0
		.amdhsa_float_round_mode_32 0
		.amdhsa_float_round_mode_16_64 0
		.amdhsa_float_denorm_mode_32 3
		.amdhsa_float_denorm_mode_16_64 3
		.amdhsa_dx10_clamp 1
		.amdhsa_ieee_mode 1
		.amdhsa_fp16_overflow 0
		.amdhsa_workgroup_processor_mode 1
		.amdhsa_memory_ordered 1
		.amdhsa_forward_progress 1
		.amdhsa_shared_vgpr_count 0
		.amdhsa_exception_fp_ieee_invalid_op 0
		.amdhsa_exception_fp_denorm_src 0
		.amdhsa_exception_fp_ieee_div_zero 0
		.amdhsa_exception_fp_ieee_overflow 0
		.amdhsa_exception_fp_ieee_underflow 0
		.amdhsa_exception_fp_ieee_inexact 0
		.amdhsa_exception_int_div_zero 0
	.end_amdhsa_kernel
	.section	.text._ZL29rocblas_internal_gemmt_kernelIlLi16ELi32ELi8ELc84ELc78ELc76ELb0ELb0E19rocblas_complex_numIfES1_PKPKS1_PKPS1_EviT_T9_T10_S9_lSB_S9_lSA_T11_S9_li,"axG",@progbits,_ZL29rocblas_internal_gemmt_kernelIlLi16ELi32ELi8ELc84ELc78ELc76ELb0ELb0E19rocblas_complex_numIfES1_PKPKS1_PKPS1_EviT_T9_T10_S9_lSB_S9_lSA_T11_S9_li,comdat
.Lfunc_end534:
	.size	_ZL29rocblas_internal_gemmt_kernelIlLi16ELi32ELi8ELc84ELc78ELc76ELb0ELb0E19rocblas_complex_numIfES1_PKPKS1_PKPS1_EviT_T9_T10_S9_lSB_S9_lSA_T11_S9_li, .Lfunc_end534-_ZL29rocblas_internal_gemmt_kernelIlLi16ELi32ELi8ELc84ELc78ELc76ELb0ELb0E19rocblas_complex_numIfES1_PKPKS1_PKPS1_EviT_T9_T10_S9_lSB_S9_lSA_T11_S9_li
                                        ; -- End function
	.set _ZL29rocblas_internal_gemmt_kernelIlLi16ELi32ELi8ELc84ELc78ELc76ELb0ELb0E19rocblas_complex_numIfES1_PKPKS1_PKPS1_EviT_T9_T10_S9_lSB_S9_lSA_T11_S9_li.num_vgpr, 61
	.set _ZL29rocblas_internal_gemmt_kernelIlLi16ELi32ELi8ELc84ELc78ELc76ELb0ELb0E19rocblas_complex_numIfES1_PKPKS1_PKPS1_EviT_T9_T10_S9_lSB_S9_lSA_T11_S9_li.num_agpr, 0
	.set _ZL29rocblas_internal_gemmt_kernelIlLi16ELi32ELi8ELc84ELc78ELc76ELb0ELb0E19rocblas_complex_numIfES1_PKPKS1_PKPS1_EviT_T9_T10_S9_lSB_S9_lSA_T11_S9_li.numbered_sgpr, 32
	.set _ZL29rocblas_internal_gemmt_kernelIlLi16ELi32ELi8ELc84ELc78ELc76ELb0ELb0E19rocblas_complex_numIfES1_PKPKS1_PKPS1_EviT_T9_T10_S9_lSB_S9_lSA_T11_S9_li.num_named_barrier, 0
	.set _ZL29rocblas_internal_gemmt_kernelIlLi16ELi32ELi8ELc84ELc78ELc76ELb0ELb0E19rocblas_complex_numIfES1_PKPKS1_PKPS1_EviT_T9_T10_S9_lSB_S9_lSA_T11_S9_li.private_seg_size, 0
	.set _ZL29rocblas_internal_gemmt_kernelIlLi16ELi32ELi8ELc84ELc78ELc76ELb0ELb0E19rocblas_complex_numIfES1_PKPKS1_PKPS1_EviT_T9_T10_S9_lSB_S9_lSA_T11_S9_li.uses_vcc, 1
	.set _ZL29rocblas_internal_gemmt_kernelIlLi16ELi32ELi8ELc84ELc78ELc76ELb0ELb0E19rocblas_complex_numIfES1_PKPKS1_PKPS1_EviT_T9_T10_S9_lSB_S9_lSA_T11_S9_li.uses_flat_scratch, 0
	.set _ZL29rocblas_internal_gemmt_kernelIlLi16ELi32ELi8ELc84ELc78ELc76ELb0ELb0E19rocblas_complex_numIfES1_PKPKS1_PKPS1_EviT_T9_T10_S9_lSB_S9_lSA_T11_S9_li.has_dyn_sized_stack, 0
	.set _ZL29rocblas_internal_gemmt_kernelIlLi16ELi32ELi8ELc84ELc78ELc76ELb0ELb0E19rocblas_complex_numIfES1_PKPKS1_PKPS1_EviT_T9_T10_S9_lSB_S9_lSA_T11_S9_li.has_recursion, 0
	.set _ZL29rocblas_internal_gemmt_kernelIlLi16ELi32ELi8ELc84ELc78ELc76ELb0ELb0E19rocblas_complex_numIfES1_PKPKS1_PKPS1_EviT_T9_T10_S9_lSB_S9_lSA_T11_S9_li.has_indirect_call, 0
	.section	.AMDGPU.csdata,"",@progbits
; Kernel info:
; codeLenInByte = 2656
; TotalNumSgprs: 34
; NumVgprs: 61
; ScratchSize: 0
; MemoryBound: 0
; FloatMode: 240
; IeeeMode: 1
; LDSByteSize: 4096 bytes/workgroup (compile time only)
; SGPRBlocks: 0
; VGPRBlocks: 7
; NumSGPRsForWavesPerEU: 34
; NumVGPRsForWavesPerEU: 61
; Occupancy: 16
; WaveLimiterHint : 1
; COMPUTE_PGM_RSRC2:SCRATCH_EN: 0
; COMPUTE_PGM_RSRC2:USER_SGPR: 6
; COMPUTE_PGM_RSRC2:TRAP_HANDLER: 0
; COMPUTE_PGM_RSRC2:TGID_X_EN: 1
; COMPUTE_PGM_RSRC2:TGID_Y_EN: 1
; COMPUTE_PGM_RSRC2:TGID_Z_EN: 1
; COMPUTE_PGM_RSRC2:TIDIG_COMP_CNT: 1
	.section	.text._ZL29rocblas_internal_gemmt_kernelIlLi16ELi32ELi8ELc84ELc84ELc76ELb0ELb0E19rocblas_complex_numIfES1_PKPKS1_PKPS1_EviT_T9_T10_S9_lSB_S9_lSA_T11_S9_li,"axG",@progbits,_ZL29rocblas_internal_gemmt_kernelIlLi16ELi32ELi8ELc84ELc84ELc76ELb0ELb0E19rocblas_complex_numIfES1_PKPKS1_PKPS1_EviT_T9_T10_S9_lSB_S9_lSA_T11_S9_li,comdat
	.globl	_ZL29rocblas_internal_gemmt_kernelIlLi16ELi32ELi8ELc84ELc84ELc76ELb0ELb0E19rocblas_complex_numIfES1_PKPKS1_PKPS1_EviT_T9_T10_S9_lSB_S9_lSA_T11_S9_li ; -- Begin function _ZL29rocblas_internal_gemmt_kernelIlLi16ELi32ELi8ELc84ELc84ELc76ELb0ELb0E19rocblas_complex_numIfES1_PKPKS1_PKPS1_EviT_T9_T10_S9_lSB_S9_lSA_T11_S9_li
	.p2align	8
	.type	_ZL29rocblas_internal_gemmt_kernelIlLi16ELi32ELi8ELc84ELc84ELc76ELb0ELb0E19rocblas_complex_numIfES1_PKPKS1_PKPS1_EviT_T9_T10_S9_lSB_S9_lSA_T11_S9_li,@function
_ZL29rocblas_internal_gemmt_kernelIlLi16ELi32ELi8ELc84ELc84ELc76ELb0ELb0E19rocblas_complex_numIfES1_PKPKS1_PKPS1_EviT_T9_T10_S9_lSB_S9_lSA_T11_S9_li: ; @_ZL29rocblas_internal_gemmt_kernelIlLi16ELi32ELi8ELc84ELc84ELc76ELb0ELb0E19rocblas_complex_numIfES1_PKPKS1_PKPS1_EviT_T9_T10_S9_lSB_S9_lSA_T11_S9_li
; %bb.0:
	s_clause 0x1
	s_load_dwordx2 s[24:25], s[4:5], 0x48
	s_load_dwordx4 s[16:19], s[4:5], 0x8
	s_waitcnt lgkmcnt(0)
	s_and_b32 s0, s25, 0x7fffffff
	v_cmp_eq_f32_e64 s1, s24, 1.0
	s_cmp_eq_u32 s0, 0
	s_mov_b32 s0, 0
	s_cselect_b32 s27, -1, 0
	s_and_b32 s1, s1, s27
	s_andn2_b32 vcc_lo, exec_lo, s1
	s_mov_b32 s1, -1
	s_cbranch_vccnz .LBB535_4
; %bb.1:
	s_cmp_lg_u64 s[16:17], 0
	s_cbranch_scc0 .LBB535_3
; %bb.2:
	v_cmp_neq_f32_e64 s0, s18, 0
	v_cmp_neq_f32_e64 s1, s19, 0
	s_or_b32 s0, s0, s1
.LBB535_3:
	s_mov_b32 s1, s0
.LBB535_4:
	s_and_b32 vcc_lo, exec_lo, s1
	s_cbranch_vccz .LBB535_34
; %bb.5:
	s_clause 0x1
	s_load_dwordx4 s[20:23], s[4:5], 0x50
	s_load_dword s26, s[4:5], 0x0
	s_mov_b32 s9, 0
	s_load_dwordx2 s[2:3], s[4:5], 0x60
	s_lshl_b64 s[0:1], s[8:9], 3
	v_cmp_eq_f32_e64 s10, s18, 0
	v_cmp_eq_f32_e64 s11, s19, 0
	v_mov_b32_e32 v23, 0
	v_mov_b32_e32 v22, 0
	;; [unrolled: 1-line block ×8, first 2 shown]
	s_waitcnt lgkmcnt(0)
	s_add_u32 s8, s20, s0
	s_addc_u32 s9, s21, s1
	s_lshl_b32 s28, s6, 5
	s_load_dwordx2 s[20:21], s[8:9], 0x0
	v_cmp_lt_i64_e64 s8, s[16:17], 1
	s_and_b32 s9, s10, s11
	s_lshl_b32 s29, s7, 5
	s_or_b32 s6, s9, s8
	s_and_b32 vcc_lo, exec_lo, s6
	s_cbranch_vccnz .LBB535_18
; %bb.6:
	s_clause 0x1
	s_load_dwordx8 s[8:15], s[4:5], 0x18
	s_load_dwordx4 s[4:7], s[4:5], 0x38
	v_lshl_add_u32 v2, v1, 4, v0
	v_and_b32_e32 v6, 7, v0
	v_lshlrev_b32_e32 v7, 3, v0
	v_lshl_add_u32 v8, v1, 6, 0x800
	v_mov_b32_e32 v3, 0
	v_and_b32_e32 v5, 31, v2
	v_lshrrev_b32_e32 v10, 3, v2
	v_lshlrev_b32_e32 v11, 3, v6
	v_lshrrev_b32_e32 v9, 5, v2
	v_mov_b32_e32 v17, 0
	v_or_b32_e32 v14, s28, v5
	v_add_nc_u32_e32 v4, s29, v10
	v_lshl_or_b32 v11, v10, 6, v11
	v_lshlrev_b32_e32 v2, 3, v5
	v_mov_b32_e32 v16, 0
	v_mov_b32_e32 v19, 0
	v_ashrrev_i32_e32 v5, 31, v4
	v_cmp_gt_i32_e32 vcc_lo, s26, v4
	s_waitcnt lgkmcnt(0)
	s_add_u32 s14, s14, s0
	s_addc_u32 s15, s15, s1
	s_lshl_b64 s[6:7], s[6:7], 3
	s_load_dwordx2 s[14:15], s[14:15], 0x0
	v_mul_lo_u32 v10, s11, v14
	v_mad_u64_u32 v[12:13], null, s10, v14, 0
	v_mov_b32_e32 v18, 0
	v_mov_b32_e32 v21, 0
	;; [unrolled: 1-line block ×4, first 2 shown]
	v_add_nc_u32_e32 v11, 0x800, v11
	v_mov_b32_e32 v23, 0
	s_waitcnt lgkmcnt(0)
	s_add_u32 s14, s14, s6
	s_addc_u32 s15, s15, s7
	s_add_u32 s0, s8, s0
	s_addc_u32 s1, s9, s1
	s_lshl_b64 s[6:7], s[12:13], 3
	s_load_dwordx2 s[0:1], s[0:1], 0x0
	v_cmp_le_i32_e64 s8, s26, v14
	s_waitcnt lgkmcnt(0)
	s_add_u32 s6, s0, s6
	s_addc_u32 s7, s1, s7
	s_ashr_i32 s1, s28, 31
	v_cmp_gt_i32_e64 s0, s26, v14
	s_mul_i32 s1, s10, s1
	v_lshlrev_b64 v[14:15], 3, v[4:5]
	v_add3_u32 v13, v13, s1, v10
	v_lshl_or_b32 v10, v9, 8, v2
	v_lshlrev_b64 v[4:5], 3, v[12:13]
	v_add_co_u32 v12, s1, s14, v14
	v_add_co_ci_u32_e64 v13, null, s15, v15, s1
	v_add_co_u32 v14, s1, s6, v4
	v_add_co_ci_u32_e64 v15, null, s7, v5, s1
	s_mov_b64 s[6:7], 0
	s_xor_b32 s1, vcc_lo, -1
                                        ; implicit-def: $vgpr4_vgpr5
	s_branch .LBB535_8
.LBB535_7:                              ;   in Loop: Header=BB535_8 Depth=1
	s_or_b32 exec_lo, exec_lo, s9
	s_waitcnt lgkmcnt(0)
	s_barrier
	buffer_gl0_inv
	ds_read_b128 v[24:27], v8
	ds_read2_b64 v[28:31], v7 offset1:16
	ds_read_b128 v[32:35], v8 offset:1024
	ds_read_b128 v[36:39], v8 offset:16
	;; [unrolled: 1-line block ×4, first 2 shown]
	ds_read2_b64 v[48:51], v7 offset0:32 offset1:48
	ds_read_b128 v[52:55], v8 offset:1040
	s_add_u32 s6, s6, 8
	s_addc_u32 s7, s7, 0
	v_cmp_gt_i64_e64 s9, s[16:17], s[6:7]
	s_and_b32 vcc_lo, exec_lo, s9
	s_waitcnt lgkmcnt(6)
	v_mul_f32_e32 v2, v25, v29
	v_mul_f32_e32 v56, v24, v29
	v_mul_f32_e32 v57, v25, v31
	v_mul_f32_e32 v58, v24, v31
	s_waitcnt lgkmcnt(5)
	v_mul_f32_e32 v59, v33, v29
	v_mul_f32_e32 v29, v32, v29
	;; [unrolled: 1-line block ×3, first 2 shown]
	v_fma_f32 v2, v24, v28, -v2
	v_fmac_f32_e32 v56, v25, v28
	v_fma_f32 v24, v24, v30, -v57
	v_fmac_f32_e32 v58, v25, v30
	;; [unrolled: 2-line block ×3, first 2 shown]
	v_mul_f32_e32 v31, v32, v31
	v_fma_f32 v28, v32, v30, -v60
	v_add_f32_e32 v2, v23, v2
	v_add_f32_e32 v23, v20, v24
	;; [unrolled: 1-line block ×5, first 2 shown]
	s_waitcnt lgkmcnt(1)
	v_mul_f32_e32 v32, v27, v49
	ds_read2_b64 v[18:21], v7 offset0:64 offset1:80
	v_fmac_f32_e32 v31, v33, v30
	v_add_f32_e32 v16, v16, v28
	v_mul_f32_e32 v28, v26, v49
	v_fma_f32 v30, v26, v48, -v32
	v_mul_f32_e32 v32, v27, v51
	v_add_f32_e32 v22, v22, v56
	v_add_f32_e32 v17, v17, v31
	v_fmac_f32_e32 v28, v27, v48
	v_mul_f32_e32 v31, v26, v51
	v_add_f32_e32 v2, v2, v30
	v_fma_f32 v26, v26, v50, -v32
	v_mul_f32_e32 v30, v35, v49
	v_add_f32_e32 v28, v22, v28
	v_fmac_f32_e32 v31, v27, v50
	v_mul_f32_e32 v22, v34, v49
	v_add_f32_e32 v26, v23, v26
	v_fma_f32 v23, v34, v48, -v30
	v_mul_f32_e32 v27, v35, v51
	v_add_f32_e32 v30, v24, v31
	v_fmac_f32_e32 v22, v35, v48
	v_mul_f32_e32 v31, v34, v51
	v_add_f32_e32 v32, v25, v23
	v_fma_f32 v23, v34, v50, -v27
	s_waitcnt lgkmcnt(0)
	v_mul_f32_e32 v24, v37, v19
	v_add_f32_e32 v27, v29, v22
	v_fmac_f32_e32 v31, v35, v50
	v_mul_f32_e32 v29, v36, v19
	v_add_f32_e32 v16, v16, v23
	v_fma_f32 v33, v36, v18, -v24
	v_mul_f32_e32 v34, v37, v21
	ds_read2_b64 v[22:25], v7 offset0:96 offset1:112
	v_fmac_f32_e32 v29, v37, v18
	v_add_f32_e32 v31, v17, v31
	v_add_f32_e32 v2, v2, v33
	v_mul_f32_e32 v17, v36, v21
	v_fma_f32 v33, v36, v20, -v34
	v_add_f32_e32 v28, v28, v29
	v_mul_f32_e32 v29, v53, v19
	v_mul_f32_e32 v19, v52, v19
	v_fmac_f32_e32 v17, v37, v20
	v_add_f32_e32 v26, v26, v33
	v_mul_f32_e32 v33, v53, v21
	v_mul_f32_e32 v21, v52, v21
	v_fmac_f32_e32 v19, v53, v18
	v_add_f32_e32 v30, v30, v17
	v_fma_f32 v29, v52, v18, -v29
	v_fma_f32 v17, v52, v20, -v33
	v_fmac_f32_e32 v21, v53, v20
	v_add_f32_e32 v33, v27, v19
	s_waitcnt lgkmcnt(0)
	v_mul_f32_e32 v20, v39, v23
	v_add_f32_e32 v34, v16, v17
	ds_read2_b64 v[16:19], v7 offset0:128 offset1:144
	v_add_f32_e32 v32, v32, v29
	v_mul_f32_e32 v27, v38, v23
	v_mul_f32_e32 v29, v39, v25
	v_fma_f32 v20, v38, v22, -v20
	v_add_f32_e32 v31, v31, v21
	v_mul_f32_e32 v21, v38, v25
	v_fmac_f32_e32 v27, v39, v22
	v_fma_f32 v29, v38, v24, -v29
	v_add_f32_e32 v2, v2, v20
	v_mul_f32_e32 v20, v55, v23
	v_fmac_f32_e32 v21, v39, v24
	v_add_f32_e32 v35, v28, v27
	v_add_f32_e32 v36, v26, v29
	v_mul_f32_e32 v23, v54, v23
	v_fma_f32 v20, v54, v22, -v20
	v_mul_f32_e32 v37, v55, v25
	ds_read_b128 v[26:29], v8 offset:1056
	v_add_f32_e32 v38, v30, v21
	v_fmac_f32_e32 v23, v55, v22
	v_mul_f32_e32 v25, v54, v25
	v_fma_f32 v21, v54, v24, -v37
	v_add_f32_e32 v37, v32, v20
	s_waitcnt lgkmcnt(1)
	v_mul_f32_e32 v20, v41, v17
	v_add_f32_e32 v39, v33, v23
	v_fmac_f32_e32 v25, v55, v24
	v_add_f32_e32 v24, v34, v21
	v_mul_f32_e32 v32, v41, v19
	v_fma_f32 v30, v40, v16, -v20
	ds_read2_b64 v[20:23], v7 offset0:160 offset1:176
	v_mul_f32_e32 v34, v40, v17
	v_add_f32_e32 v25, v31, v25
	v_fma_f32 v48, v40, v18, -v32
	v_mul_f32_e32 v40, v40, v19
	v_add_f32_e32 v2, v2, v30
	v_fmac_f32_e32 v34, v41, v16
	ds_read_b128 v[30:33], v8 offset:1072
	s_waitcnt lgkmcnt(2)
	v_mul_f32_e32 v49, v27, v17
	v_mul_f32_e32 v17, v26, v17
	v_fmac_f32_e32 v40, v41, v18
	v_mul_f32_e32 v41, v27, v19
	v_add_f32_e32 v34, v35, v34
	v_add_f32_e32 v35, v36, v48
	v_fma_f32 v36, v26, v16, -v49
	v_fmac_f32_e32 v17, v27, v16
	v_add_f32_e32 v38, v38, v40
	v_mul_f32_e32 v40, v26, v19
	v_fma_f32 v16, v26, v18, -v41
	v_add_f32_e32 v36, v37, v36
	v_add_f32_e32 v26, v39, v17
	s_waitcnt lgkmcnt(1)
	v_mul_f32_e32 v37, v43, v21
	v_fmac_f32_e32 v40, v27, v18
	v_add_f32_e32 v24, v24, v16
	ds_read2_b64 v[16:19], v7 offset0:192 offset1:208
	v_mul_f32_e32 v27, v42, v21
	v_fma_f32 v37, v42, v20, -v37
	v_mul_f32_e32 v39, v43, v23
	v_add_f32_e32 v40, v25, v40
	v_mul_f32_e32 v25, v42, v23
	v_fmac_f32_e32 v27, v43, v20
	v_add_f32_e32 v2, v2, v37
	v_fma_f32 v37, v42, v22, -v39
	v_fmac_f32_e32 v25, v43, v22
	v_add_f32_e32 v34, v34, v27
	v_mul_f32_e32 v27, v29, v21
	v_mul_f32_e32 v21, v28, v21
	v_add_f32_e32 v35, v35, v37
	v_mul_f32_e32 v37, v29, v23
	v_add_f32_e32 v38, v38, v25
	v_fma_f32 v27, v28, v20, -v27
	v_fmac_f32_e32 v21, v29, v20
	v_mul_f32_e32 v20, v28, v23
	v_fma_f32 v23, v28, v22, -v37
	s_waitcnt lgkmcnt(0)
	v_mul_f32_e32 v25, v45, v17
	v_add_f32_e32 v28, v36, v27
	v_add_f32_e32 v21, v26, v21
	v_fmac_f32_e32 v20, v29, v22
	v_add_f32_e32 v22, v24, v23
	v_fma_f32 v29, v44, v16, -v25
	ds_read2_b64 v[24:27], v7 offset0:224 offset1:240
	v_mul_f32_e32 v23, v44, v17
	v_mul_f32_e32 v37, v31, v17
	;; [unrolled: 1-line block ×4, first 2 shown]
	v_add_f32_e32 v2, v2, v29
	v_fmac_f32_e32 v23, v45, v16
	v_mul_f32_e32 v29, v44, v19
	v_fmac_f32_e32 v17, v31, v16
	v_fma_f32 v36, v44, v18, -v36
	v_add_f32_e32 v20, v40, v20
	v_add_f32_e32 v34, v34, v23
	v_fma_f32 v23, v30, v16, -v37
	v_mul_f32_e32 v16, v31, v19
	v_mul_f32_e32 v19, v30, v19
	v_fmac_f32_e32 v29, v45, v18
	v_add_f32_e32 v17, v21, v17
	v_add_f32_e32 v35, v35, v36
	v_fma_f32 v16, v30, v18, -v16
	v_fmac_f32_e32 v19, v31, v18
	s_waitcnt lgkmcnt(0)
	v_mul_f32_e32 v21, v47, v25
	v_mul_f32_e32 v18, v47, v27
	v_add_f32_e32 v28, v28, v23
	v_mul_f32_e32 v30, v46, v25
	v_mul_f32_e32 v31, v46, v27
	v_fma_f32 v21, v46, v24, -v21
	v_fma_f32 v18, v46, v26, -v18
	v_add_f32_e32 v36, v20, v19
	v_mul_f32_e32 v19, v32, v25
	v_add_f32_e32 v29, v38, v29
	v_add_f32_e32 v23, v2, v21
	;; [unrolled: 1-line block ×3, first 2 shown]
	v_mul_f32_e32 v2, v33, v25
	v_mul_f32_e32 v18, v33, v27
	;; [unrolled: 1-line block ×3, first 2 shown]
	v_add_f32_e32 v16, v22, v16
	v_fmac_f32_e32 v30, v47, v24
	v_fmac_f32_e32 v31, v47, v26
	v_fma_f32 v2, v32, v24, -v2
	v_fmac_f32_e32 v19, v33, v24
	v_fma_f32 v24, v32, v26, -v18
	v_fmac_f32_e32 v25, v33, v26
	v_add_f32_e32 v22, v34, v30
	v_add_f32_e32 v21, v29, v31
	;; [unrolled: 1-line block ×6, first 2 shown]
	s_barrier
	buffer_gl0_inv
	s_cbranch_vccz .LBB535_18
.LBB535_8:                              ; =>This Inner Loop Header: Depth=1
	s_mov_b32 s11, s8
	s_mov_b32 s9, 0
	s_and_saveexec_b32 s10, s0
	s_cbranch_execnz .LBB535_16
; %bb.9:                                ;   in Loop: Header=BB535_8 Depth=1
	s_or_b32 exec_lo, exec_lo, s10
	s_and_saveexec_b32 s10, s11
	s_xor_b32 s10, exec_lo, s10
	s_cbranch_execnz .LBB535_17
.LBB535_10:                             ;   in Loop: Header=BB535_8 Depth=1
	s_or_b32 exec_lo, exec_lo, s10
	s_and_saveexec_b32 s10, s9
	s_cbranch_execz .LBB535_12
.LBB535_11:                             ;   in Loop: Header=BB535_8 Depth=1
	v_lshlrev_b64 v[24:25], 3, v[4:5]
	v_add_co_u32 v24, vcc_lo, v14, v24
	v_add_co_ci_u32_e64 v25, null, v15, v25, vcc_lo
	flat_load_dwordx2 v[24:25], v[24:25]
	s_waitcnt vmcnt(0) lgkmcnt(0)
	ds_write_b64 v10, v[24:25]
.LBB535_12:                             ;   in Loop: Header=BB535_8 Depth=1
	s_or_b32 exec_lo, exec_lo, s10
	v_add_nc_u32_e32 v2, s6, v6
	v_cmp_le_u64_e32 vcc_lo, s[16:17], v[2:3]
	s_or_b32 s9, vcc_lo, s1
	s_and_saveexec_b32 s10, s9
	s_xor_b32 s9, exec_lo, s10
; %bb.13:                               ;   in Loop: Header=BB535_8 Depth=1
	v_mov_b32_e32 v2, v3
	ds_write_b64 v11, v[2:3]
; %bb.14:                               ;   in Loop: Header=BB535_8 Depth=1
	s_andn2_saveexec_b32 s9, s9
	s_cbranch_execz .LBB535_7
; %bb.15:                               ;   in Loop: Header=BB535_8 Depth=1
	v_mad_u64_u32 v[24:25], null, s4, v2, 0
	v_mad_u64_u32 v[25:26], null, s5, v2, v[25:26]
	v_lshlrev_b64 v[24:25], 3, v[24:25]
	v_add_co_u32 v24, vcc_lo, v12, v24
	v_add_co_ci_u32_e64 v25, null, v13, v25, vcc_lo
	flat_load_dwordx2 v[24:25], v[24:25]
	s_waitcnt vmcnt(0) lgkmcnt(0)
	ds_write_b64 v11, v[24:25]
	s_branch .LBB535_7
.LBB535_16:                             ;   in Loop: Header=BB535_8 Depth=1
	v_add_nc_u32_e32 v2, s6, v9
	v_mov_b32_e32 v5, v3
	s_andn2_b32 s11, s8, exec_lo
	s_mov_b32 s9, exec_lo
	v_cmp_le_u64_e32 vcc_lo, s[16:17], v[2:3]
	v_mov_b32_e32 v4, v2
	s_and_b32 s12, vcc_lo, exec_lo
	s_or_b32 s11, s11, s12
	s_or_b32 exec_lo, exec_lo, s10
	s_and_saveexec_b32 s10, s11
	s_xor_b32 s10, exec_lo, s10
	s_cbranch_execz .LBB535_10
.LBB535_17:                             ;   in Loop: Header=BB535_8 Depth=1
	v_mov_b32_e32 v2, v3
	s_andn2_b32 s9, s9, exec_lo
	ds_write_b64 v10, v[2:3]
	s_or_b32 exec_lo, exec_lo, s10
	s_and_saveexec_b32 s10, s9
	s_cbranch_execnz .LBB535_11
	s_branch .LBB535_12
.LBB535_18:
	v_add_nc_u32_e32 v9, s29, v1
	s_lshl_b64 s[0:1], s[2:3], 3
	v_add_nc_u32_e32 v0, s28, v0
	v_cmp_neq_f32_e64 s2, s24, 0
	s_waitcnt lgkmcnt(0)
	s_add_u32 s3, s20, s0
	v_ashrrev_i32_e32 v3, 31, v9
	v_mul_lo_u32 v4, s23, v9
	v_mad_u64_u32 v[1:2], null, s22, v9, 0
	s_addc_u32 s4, s21, s1
	v_mul_lo_u32 v3, s22, v3
	s_xor_b32 s5, s27, -1
	v_cmp_le_i32_e32 vcc_lo, v9, v0
	v_cmp_gt_i32_e64 s0, s26, v0
	s_or_b32 s2, s2, s5
	v_cndmask_b32_e64 v8, 0, 1, s2
	s_and_b32 s5, vcc_lo, s0
	v_add3_u32 v2, v2, v3, v4
	v_lshlrev_b64 v[2:3], 3, v[1:2]
	v_ashrrev_i32_e32 v1, 31, v0
	v_add_co_u32 v6, s1, s3, v2
	v_add_co_ci_u32_e64 v7, null, s4, v3, s1
	s_and_saveexec_b32 s1, s5
	s_cbranch_execz .LBB535_22
; %bb.19:
	v_lshlrev_b64 v[4:5], 3, v[0:1]
	v_mul_f32_e32 v2, s19, v22
	v_mul_f32_e32 v3, s18, v22
	v_fma_f32 v2, v23, s18, -v2
	v_add_co_u32 v4, vcc_lo, v6, v4
	v_fmac_f32_e32 v3, s19, v23
	v_add_co_ci_u32_e64 v5, null, v7, v5, vcc_lo
	s_andn2_b32 vcc_lo, exec_lo, s2
	s_cbranch_vccnz .LBB535_21
; %bb.20:
	flat_load_dwordx2 v[10:11], v[4:5]
	s_waitcnt vmcnt(0) lgkmcnt(0)
	v_mul_f32_e32 v12, s25, v11
	v_mul_f32_e32 v11, s24, v11
	v_fma_f32 v12, v10, s24, -v12
	v_fmac_f32_e32 v11, s25, v10
	v_add_f32_e32 v2, v2, v12
	v_add_f32_e32 v3, v3, v11
.LBB535_21:
	flat_store_dwordx2 v[4:5], v[2:3]
.LBB535_22:
	s_or_b32 exec_lo, exec_lo, s1
	v_add_nc_u32_e32 v2, 16, v0
	v_cmp_le_i32_e32 vcc_lo, v9, v2
	v_cmp_gt_i32_e64 s1, s26, v2
	v_ashrrev_i32_e32 v3, 31, v2
	s_and_b32 s2, vcc_lo, s1
	s_and_saveexec_b32 s5, s2
	s_cbranch_execz .LBB535_26
; %bb.23:
	v_lshlrev_b64 v[10:11], 3, v[2:3]
	v_mul_f32_e32 v4, s19, v21
	v_mul_f32_e32 v5, s18, v21
	v_cmp_ne_u32_e32 vcc_lo, 1, v8
	v_fma_f32 v4, v20, s18, -v4
	v_add_co_u32 v6, s2, v6, v10
	v_fmac_f32_e32 v5, s19, v20
	v_add_co_ci_u32_e64 v7, null, v7, v11, s2
	s_cbranch_vccnz .LBB535_25
; %bb.24:
	flat_load_dwordx2 v[10:11], v[6:7]
	s_waitcnt vmcnt(0) lgkmcnt(0)
	v_mul_f32_e32 v12, s25, v11
	v_mul_f32_e32 v11, s24, v11
	v_fma_f32 v12, v10, s24, -v12
	v_fmac_f32_e32 v11, s25, v10
	v_add_f32_e32 v4, v4, v12
	v_add_f32_e32 v5, v5, v11
.LBB535_25:
	flat_store_dwordx2 v[6:7], v[4:5]
.LBB535_26:
	s_or_b32 exec_lo, exec_lo, s5
	v_add_nc_u32_e32 v9, 16, v9
	v_ashrrev_i32_e32 v6, 31, v9
	v_mul_lo_u32 v7, s23, v9
	v_mad_u64_u32 v[4:5], null, s22, v9, 0
	v_cmp_le_i32_e32 vcc_lo, v9, v0
	v_mul_lo_u32 v6, s22, v6
	s_and_b32 s0, vcc_lo, s0
	v_add3_u32 v5, v5, v6, v7
	v_lshlrev_b64 v[4:5], 3, v[4:5]
	v_add_co_u32 v6, s2, s3, v4
	v_add_co_ci_u32_e64 v7, null, s4, v5, s2
	s_and_saveexec_b32 s2, s0
	s_cbranch_execz .LBB535_30
; %bb.27:
	v_lshlrev_b64 v[0:1], 3, v[0:1]
	v_mul_f32_e32 v4, s19, v19
	v_mul_f32_e32 v5, s18, v19
	v_cmp_ne_u32_e32 vcc_lo, 1, v8
	v_fma_f32 v4, v18, s18, -v4
	v_add_co_u32 v0, s0, v6, v0
	v_fmac_f32_e32 v5, s19, v18
	v_add_co_ci_u32_e64 v1, null, v7, v1, s0
	s_cbranch_vccnz .LBB535_29
; %bb.28:
	flat_load_dwordx2 v[10:11], v[0:1]
	s_waitcnt vmcnt(0) lgkmcnt(0)
	v_mul_f32_e32 v12, s25, v11
	v_mul_f32_e32 v11, s24, v11
	v_fma_f32 v12, v10, s24, -v12
	v_fmac_f32_e32 v11, s25, v10
	v_add_f32_e32 v4, v4, v12
	v_add_f32_e32 v5, v5, v11
.LBB535_29:
	flat_store_dwordx2 v[0:1], v[4:5]
.LBB535_30:
	s_or_b32 exec_lo, exec_lo, s2
	v_cmp_le_i32_e32 vcc_lo, v9, v2
	s_and_b32 s0, vcc_lo, s1
	s_and_saveexec_b32 s1, s0
	s_cbranch_execz .LBB535_34
; %bb.31:
	v_lshlrev_b64 v[2:3], 3, v[2:3]
	v_mul_f32_e32 v0, s19, v17
	v_mul_f32_e32 v1, s18, v17
	v_cmp_ne_u32_e32 vcc_lo, 1, v8
	v_fma_f32 v0, v16, s18, -v0
	v_add_co_u32 v2, s0, v6, v2
	v_fmac_f32_e32 v1, s19, v16
	v_add_co_ci_u32_e64 v3, null, v7, v3, s0
	s_cbranch_vccnz .LBB535_33
; %bb.32:
	flat_load_dwordx2 v[4:5], v[2:3]
	s_waitcnt vmcnt(0) lgkmcnt(0)
	v_mul_f32_e32 v6, s25, v5
	v_mul_f32_e32 v5, s24, v5
	v_fma_f32 v6, v4, s24, -v6
	v_fmac_f32_e32 v5, s25, v4
	v_add_f32_e32 v0, v0, v6
	v_add_f32_e32 v1, v1, v5
.LBB535_33:
	flat_store_dwordx2 v[2:3], v[0:1]
.LBB535_34:
	s_endpgm
	.section	.rodata,"a",@progbits
	.p2align	6, 0x0
	.amdhsa_kernel _ZL29rocblas_internal_gemmt_kernelIlLi16ELi32ELi8ELc84ELc84ELc76ELb0ELb0E19rocblas_complex_numIfES1_PKPKS1_PKPS1_EviT_T9_T10_S9_lSB_S9_lSA_T11_S9_li
		.amdhsa_group_segment_fixed_size 4096
		.amdhsa_private_segment_fixed_size 0
		.amdhsa_kernarg_size 108
		.amdhsa_user_sgpr_count 6
		.amdhsa_user_sgpr_private_segment_buffer 1
		.amdhsa_user_sgpr_dispatch_ptr 0
		.amdhsa_user_sgpr_queue_ptr 0
		.amdhsa_user_sgpr_kernarg_segment_ptr 1
		.amdhsa_user_sgpr_dispatch_id 0
		.amdhsa_user_sgpr_flat_scratch_init 0
		.amdhsa_user_sgpr_private_segment_size 0
		.amdhsa_wavefront_size32 1
		.amdhsa_uses_dynamic_stack 0
		.amdhsa_system_sgpr_private_segment_wavefront_offset 0
		.amdhsa_system_sgpr_workgroup_id_x 1
		.amdhsa_system_sgpr_workgroup_id_y 1
		.amdhsa_system_sgpr_workgroup_id_z 1
		.amdhsa_system_sgpr_workgroup_info 0
		.amdhsa_system_vgpr_workitem_id 1
		.amdhsa_next_free_vgpr 61
		.amdhsa_next_free_sgpr 30
		.amdhsa_reserve_vcc 1
		.amdhsa_reserve_flat_scratch 0
		.amdhsa_float_round_mode_32 0
		.amdhsa_float_round_mode_16_64 0
		.amdhsa_float_denorm_mode_32 3
		.amdhsa_float_denorm_mode_16_64 3
		.amdhsa_dx10_clamp 1
		.amdhsa_ieee_mode 1
		.amdhsa_fp16_overflow 0
		.amdhsa_workgroup_processor_mode 1
		.amdhsa_memory_ordered 1
		.amdhsa_forward_progress 1
		.amdhsa_shared_vgpr_count 0
		.amdhsa_exception_fp_ieee_invalid_op 0
		.amdhsa_exception_fp_denorm_src 0
		.amdhsa_exception_fp_ieee_div_zero 0
		.amdhsa_exception_fp_ieee_overflow 0
		.amdhsa_exception_fp_ieee_underflow 0
		.amdhsa_exception_fp_ieee_inexact 0
		.amdhsa_exception_int_div_zero 0
	.end_amdhsa_kernel
	.section	.text._ZL29rocblas_internal_gemmt_kernelIlLi16ELi32ELi8ELc84ELc84ELc76ELb0ELb0E19rocblas_complex_numIfES1_PKPKS1_PKPS1_EviT_T9_T10_S9_lSB_S9_lSA_T11_S9_li,"axG",@progbits,_ZL29rocblas_internal_gemmt_kernelIlLi16ELi32ELi8ELc84ELc84ELc76ELb0ELb0E19rocblas_complex_numIfES1_PKPKS1_PKPS1_EviT_T9_T10_S9_lSB_S9_lSA_T11_S9_li,comdat
.Lfunc_end535:
	.size	_ZL29rocblas_internal_gemmt_kernelIlLi16ELi32ELi8ELc84ELc84ELc76ELb0ELb0E19rocblas_complex_numIfES1_PKPKS1_PKPS1_EviT_T9_T10_S9_lSB_S9_lSA_T11_S9_li, .Lfunc_end535-_ZL29rocblas_internal_gemmt_kernelIlLi16ELi32ELi8ELc84ELc84ELc76ELb0ELb0E19rocblas_complex_numIfES1_PKPKS1_PKPS1_EviT_T9_T10_S9_lSB_S9_lSA_T11_S9_li
                                        ; -- End function
	.set _ZL29rocblas_internal_gemmt_kernelIlLi16ELi32ELi8ELc84ELc84ELc76ELb0ELb0E19rocblas_complex_numIfES1_PKPKS1_PKPS1_EviT_T9_T10_S9_lSB_S9_lSA_T11_S9_li.num_vgpr, 61
	.set _ZL29rocblas_internal_gemmt_kernelIlLi16ELi32ELi8ELc84ELc84ELc76ELb0ELb0E19rocblas_complex_numIfES1_PKPKS1_PKPS1_EviT_T9_T10_S9_lSB_S9_lSA_T11_S9_li.num_agpr, 0
	.set _ZL29rocblas_internal_gemmt_kernelIlLi16ELi32ELi8ELc84ELc84ELc76ELb0ELb0E19rocblas_complex_numIfES1_PKPKS1_PKPS1_EviT_T9_T10_S9_lSB_S9_lSA_T11_S9_li.numbered_sgpr, 30
	.set _ZL29rocblas_internal_gemmt_kernelIlLi16ELi32ELi8ELc84ELc84ELc76ELb0ELb0E19rocblas_complex_numIfES1_PKPKS1_PKPS1_EviT_T9_T10_S9_lSB_S9_lSA_T11_S9_li.num_named_barrier, 0
	.set _ZL29rocblas_internal_gemmt_kernelIlLi16ELi32ELi8ELc84ELc84ELc76ELb0ELb0E19rocblas_complex_numIfES1_PKPKS1_PKPS1_EviT_T9_T10_S9_lSB_S9_lSA_T11_S9_li.private_seg_size, 0
	.set _ZL29rocblas_internal_gemmt_kernelIlLi16ELi32ELi8ELc84ELc84ELc76ELb0ELb0E19rocblas_complex_numIfES1_PKPKS1_PKPS1_EviT_T9_T10_S9_lSB_S9_lSA_T11_S9_li.uses_vcc, 1
	.set _ZL29rocblas_internal_gemmt_kernelIlLi16ELi32ELi8ELc84ELc84ELc76ELb0ELb0E19rocblas_complex_numIfES1_PKPKS1_PKPS1_EviT_T9_T10_S9_lSB_S9_lSA_T11_S9_li.uses_flat_scratch, 0
	.set _ZL29rocblas_internal_gemmt_kernelIlLi16ELi32ELi8ELc84ELc84ELc76ELb0ELb0E19rocblas_complex_numIfES1_PKPKS1_PKPS1_EviT_T9_T10_S9_lSB_S9_lSA_T11_S9_li.has_dyn_sized_stack, 0
	.set _ZL29rocblas_internal_gemmt_kernelIlLi16ELi32ELi8ELc84ELc84ELc76ELb0ELb0E19rocblas_complex_numIfES1_PKPKS1_PKPS1_EviT_T9_T10_S9_lSB_S9_lSA_T11_S9_li.has_recursion, 0
	.set _ZL29rocblas_internal_gemmt_kernelIlLi16ELi32ELi8ELc84ELc84ELc76ELb0ELb0E19rocblas_complex_numIfES1_PKPKS1_PKPS1_EviT_T9_T10_S9_lSB_S9_lSA_T11_S9_li.has_indirect_call, 0
	.section	.AMDGPU.csdata,"",@progbits
; Kernel info:
; codeLenInByte = 2640
; TotalNumSgprs: 32
; NumVgprs: 61
; ScratchSize: 0
; MemoryBound: 0
; FloatMode: 240
; IeeeMode: 1
; LDSByteSize: 4096 bytes/workgroup (compile time only)
; SGPRBlocks: 0
; VGPRBlocks: 7
; NumSGPRsForWavesPerEU: 32
; NumVGPRsForWavesPerEU: 61
; Occupancy: 16
; WaveLimiterHint : 1
; COMPUTE_PGM_RSRC2:SCRATCH_EN: 0
; COMPUTE_PGM_RSRC2:USER_SGPR: 6
; COMPUTE_PGM_RSRC2:TRAP_HANDLER: 0
; COMPUTE_PGM_RSRC2:TGID_X_EN: 1
; COMPUTE_PGM_RSRC2:TGID_Y_EN: 1
; COMPUTE_PGM_RSRC2:TGID_Z_EN: 1
; COMPUTE_PGM_RSRC2:TIDIG_COMP_CNT: 1
	.section	.text._ZL29rocblas_internal_gemmt_kernelIlLi16ELi32ELi8ELc84ELc67ELc76ELb0ELb1E19rocblas_complex_numIfES1_PKPKS1_PKPS1_EviT_T9_T10_S9_lSB_S9_lSA_T11_S9_li,"axG",@progbits,_ZL29rocblas_internal_gemmt_kernelIlLi16ELi32ELi8ELc84ELc67ELc76ELb0ELb1E19rocblas_complex_numIfES1_PKPKS1_PKPS1_EviT_T9_T10_S9_lSB_S9_lSA_T11_S9_li,comdat
	.globl	_ZL29rocblas_internal_gemmt_kernelIlLi16ELi32ELi8ELc84ELc67ELc76ELb0ELb1E19rocblas_complex_numIfES1_PKPKS1_PKPS1_EviT_T9_T10_S9_lSB_S9_lSA_T11_S9_li ; -- Begin function _ZL29rocblas_internal_gemmt_kernelIlLi16ELi32ELi8ELc84ELc67ELc76ELb0ELb1E19rocblas_complex_numIfES1_PKPKS1_PKPS1_EviT_T9_T10_S9_lSB_S9_lSA_T11_S9_li
	.p2align	8
	.type	_ZL29rocblas_internal_gemmt_kernelIlLi16ELi32ELi8ELc84ELc67ELc76ELb0ELb1E19rocblas_complex_numIfES1_PKPKS1_PKPS1_EviT_T9_T10_S9_lSB_S9_lSA_T11_S9_li,@function
_ZL29rocblas_internal_gemmt_kernelIlLi16ELi32ELi8ELc84ELc67ELc76ELb0ELb1E19rocblas_complex_numIfES1_PKPKS1_PKPS1_EviT_T9_T10_S9_lSB_S9_lSA_T11_S9_li: ; @_ZL29rocblas_internal_gemmt_kernelIlLi16ELi32ELi8ELc84ELc67ELc76ELb0ELb1E19rocblas_complex_numIfES1_PKPKS1_PKPS1_EviT_T9_T10_S9_lSB_S9_lSA_T11_S9_li
; %bb.0:
	s_clause 0x1
	s_load_dwordx2 s[24:25], s[4:5], 0x48
	s_load_dwordx4 s[16:19], s[4:5], 0x8
	s_waitcnt lgkmcnt(0)
	s_and_b32 s0, s25, 0x7fffffff
	v_cmp_eq_f32_e64 s1, s24, 1.0
	s_cmp_eq_u32 s0, 0
	s_mov_b32 s0, 0
	s_cselect_b32 s27, -1, 0
	s_and_b32 s1, s1, s27
	s_andn2_b32 vcc_lo, exec_lo, s1
	s_mov_b32 s1, -1
	s_cbranch_vccnz .LBB536_4
; %bb.1:
	s_cmp_lg_u64 s[16:17], 0
	s_cbranch_scc0 .LBB536_3
; %bb.2:
	v_cmp_neq_f32_e64 s0, s18, 0
	v_cmp_neq_f32_e64 s1, s19, 0
	s_or_b32 s0, s0, s1
.LBB536_3:
	s_mov_b32 s1, s0
.LBB536_4:
	s_and_b32 vcc_lo, exec_lo, s1
	s_cbranch_vccz .LBB536_34
; %bb.5:
	s_clause 0x1
	s_load_dwordx4 s[20:23], s[4:5], 0x50
	s_load_dword s26, s[4:5], 0x0
	s_mov_b32 s9, 0
	s_load_dwordx2 s[2:3], s[4:5], 0x60
	s_lshl_b64 s[0:1], s[8:9], 3
	v_cmp_eq_f32_e64 s10, s18, 0
	v_cmp_eq_f32_e64 s11, s19, 0
	v_mov_b32_e32 v23, 0
	v_mov_b32_e32 v22, 0
	;; [unrolled: 1-line block ×8, first 2 shown]
	s_waitcnt lgkmcnt(0)
	s_add_u32 s8, s20, s0
	s_addc_u32 s9, s21, s1
	s_lshl_b32 s28, s6, 5
	s_load_dwordx2 s[20:21], s[8:9], 0x0
	v_cmp_lt_i64_e64 s8, s[16:17], 1
	s_and_b32 s9, s10, s11
	s_lshl_b32 s29, s7, 5
	s_or_b32 s6, s9, s8
	s_and_b32 vcc_lo, exec_lo, s6
	s_cbranch_vccnz .LBB536_18
; %bb.6:
	s_clause 0x1
	s_load_dwordx8 s[8:15], s[4:5], 0x18
	s_load_dwordx4 s[4:7], s[4:5], 0x38
	v_lshl_add_u32 v2, v1, 4, v0
	v_and_b32_e32 v6, 7, v0
	v_lshlrev_b32_e32 v7, 3, v0
	v_lshl_add_u32 v8, v1, 6, 0x800
	v_mov_b32_e32 v3, 0
	v_and_b32_e32 v5, 31, v2
	v_lshrrev_b32_e32 v10, 3, v2
	v_lshlrev_b32_e32 v11, 3, v6
	v_lshrrev_b32_e32 v9, 5, v2
	v_mov_b32_e32 v17, 0
	v_or_b32_e32 v14, s28, v5
	v_add_nc_u32_e32 v4, s29, v10
	v_lshl_or_b32 v11, v10, 6, v11
	v_lshlrev_b32_e32 v2, 3, v5
	v_mov_b32_e32 v16, 0
	v_mov_b32_e32 v19, 0
	v_ashrrev_i32_e32 v5, 31, v4
	v_cmp_gt_i32_e32 vcc_lo, s26, v4
	s_waitcnt lgkmcnt(0)
	s_add_u32 s14, s14, s0
	s_addc_u32 s15, s15, s1
	s_lshl_b64 s[6:7], s[6:7], 3
	s_load_dwordx2 s[14:15], s[14:15], 0x0
	v_mul_lo_u32 v10, s11, v14
	v_mad_u64_u32 v[12:13], null, s10, v14, 0
	v_mov_b32_e32 v18, 0
	v_mov_b32_e32 v21, 0
	;; [unrolled: 1-line block ×4, first 2 shown]
	v_add_nc_u32_e32 v11, 0x800, v11
	v_mov_b32_e32 v23, 0
	s_waitcnt lgkmcnt(0)
	s_add_u32 s14, s14, s6
	s_addc_u32 s15, s15, s7
	s_add_u32 s0, s8, s0
	s_addc_u32 s1, s9, s1
	s_lshl_b64 s[6:7], s[12:13], 3
	s_load_dwordx2 s[0:1], s[0:1], 0x0
	v_cmp_le_i32_e64 s8, s26, v14
	s_waitcnt lgkmcnt(0)
	s_add_u32 s6, s0, s6
	s_addc_u32 s7, s1, s7
	s_ashr_i32 s1, s28, 31
	v_cmp_gt_i32_e64 s0, s26, v14
	s_mul_i32 s1, s10, s1
	v_lshlrev_b64 v[14:15], 3, v[4:5]
	v_add3_u32 v13, v13, s1, v10
	v_lshl_or_b32 v10, v9, 8, v2
	v_lshlrev_b64 v[4:5], 3, v[12:13]
	v_add_co_u32 v12, s1, s14, v14
	v_add_co_ci_u32_e64 v13, null, s15, v15, s1
	v_add_co_u32 v14, s1, s6, v4
	v_add_co_ci_u32_e64 v15, null, s7, v5, s1
	s_mov_b64 s[6:7], 0
	s_xor_b32 s1, vcc_lo, -1
                                        ; implicit-def: $vgpr4_vgpr5
	s_branch .LBB536_8
.LBB536_7:                              ;   in Loop: Header=BB536_8 Depth=1
	s_or_b32 exec_lo, exec_lo, s9
	ds_write_b32 v11, v24 offset:4
	s_waitcnt lgkmcnt(0)
	s_barrier
	buffer_gl0_inv
	ds_read_b128 v[24:27], v8
	ds_read2_b64 v[28:31], v7 offset1:16
	ds_read_b128 v[32:35], v8 offset:1024
	ds_read_b128 v[36:39], v8 offset:16
	;; [unrolled: 1-line block ×4, first 2 shown]
	ds_read2_b64 v[48:51], v7 offset0:32 offset1:48
	ds_read_b128 v[52:55], v8 offset:1040
	s_add_u32 s6, s6, 8
	s_addc_u32 s7, s7, 0
	v_cmp_gt_i64_e64 s9, s[16:17], s[6:7]
	s_and_b32 vcc_lo, exec_lo, s9
	s_waitcnt lgkmcnt(6)
	v_mul_f32_e32 v2, v25, v29
	v_mul_f32_e32 v56, v24, v29
	v_mul_f32_e32 v57, v25, v31
	v_mul_f32_e32 v58, v24, v31
	s_waitcnt lgkmcnt(5)
	v_mul_f32_e32 v59, v33, v29
	v_mul_f32_e32 v29, v32, v29
	;; [unrolled: 1-line block ×3, first 2 shown]
	v_fma_f32 v2, v24, v28, -v2
	v_fmac_f32_e32 v56, v25, v28
	v_fma_f32 v24, v24, v30, -v57
	v_fmac_f32_e32 v58, v25, v30
	;; [unrolled: 2-line block ×3, first 2 shown]
	v_mul_f32_e32 v31, v32, v31
	v_fma_f32 v28, v32, v30, -v60
	v_add_f32_e32 v2, v23, v2
	v_add_f32_e32 v23, v20, v24
	v_add_f32_e32 v24, v21, v58
	v_add_f32_e32 v25, v18, v25
	v_add_f32_e32 v29, v19, v29
	s_waitcnt lgkmcnt(1)
	v_mul_f32_e32 v32, v27, v49
	ds_read2_b64 v[18:21], v7 offset0:64 offset1:80
	v_fmac_f32_e32 v31, v33, v30
	v_add_f32_e32 v16, v16, v28
	v_mul_f32_e32 v28, v26, v49
	v_fma_f32 v30, v26, v48, -v32
	v_mul_f32_e32 v32, v27, v51
	v_add_f32_e32 v22, v22, v56
	v_add_f32_e32 v17, v17, v31
	v_fmac_f32_e32 v28, v27, v48
	v_mul_f32_e32 v31, v26, v51
	v_add_f32_e32 v2, v2, v30
	v_fma_f32 v26, v26, v50, -v32
	v_mul_f32_e32 v30, v35, v49
	v_add_f32_e32 v28, v22, v28
	v_fmac_f32_e32 v31, v27, v50
	v_mul_f32_e32 v22, v34, v49
	v_add_f32_e32 v26, v23, v26
	v_fma_f32 v23, v34, v48, -v30
	v_mul_f32_e32 v27, v35, v51
	v_add_f32_e32 v30, v24, v31
	v_fmac_f32_e32 v22, v35, v48
	v_mul_f32_e32 v31, v34, v51
	v_add_f32_e32 v32, v25, v23
	v_fma_f32 v23, v34, v50, -v27
	s_waitcnt lgkmcnt(0)
	v_mul_f32_e32 v24, v37, v19
	v_add_f32_e32 v27, v29, v22
	v_fmac_f32_e32 v31, v35, v50
	v_mul_f32_e32 v29, v36, v19
	v_add_f32_e32 v16, v16, v23
	v_fma_f32 v33, v36, v18, -v24
	v_mul_f32_e32 v34, v37, v21
	ds_read2_b64 v[22:25], v7 offset0:96 offset1:112
	v_fmac_f32_e32 v29, v37, v18
	v_add_f32_e32 v31, v17, v31
	v_add_f32_e32 v2, v2, v33
	v_mul_f32_e32 v17, v36, v21
	v_fma_f32 v33, v36, v20, -v34
	v_add_f32_e32 v28, v28, v29
	v_mul_f32_e32 v29, v53, v19
	v_mul_f32_e32 v19, v52, v19
	v_fmac_f32_e32 v17, v37, v20
	v_add_f32_e32 v26, v26, v33
	v_mul_f32_e32 v33, v53, v21
	v_mul_f32_e32 v21, v52, v21
	v_fmac_f32_e32 v19, v53, v18
	v_add_f32_e32 v30, v30, v17
	v_fma_f32 v29, v52, v18, -v29
	v_fma_f32 v17, v52, v20, -v33
	v_fmac_f32_e32 v21, v53, v20
	v_add_f32_e32 v33, v27, v19
	s_waitcnt lgkmcnt(0)
	v_mul_f32_e32 v20, v39, v23
	v_add_f32_e32 v34, v16, v17
	ds_read2_b64 v[16:19], v7 offset0:128 offset1:144
	v_add_f32_e32 v32, v32, v29
	v_mul_f32_e32 v27, v38, v23
	v_mul_f32_e32 v29, v39, v25
	v_fma_f32 v20, v38, v22, -v20
	v_add_f32_e32 v31, v31, v21
	v_mul_f32_e32 v21, v38, v25
	v_fmac_f32_e32 v27, v39, v22
	v_fma_f32 v29, v38, v24, -v29
	v_add_f32_e32 v2, v2, v20
	v_mul_f32_e32 v20, v55, v23
	v_fmac_f32_e32 v21, v39, v24
	v_add_f32_e32 v35, v28, v27
	v_add_f32_e32 v36, v26, v29
	v_mul_f32_e32 v23, v54, v23
	v_fma_f32 v20, v54, v22, -v20
	v_mul_f32_e32 v37, v55, v25
	ds_read_b128 v[26:29], v8 offset:1056
	v_add_f32_e32 v38, v30, v21
	v_fmac_f32_e32 v23, v55, v22
	v_mul_f32_e32 v25, v54, v25
	v_fma_f32 v21, v54, v24, -v37
	v_add_f32_e32 v37, v32, v20
	s_waitcnt lgkmcnt(1)
	v_mul_f32_e32 v20, v41, v17
	v_add_f32_e32 v39, v33, v23
	v_fmac_f32_e32 v25, v55, v24
	v_add_f32_e32 v24, v34, v21
	v_mul_f32_e32 v32, v41, v19
	v_fma_f32 v30, v40, v16, -v20
	ds_read2_b64 v[20:23], v7 offset0:160 offset1:176
	v_mul_f32_e32 v34, v40, v17
	v_add_f32_e32 v25, v31, v25
	v_fma_f32 v48, v40, v18, -v32
	v_mul_f32_e32 v40, v40, v19
	v_add_f32_e32 v2, v2, v30
	v_fmac_f32_e32 v34, v41, v16
	ds_read_b128 v[30:33], v8 offset:1072
	s_waitcnt lgkmcnt(2)
	v_mul_f32_e32 v49, v27, v17
	v_mul_f32_e32 v17, v26, v17
	v_fmac_f32_e32 v40, v41, v18
	v_mul_f32_e32 v41, v27, v19
	v_add_f32_e32 v34, v35, v34
	v_add_f32_e32 v35, v36, v48
	v_fma_f32 v36, v26, v16, -v49
	v_fmac_f32_e32 v17, v27, v16
	v_add_f32_e32 v38, v38, v40
	v_mul_f32_e32 v40, v26, v19
	v_fma_f32 v16, v26, v18, -v41
	v_add_f32_e32 v36, v37, v36
	v_add_f32_e32 v26, v39, v17
	s_waitcnt lgkmcnt(1)
	v_mul_f32_e32 v37, v43, v21
	v_fmac_f32_e32 v40, v27, v18
	v_add_f32_e32 v24, v24, v16
	ds_read2_b64 v[16:19], v7 offset0:192 offset1:208
	v_mul_f32_e32 v27, v42, v21
	v_fma_f32 v37, v42, v20, -v37
	v_mul_f32_e32 v39, v43, v23
	v_add_f32_e32 v40, v25, v40
	v_mul_f32_e32 v25, v42, v23
	v_fmac_f32_e32 v27, v43, v20
	v_add_f32_e32 v2, v2, v37
	v_fma_f32 v37, v42, v22, -v39
	v_fmac_f32_e32 v25, v43, v22
	v_add_f32_e32 v34, v34, v27
	v_mul_f32_e32 v27, v29, v21
	v_mul_f32_e32 v21, v28, v21
	v_add_f32_e32 v35, v35, v37
	v_mul_f32_e32 v37, v29, v23
	v_add_f32_e32 v38, v38, v25
	v_fma_f32 v27, v28, v20, -v27
	v_fmac_f32_e32 v21, v29, v20
	v_mul_f32_e32 v20, v28, v23
	v_fma_f32 v23, v28, v22, -v37
	s_waitcnt lgkmcnt(0)
	v_mul_f32_e32 v25, v45, v17
	v_add_f32_e32 v28, v36, v27
	v_add_f32_e32 v21, v26, v21
	v_fmac_f32_e32 v20, v29, v22
	v_add_f32_e32 v22, v24, v23
	v_fma_f32 v29, v44, v16, -v25
	ds_read2_b64 v[24:27], v7 offset0:224 offset1:240
	v_mul_f32_e32 v23, v44, v17
	v_mul_f32_e32 v37, v31, v17
	;; [unrolled: 1-line block ×4, first 2 shown]
	v_add_f32_e32 v2, v2, v29
	v_fmac_f32_e32 v23, v45, v16
	v_mul_f32_e32 v29, v44, v19
	v_fmac_f32_e32 v17, v31, v16
	v_fma_f32 v36, v44, v18, -v36
	v_add_f32_e32 v20, v40, v20
	v_add_f32_e32 v34, v34, v23
	v_fma_f32 v23, v30, v16, -v37
	v_mul_f32_e32 v16, v31, v19
	v_mul_f32_e32 v19, v30, v19
	v_fmac_f32_e32 v29, v45, v18
	v_add_f32_e32 v17, v21, v17
	v_add_f32_e32 v35, v35, v36
	v_fma_f32 v16, v30, v18, -v16
	v_fmac_f32_e32 v19, v31, v18
	s_waitcnt lgkmcnt(0)
	v_mul_f32_e32 v21, v47, v25
	v_mul_f32_e32 v18, v47, v27
	v_add_f32_e32 v28, v28, v23
	v_mul_f32_e32 v30, v46, v25
	v_mul_f32_e32 v31, v46, v27
	v_fma_f32 v21, v46, v24, -v21
	v_fma_f32 v18, v46, v26, -v18
	v_add_f32_e32 v36, v20, v19
	v_mul_f32_e32 v19, v32, v25
	v_add_f32_e32 v29, v38, v29
	v_add_f32_e32 v23, v2, v21
	;; [unrolled: 1-line block ×3, first 2 shown]
	v_mul_f32_e32 v2, v33, v25
	v_mul_f32_e32 v18, v33, v27
	v_mul_f32_e32 v25, v32, v27
	v_add_f32_e32 v16, v22, v16
	v_fmac_f32_e32 v30, v47, v24
	v_fmac_f32_e32 v31, v47, v26
	v_fma_f32 v2, v32, v24, -v2
	v_fmac_f32_e32 v19, v33, v24
	v_fma_f32 v24, v32, v26, -v18
	v_fmac_f32_e32 v25, v33, v26
	v_add_f32_e32 v22, v34, v30
	v_add_f32_e32 v21, v29, v31
	;; [unrolled: 1-line block ×6, first 2 shown]
	s_barrier
	buffer_gl0_inv
	s_cbranch_vccz .LBB536_18
.LBB536_8:                              ; =>This Inner Loop Header: Depth=1
	s_mov_b32 s11, s8
	s_mov_b32 s9, 0
	s_and_saveexec_b32 s10, s0
	s_cbranch_execnz .LBB536_16
; %bb.9:                                ;   in Loop: Header=BB536_8 Depth=1
	s_or_b32 exec_lo, exec_lo, s10
	s_and_saveexec_b32 s10, s11
	s_xor_b32 s10, exec_lo, s10
	s_cbranch_execnz .LBB536_17
.LBB536_10:                             ;   in Loop: Header=BB536_8 Depth=1
	s_or_b32 exec_lo, exec_lo, s10
	s_and_saveexec_b32 s10, s9
	s_cbranch_execz .LBB536_12
.LBB536_11:                             ;   in Loop: Header=BB536_8 Depth=1
	v_lshlrev_b64 v[24:25], 3, v[4:5]
	v_add_co_u32 v24, vcc_lo, v14, v24
	v_add_co_ci_u32_e64 v25, null, v15, v25, vcc_lo
	flat_load_dwordx2 v[24:25], v[24:25]
	s_waitcnt vmcnt(0) lgkmcnt(0)
	ds_write_b64 v10, v[24:25]
.LBB536_12:                             ;   in Loop: Header=BB536_8 Depth=1
	s_or_b32 exec_lo, exec_lo, s10
	v_add_nc_u32_e32 v2, s6, v6
	v_cmp_le_u64_e32 vcc_lo, s[16:17], v[2:3]
	s_or_b32 s9, vcc_lo, s1
	s_and_saveexec_b32 s10, s9
	s_xor_b32 s9, exec_lo, s10
; %bb.13:                               ;   in Loop: Header=BB536_8 Depth=1
	ds_write_b32 v11, v3
; %bb.14:                               ;   in Loop: Header=BB536_8 Depth=1
	s_or_saveexec_b32 s9, s9
	v_mov_b32_e32 v24, 0
	s_xor_b32 exec_lo, exec_lo, s9
	s_cbranch_execz .LBB536_7
; %bb.15:                               ;   in Loop: Header=BB536_8 Depth=1
	v_mad_u64_u32 v[24:25], null, s4, v2, 0
	v_mad_u64_u32 v[25:26], null, s5, v2, v[25:26]
	v_lshlrev_b64 v[24:25], 3, v[24:25]
	v_add_co_u32 v24, vcc_lo, v12, v24
	v_add_co_ci_u32_e64 v25, null, v13, v25, vcc_lo
	flat_load_dwordx2 v[25:26], v[24:25]
	s_waitcnt vmcnt(0) lgkmcnt(0)
	v_xor_b32_e32 v24, 0x80000000, v26
	ds_write_b32 v11, v25
	s_branch .LBB536_7
.LBB536_16:                             ;   in Loop: Header=BB536_8 Depth=1
	v_add_nc_u32_e32 v2, s6, v9
	v_mov_b32_e32 v5, v3
	s_andn2_b32 s11, s8, exec_lo
	s_mov_b32 s9, exec_lo
	v_cmp_le_u64_e32 vcc_lo, s[16:17], v[2:3]
	v_mov_b32_e32 v4, v2
	s_and_b32 s12, vcc_lo, exec_lo
	s_or_b32 s11, s11, s12
	s_or_b32 exec_lo, exec_lo, s10
	s_and_saveexec_b32 s10, s11
	s_xor_b32 s10, exec_lo, s10
	s_cbranch_execz .LBB536_10
.LBB536_17:                             ;   in Loop: Header=BB536_8 Depth=1
	v_mov_b32_e32 v2, v3
	s_andn2_b32 s9, s9, exec_lo
	ds_write_b64 v10, v[2:3]
	s_or_b32 exec_lo, exec_lo, s10
	s_and_saveexec_b32 s10, s9
	s_cbranch_execnz .LBB536_11
	s_branch .LBB536_12
.LBB536_18:
	v_add_nc_u32_e32 v9, s29, v1
	s_lshl_b64 s[0:1], s[2:3], 3
	v_add_nc_u32_e32 v0, s28, v0
	v_cmp_neq_f32_e64 s2, s24, 0
	s_waitcnt lgkmcnt(0)
	s_add_u32 s3, s20, s0
	v_ashrrev_i32_e32 v3, 31, v9
	v_mul_lo_u32 v4, s23, v9
	v_mad_u64_u32 v[1:2], null, s22, v9, 0
	s_addc_u32 s4, s21, s1
	v_mul_lo_u32 v3, s22, v3
	s_xor_b32 s5, s27, -1
	v_cmp_le_i32_e32 vcc_lo, v9, v0
	v_cmp_gt_i32_e64 s0, s26, v0
	s_or_b32 s2, s2, s5
	v_cndmask_b32_e64 v8, 0, 1, s2
	s_and_b32 s5, vcc_lo, s0
	v_add3_u32 v2, v2, v3, v4
	v_lshlrev_b64 v[2:3], 3, v[1:2]
	v_ashrrev_i32_e32 v1, 31, v0
	v_add_co_u32 v6, s1, s3, v2
	v_add_co_ci_u32_e64 v7, null, s4, v3, s1
	s_and_saveexec_b32 s1, s5
	s_cbranch_execz .LBB536_22
; %bb.19:
	v_lshlrev_b64 v[4:5], 3, v[0:1]
	v_mul_f32_e32 v2, s19, v22
	v_mul_f32_e32 v3, s18, v22
	v_fma_f32 v2, v23, s18, -v2
	v_add_co_u32 v4, vcc_lo, v6, v4
	v_fmac_f32_e32 v3, s19, v23
	v_add_co_ci_u32_e64 v5, null, v7, v5, vcc_lo
	s_andn2_b32 vcc_lo, exec_lo, s2
	s_cbranch_vccnz .LBB536_21
; %bb.20:
	flat_load_dwordx2 v[10:11], v[4:5]
	s_waitcnt vmcnt(0) lgkmcnt(0)
	v_mul_f32_e32 v12, s25, v11
	v_mul_f32_e32 v11, s24, v11
	v_fma_f32 v12, v10, s24, -v12
	v_fmac_f32_e32 v11, s25, v10
	v_add_f32_e32 v2, v2, v12
	v_add_f32_e32 v3, v3, v11
.LBB536_21:
	flat_store_dwordx2 v[4:5], v[2:3]
.LBB536_22:
	s_or_b32 exec_lo, exec_lo, s1
	v_add_nc_u32_e32 v2, 16, v0
	v_cmp_le_i32_e32 vcc_lo, v9, v2
	v_cmp_gt_i32_e64 s1, s26, v2
	v_ashrrev_i32_e32 v3, 31, v2
	s_and_b32 s2, vcc_lo, s1
	s_and_saveexec_b32 s5, s2
	s_cbranch_execz .LBB536_26
; %bb.23:
	v_lshlrev_b64 v[10:11], 3, v[2:3]
	v_mul_f32_e32 v4, s19, v21
	v_mul_f32_e32 v5, s18, v21
	v_cmp_ne_u32_e32 vcc_lo, 1, v8
	v_fma_f32 v4, v20, s18, -v4
	v_add_co_u32 v6, s2, v6, v10
	v_fmac_f32_e32 v5, s19, v20
	v_add_co_ci_u32_e64 v7, null, v7, v11, s2
	s_cbranch_vccnz .LBB536_25
; %bb.24:
	flat_load_dwordx2 v[10:11], v[6:7]
	s_waitcnt vmcnt(0) lgkmcnt(0)
	v_mul_f32_e32 v12, s25, v11
	v_mul_f32_e32 v11, s24, v11
	v_fma_f32 v12, v10, s24, -v12
	v_fmac_f32_e32 v11, s25, v10
	v_add_f32_e32 v4, v4, v12
	v_add_f32_e32 v5, v5, v11
.LBB536_25:
	flat_store_dwordx2 v[6:7], v[4:5]
.LBB536_26:
	s_or_b32 exec_lo, exec_lo, s5
	v_add_nc_u32_e32 v9, 16, v9
	v_ashrrev_i32_e32 v6, 31, v9
	v_mul_lo_u32 v7, s23, v9
	v_mad_u64_u32 v[4:5], null, s22, v9, 0
	v_cmp_le_i32_e32 vcc_lo, v9, v0
	v_mul_lo_u32 v6, s22, v6
	s_and_b32 s0, vcc_lo, s0
	v_add3_u32 v5, v5, v6, v7
	v_lshlrev_b64 v[4:5], 3, v[4:5]
	v_add_co_u32 v6, s2, s3, v4
	v_add_co_ci_u32_e64 v7, null, s4, v5, s2
	s_and_saveexec_b32 s2, s0
	s_cbranch_execz .LBB536_30
; %bb.27:
	v_lshlrev_b64 v[0:1], 3, v[0:1]
	v_mul_f32_e32 v4, s19, v19
	v_mul_f32_e32 v5, s18, v19
	v_cmp_ne_u32_e32 vcc_lo, 1, v8
	v_fma_f32 v4, v18, s18, -v4
	v_add_co_u32 v0, s0, v6, v0
	v_fmac_f32_e32 v5, s19, v18
	v_add_co_ci_u32_e64 v1, null, v7, v1, s0
	s_cbranch_vccnz .LBB536_29
; %bb.28:
	flat_load_dwordx2 v[10:11], v[0:1]
	s_waitcnt vmcnt(0) lgkmcnt(0)
	v_mul_f32_e32 v12, s25, v11
	v_mul_f32_e32 v11, s24, v11
	v_fma_f32 v12, v10, s24, -v12
	v_fmac_f32_e32 v11, s25, v10
	v_add_f32_e32 v4, v4, v12
	v_add_f32_e32 v5, v5, v11
.LBB536_29:
	flat_store_dwordx2 v[0:1], v[4:5]
.LBB536_30:
	s_or_b32 exec_lo, exec_lo, s2
	v_cmp_le_i32_e32 vcc_lo, v9, v2
	s_and_b32 s0, vcc_lo, s1
	s_and_saveexec_b32 s1, s0
	s_cbranch_execz .LBB536_34
; %bb.31:
	v_lshlrev_b64 v[2:3], 3, v[2:3]
	v_mul_f32_e32 v0, s19, v17
	v_mul_f32_e32 v1, s18, v17
	v_cmp_ne_u32_e32 vcc_lo, 1, v8
	v_fma_f32 v0, v16, s18, -v0
	v_add_co_u32 v2, s0, v6, v2
	v_fmac_f32_e32 v1, s19, v16
	v_add_co_ci_u32_e64 v3, null, v7, v3, s0
	s_cbranch_vccnz .LBB536_33
; %bb.32:
	flat_load_dwordx2 v[4:5], v[2:3]
	s_waitcnt vmcnt(0) lgkmcnt(0)
	v_mul_f32_e32 v6, s25, v5
	v_mul_f32_e32 v5, s24, v5
	v_fma_f32 v6, v4, s24, -v6
	v_fmac_f32_e32 v5, s25, v4
	v_add_f32_e32 v0, v0, v6
	v_add_f32_e32 v1, v1, v5
.LBB536_33:
	flat_store_dwordx2 v[2:3], v[0:1]
.LBB536_34:
	s_endpgm
	.section	.rodata,"a",@progbits
	.p2align	6, 0x0
	.amdhsa_kernel _ZL29rocblas_internal_gemmt_kernelIlLi16ELi32ELi8ELc84ELc67ELc76ELb0ELb1E19rocblas_complex_numIfES1_PKPKS1_PKPS1_EviT_T9_T10_S9_lSB_S9_lSA_T11_S9_li
		.amdhsa_group_segment_fixed_size 4096
		.amdhsa_private_segment_fixed_size 0
		.amdhsa_kernarg_size 108
		.amdhsa_user_sgpr_count 6
		.amdhsa_user_sgpr_private_segment_buffer 1
		.amdhsa_user_sgpr_dispatch_ptr 0
		.amdhsa_user_sgpr_queue_ptr 0
		.amdhsa_user_sgpr_kernarg_segment_ptr 1
		.amdhsa_user_sgpr_dispatch_id 0
		.amdhsa_user_sgpr_flat_scratch_init 0
		.amdhsa_user_sgpr_private_segment_size 0
		.amdhsa_wavefront_size32 1
		.amdhsa_uses_dynamic_stack 0
		.amdhsa_system_sgpr_private_segment_wavefront_offset 0
		.amdhsa_system_sgpr_workgroup_id_x 1
		.amdhsa_system_sgpr_workgroup_id_y 1
		.amdhsa_system_sgpr_workgroup_id_z 1
		.amdhsa_system_sgpr_workgroup_info 0
		.amdhsa_system_vgpr_workitem_id 1
		.amdhsa_next_free_vgpr 61
		.amdhsa_next_free_sgpr 30
		.amdhsa_reserve_vcc 1
		.amdhsa_reserve_flat_scratch 0
		.amdhsa_float_round_mode_32 0
		.amdhsa_float_round_mode_16_64 0
		.amdhsa_float_denorm_mode_32 3
		.amdhsa_float_denorm_mode_16_64 3
		.amdhsa_dx10_clamp 1
		.amdhsa_ieee_mode 1
		.amdhsa_fp16_overflow 0
		.amdhsa_workgroup_processor_mode 1
		.amdhsa_memory_ordered 1
		.amdhsa_forward_progress 1
		.amdhsa_shared_vgpr_count 0
		.amdhsa_exception_fp_ieee_invalid_op 0
		.amdhsa_exception_fp_denorm_src 0
		.amdhsa_exception_fp_ieee_div_zero 0
		.amdhsa_exception_fp_ieee_overflow 0
		.amdhsa_exception_fp_ieee_underflow 0
		.amdhsa_exception_fp_ieee_inexact 0
		.amdhsa_exception_int_div_zero 0
	.end_amdhsa_kernel
	.section	.text._ZL29rocblas_internal_gemmt_kernelIlLi16ELi32ELi8ELc84ELc67ELc76ELb0ELb1E19rocblas_complex_numIfES1_PKPKS1_PKPS1_EviT_T9_T10_S9_lSB_S9_lSA_T11_S9_li,"axG",@progbits,_ZL29rocblas_internal_gemmt_kernelIlLi16ELi32ELi8ELc84ELc67ELc76ELb0ELb1E19rocblas_complex_numIfES1_PKPKS1_PKPS1_EviT_T9_T10_S9_lSB_S9_lSA_T11_S9_li,comdat
.Lfunc_end536:
	.size	_ZL29rocblas_internal_gemmt_kernelIlLi16ELi32ELi8ELc84ELc67ELc76ELb0ELb1E19rocblas_complex_numIfES1_PKPKS1_PKPS1_EviT_T9_T10_S9_lSB_S9_lSA_T11_S9_li, .Lfunc_end536-_ZL29rocblas_internal_gemmt_kernelIlLi16ELi32ELi8ELc84ELc67ELc76ELb0ELb1E19rocblas_complex_numIfES1_PKPKS1_PKPS1_EviT_T9_T10_S9_lSB_S9_lSA_T11_S9_li
                                        ; -- End function
	.set _ZL29rocblas_internal_gemmt_kernelIlLi16ELi32ELi8ELc84ELc67ELc76ELb0ELb1E19rocblas_complex_numIfES1_PKPKS1_PKPS1_EviT_T9_T10_S9_lSB_S9_lSA_T11_S9_li.num_vgpr, 61
	.set _ZL29rocblas_internal_gemmt_kernelIlLi16ELi32ELi8ELc84ELc67ELc76ELb0ELb1E19rocblas_complex_numIfES1_PKPKS1_PKPS1_EviT_T9_T10_S9_lSB_S9_lSA_T11_S9_li.num_agpr, 0
	.set _ZL29rocblas_internal_gemmt_kernelIlLi16ELi32ELi8ELc84ELc67ELc76ELb0ELb1E19rocblas_complex_numIfES1_PKPKS1_PKPS1_EviT_T9_T10_S9_lSB_S9_lSA_T11_S9_li.numbered_sgpr, 30
	.set _ZL29rocblas_internal_gemmt_kernelIlLi16ELi32ELi8ELc84ELc67ELc76ELb0ELb1E19rocblas_complex_numIfES1_PKPKS1_PKPS1_EviT_T9_T10_S9_lSB_S9_lSA_T11_S9_li.num_named_barrier, 0
	.set _ZL29rocblas_internal_gemmt_kernelIlLi16ELi32ELi8ELc84ELc67ELc76ELb0ELb1E19rocblas_complex_numIfES1_PKPKS1_PKPS1_EviT_T9_T10_S9_lSB_S9_lSA_T11_S9_li.private_seg_size, 0
	.set _ZL29rocblas_internal_gemmt_kernelIlLi16ELi32ELi8ELc84ELc67ELc76ELb0ELb1E19rocblas_complex_numIfES1_PKPKS1_PKPS1_EviT_T9_T10_S9_lSB_S9_lSA_T11_S9_li.uses_vcc, 1
	.set _ZL29rocblas_internal_gemmt_kernelIlLi16ELi32ELi8ELc84ELc67ELc76ELb0ELb1E19rocblas_complex_numIfES1_PKPKS1_PKPS1_EviT_T9_T10_S9_lSB_S9_lSA_T11_S9_li.uses_flat_scratch, 0
	.set _ZL29rocblas_internal_gemmt_kernelIlLi16ELi32ELi8ELc84ELc67ELc76ELb0ELb1E19rocblas_complex_numIfES1_PKPKS1_PKPS1_EviT_T9_T10_S9_lSB_S9_lSA_T11_S9_li.has_dyn_sized_stack, 0
	.set _ZL29rocblas_internal_gemmt_kernelIlLi16ELi32ELi8ELc84ELc67ELc76ELb0ELb1E19rocblas_complex_numIfES1_PKPKS1_PKPS1_EviT_T9_T10_S9_lSB_S9_lSA_T11_S9_li.has_recursion, 0
	.set _ZL29rocblas_internal_gemmt_kernelIlLi16ELi32ELi8ELc84ELc67ELc76ELb0ELb1E19rocblas_complex_numIfES1_PKPKS1_PKPS1_EviT_T9_T10_S9_lSB_S9_lSA_T11_S9_li.has_indirect_call, 0
	.section	.AMDGPU.csdata,"",@progbits
; Kernel info:
; codeLenInByte = 2660
; TotalNumSgprs: 32
; NumVgprs: 61
; ScratchSize: 0
; MemoryBound: 0
; FloatMode: 240
; IeeeMode: 1
; LDSByteSize: 4096 bytes/workgroup (compile time only)
; SGPRBlocks: 0
; VGPRBlocks: 7
; NumSGPRsForWavesPerEU: 32
; NumVGPRsForWavesPerEU: 61
; Occupancy: 16
; WaveLimiterHint : 1
; COMPUTE_PGM_RSRC2:SCRATCH_EN: 0
; COMPUTE_PGM_RSRC2:USER_SGPR: 6
; COMPUTE_PGM_RSRC2:TRAP_HANDLER: 0
; COMPUTE_PGM_RSRC2:TGID_X_EN: 1
; COMPUTE_PGM_RSRC2:TGID_Y_EN: 1
; COMPUTE_PGM_RSRC2:TGID_Z_EN: 1
; COMPUTE_PGM_RSRC2:TIDIG_COMP_CNT: 1
	.section	.text._ZL29rocblas_internal_gemmt_kernelIlLi16ELi32ELi8ELc67ELc78ELc76ELb1ELb0E19rocblas_complex_numIfES1_PKPKS1_PKPS1_EviT_T9_T10_S9_lSB_S9_lSA_T11_S9_li,"axG",@progbits,_ZL29rocblas_internal_gemmt_kernelIlLi16ELi32ELi8ELc67ELc78ELc76ELb1ELb0E19rocblas_complex_numIfES1_PKPKS1_PKPS1_EviT_T9_T10_S9_lSB_S9_lSA_T11_S9_li,comdat
	.globl	_ZL29rocblas_internal_gemmt_kernelIlLi16ELi32ELi8ELc67ELc78ELc76ELb1ELb0E19rocblas_complex_numIfES1_PKPKS1_PKPS1_EviT_T9_T10_S9_lSB_S9_lSA_T11_S9_li ; -- Begin function _ZL29rocblas_internal_gemmt_kernelIlLi16ELi32ELi8ELc67ELc78ELc76ELb1ELb0E19rocblas_complex_numIfES1_PKPKS1_PKPS1_EviT_T9_T10_S9_lSB_S9_lSA_T11_S9_li
	.p2align	8
	.type	_ZL29rocblas_internal_gemmt_kernelIlLi16ELi32ELi8ELc67ELc78ELc76ELb1ELb0E19rocblas_complex_numIfES1_PKPKS1_PKPS1_EviT_T9_T10_S9_lSB_S9_lSA_T11_S9_li,@function
_ZL29rocblas_internal_gemmt_kernelIlLi16ELi32ELi8ELc67ELc78ELc76ELb1ELb0E19rocblas_complex_numIfES1_PKPKS1_PKPS1_EviT_T9_T10_S9_lSB_S9_lSA_T11_S9_li: ; @_ZL29rocblas_internal_gemmt_kernelIlLi16ELi32ELi8ELc67ELc78ELc76ELb1ELb0E19rocblas_complex_numIfES1_PKPKS1_PKPS1_EviT_T9_T10_S9_lSB_S9_lSA_T11_S9_li
; %bb.0:
	s_clause 0x1
	s_load_dwordx2 s[24:25], s[4:5], 0x48
	s_load_dwordx4 s[16:19], s[4:5], 0x8
	s_waitcnt lgkmcnt(0)
	s_and_b32 s0, s25, 0x7fffffff
	v_cmp_eq_f32_e64 s1, s24, 1.0
	s_cmp_eq_u32 s0, 0
	s_mov_b32 s0, 0
	s_cselect_b32 s31, -1, 0
	s_and_b32 s1, s1, s31
	s_andn2_b32 vcc_lo, exec_lo, s1
	s_mov_b32 s1, -1
	s_cbranch_vccnz .LBB537_4
; %bb.1:
	s_cmp_lg_u64 s[16:17], 0
	s_cbranch_scc0 .LBB537_3
; %bb.2:
	v_cmp_neq_f32_e64 s0, s18, 0
	v_cmp_neq_f32_e64 s1, s19, 0
	s_or_b32 s0, s0, s1
.LBB537_3:
	s_mov_b32 s1, s0
.LBB537_4:
	s_and_b32 vcc_lo, exec_lo, s1
	s_cbranch_vccz .LBB537_34
; %bb.5:
	s_clause 0x1
	s_load_dwordx4 s[20:23], s[4:5], 0x50
	s_load_dword s30, s[4:5], 0x0
	s_mov_b32 s9, 0
	s_load_dwordx2 s[26:27], s[4:5], 0x60
	s_lshl_b64 s[28:29], s[8:9], 3
	v_cmp_eq_f32_e64 s2, s18, 0
	v_cmp_eq_f32_e64 s3, s19, 0
	v_mov_b32_e32 v23, 0
	v_mov_b32_e32 v22, 0
	;; [unrolled: 1-line block ×8, first 2 shown]
	s_waitcnt lgkmcnt(0)
	s_add_u32 s0, s20, s28
	s_addc_u32 s1, s21, s29
	s_lshl_b32 s6, s6, 5
	s_load_dwordx2 s[20:21], s[0:1], 0x0
	v_cmp_lt_i64_e64 s0, s[16:17], 1
	s_and_b32 s1, s2, s3
	s_lshl_b32 s7, s7, 5
	s_or_b32 s0, s1, s0
	s_and_b32 vcc_lo, exec_lo, s0
	s_cbranch_vccnz .LBB537_18
; %bb.6:
	s_clause 0x1
	s_load_dwordx8 s[8:15], s[4:5], 0x18
	s_load_dwordx4 s[0:3], s[4:5], 0x38
	v_lshl_add_u32 v2, v1, 4, v0
	v_and_b32_e32 v6, 7, v0
	v_lshlrev_b32_e32 v7, 3, v0
	v_lshl_add_u32 v8, v1, 6, 0x800
	v_mov_b32_e32 v3, 0
	v_lshrrev_b32_e32 v10, 3, v2
	v_and_b32_e32 v12, 31, v2
	v_lshlrev_b32_e32 v13, 3, v6
	v_lshrrev_b32_e32 v9, 5, v2
	v_mov_b32_e32 v17, 0
	v_add_nc_u32_e32 v11, s7, v10
	v_or_b32_e32 v14, s6, v12
	v_lshlrev_b32_e32 v2, 3, v12
	v_lshl_or_b32 v24, v10, 6, v13
	v_mov_b32_e32 v16, 0
	v_ashrrev_i32_e32 v4, 31, v11
	v_cmp_gt_i32_e32 vcc_lo, s30, v11
	v_mov_b32_e32 v19, 0
	s_waitcnt lgkmcnt(0)
	s_add_u32 s4, s14, s28
	s_addc_u32 s5, s15, s29
	s_lshl_b64 s[2:3], s[2:3], 3
	s_load_dwordx2 s[4:5], s[4:5], 0x0
	v_mul_lo_u32 v15, s0, v4
	v_mul_lo_u32 v23, s1, v11
	v_mad_u64_u32 v[4:5], null, s0, v11, 0
	v_mul_lo_u32 v10, s11, v14
	v_mad_u64_u32 v[12:13], null, s10, v14, 0
	v_mov_b32_e32 v18, 0
	v_mov_b32_e32 v21, 0
	;; [unrolled: 1-line block ×3, first 2 shown]
	v_add3_u32 v5, v5, v15, v23
	v_mov_b32_e32 v22, 0
	v_add_nc_u32_e32 v11, 0x800, v24
	v_mov_b32_e32 v23, 0
	v_lshlrev_b64 v[4:5], 3, v[4:5]
	s_waitcnt lgkmcnt(0)
	s_add_u32 s14, s4, s2
	s_addc_u32 s5, s5, s3
	s_add_u32 s2, s8, s28
	s_addc_u32 s3, s9, s29
	s_lshl_b64 s[0:1], s[12:13], 3
	s_load_dwordx2 s[2:3], s[2:3], 0x0
	v_cmp_le_i32_e64 s4, s30, v14
	s_waitcnt lgkmcnt(0)
	s_add_u32 s2, s2, s0
	s_addc_u32 s3, s3, s1
	s_ashr_i32 s1, s6, 31
	v_cmp_gt_i32_e64 s0, s30, v14
	s_mul_i32 s1, s10, s1
	v_add3_u32 v13, v13, s1, v10
	v_lshl_or_b32 v10, v9, 8, v2
	v_lshlrev_b64 v[14:15], 3, v[12:13]
	v_add_co_u32 v12, s1, s14, v4
	v_add_co_ci_u32_e64 v13, null, s5, v5, s1
                                        ; implicit-def: $vgpr4_vgpr5
	v_add_co_u32 v14, s1, s2, v14
	v_add_co_ci_u32_e64 v15, null, s3, v15, s1
	s_mov_b64 s[2:3], 0
	s_xor_b32 s1, vcc_lo, -1
	s_branch .LBB537_8
.LBB537_7:                              ;   in Loop: Header=BB537_8 Depth=1
	s_or_b32 exec_lo, exec_lo, s5
	s_waitcnt lgkmcnt(0)
	s_barrier
	buffer_gl0_inv
	ds_read_b128 v[24:27], v8
	ds_read2_b64 v[28:31], v7 offset1:16
	ds_read_b128 v[32:35], v8 offset:1024
	ds_read_b128 v[36:39], v8 offset:16
	;; [unrolled: 1-line block ×4, first 2 shown]
	ds_read2_b64 v[48:51], v7 offset0:32 offset1:48
	ds_read_b128 v[52:55], v8 offset:1040
	s_add_u32 s2, s2, 8
	s_addc_u32 s3, s3, 0
	v_cmp_gt_i64_e64 s5, s[16:17], s[2:3]
	s_and_b32 vcc_lo, exec_lo, s5
	s_waitcnt lgkmcnt(6)
	v_mul_f32_e32 v2, v25, v29
	v_mul_f32_e32 v56, v24, v29
	;; [unrolled: 1-line block ×4, first 2 shown]
	s_waitcnt lgkmcnt(5)
	v_mul_f32_e32 v59, v33, v29
	v_mul_f32_e32 v29, v32, v29
	;; [unrolled: 1-line block ×3, first 2 shown]
	v_fma_f32 v2, v24, v28, -v2
	v_fmac_f32_e32 v56, v25, v28
	v_fma_f32 v24, v24, v30, -v57
	v_fmac_f32_e32 v58, v25, v30
	v_fma_f32 v25, v32, v28, -v59
	v_fmac_f32_e32 v29, v33, v28
	v_mul_f32_e32 v31, v32, v31
	v_fma_f32 v28, v32, v30, -v60
	v_add_f32_e32 v2, v23, v2
	v_add_f32_e32 v23, v20, v24
	;; [unrolled: 1-line block ×5, first 2 shown]
	s_waitcnt lgkmcnt(1)
	v_mul_f32_e32 v32, v27, v49
	ds_read2_b64 v[18:21], v7 offset0:64 offset1:80
	v_fmac_f32_e32 v31, v33, v30
	v_add_f32_e32 v16, v16, v28
	v_mul_f32_e32 v28, v26, v49
	v_fma_f32 v30, v26, v48, -v32
	v_mul_f32_e32 v32, v27, v51
	v_add_f32_e32 v22, v22, v56
	v_add_f32_e32 v17, v17, v31
	v_fmac_f32_e32 v28, v27, v48
	v_mul_f32_e32 v31, v26, v51
	v_add_f32_e32 v2, v2, v30
	v_fma_f32 v26, v26, v50, -v32
	v_mul_f32_e32 v30, v35, v49
	v_add_f32_e32 v28, v22, v28
	v_fmac_f32_e32 v31, v27, v50
	v_mul_f32_e32 v22, v34, v49
	v_add_f32_e32 v26, v23, v26
	v_fma_f32 v23, v34, v48, -v30
	v_mul_f32_e32 v27, v35, v51
	v_add_f32_e32 v30, v24, v31
	v_fmac_f32_e32 v22, v35, v48
	v_mul_f32_e32 v31, v34, v51
	v_add_f32_e32 v32, v25, v23
	v_fma_f32 v23, v34, v50, -v27
	s_waitcnt lgkmcnt(0)
	v_mul_f32_e32 v24, v37, v19
	v_add_f32_e32 v27, v29, v22
	v_fmac_f32_e32 v31, v35, v50
	v_mul_f32_e32 v29, v36, v19
	v_add_f32_e32 v16, v16, v23
	v_fma_f32 v33, v36, v18, -v24
	v_mul_f32_e32 v34, v37, v21
	ds_read2_b64 v[22:25], v7 offset0:96 offset1:112
	v_fmac_f32_e32 v29, v37, v18
	v_add_f32_e32 v31, v17, v31
	v_add_f32_e32 v2, v2, v33
	v_mul_f32_e32 v17, v36, v21
	v_fma_f32 v33, v36, v20, -v34
	v_add_f32_e32 v28, v28, v29
	v_mul_f32_e32 v29, v53, v19
	v_mul_f32_e32 v19, v52, v19
	v_fmac_f32_e32 v17, v37, v20
	v_add_f32_e32 v26, v26, v33
	v_mul_f32_e32 v33, v53, v21
	v_mul_f32_e32 v21, v52, v21
	v_fmac_f32_e32 v19, v53, v18
	v_add_f32_e32 v30, v30, v17
	v_fma_f32 v29, v52, v18, -v29
	v_fma_f32 v17, v52, v20, -v33
	v_fmac_f32_e32 v21, v53, v20
	v_add_f32_e32 v33, v27, v19
	s_waitcnt lgkmcnt(0)
	v_mul_f32_e32 v20, v39, v23
	v_add_f32_e32 v34, v16, v17
	ds_read2_b64 v[16:19], v7 offset0:128 offset1:144
	v_add_f32_e32 v32, v32, v29
	v_mul_f32_e32 v27, v38, v23
	v_mul_f32_e32 v29, v39, v25
	v_fma_f32 v20, v38, v22, -v20
	v_add_f32_e32 v31, v31, v21
	v_mul_f32_e32 v21, v38, v25
	v_fmac_f32_e32 v27, v39, v22
	v_fma_f32 v29, v38, v24, -v29
	v_add_f32_e32 v2, v2, v20
	v_mul_f32_e32 v20, v55, v23
	v_fmac_f32_e32 v21, v39, v24
	v_add_f32_e32 v35, v28, v27
	v_add_f32_e32 v36, v26, v29
	v_mul_f32_e32 v23, v54, v23
	v_fma_f32 v20, v54, v22, -v20
	v_mul_f32_e32 v37, v55, v25
	ds_read_b128 v[26:29], v8 offset:1056
	v_add_f32_e32 v38, v30, v21
	v_fmac_f32_e32 v23, v55, v22
	v_mul_f32_e32 v25, v54, v25
	v_fma_f32 v21, v54, v24, -v37
	v_add_f32_e32 v37, v32, v20
	s_waitcnt lgkmcnt(1)
	v_mul_f32_e32 v20, v41, v17
	v_add_f32_e32 v39, v33, v23
	v_fmac_f32_e32 v25, v55, v24
	v_add_f32_e32 v24, v34, v21
	v_mul_f32_e32 v32, v41, v19
	v_fma_f32 v30, v40, v16, -v20
	ds_read2_b64 v[20:23], v7 offset0:160 offset1:176
	v_mul_f32_e32 v34, v40, v17
	v_add_f32_e32 v25, v31, v25
	v_fma_f32 v48, v40, v18, -v32
	v_mul_f32_e32 v40, v40, v19
	v_add_f32_e32 v2, v2, v30
	v_fmac_f32_e32 v34, v41, v16
	ds_read_b128 v[30:33], v8 offset:1072
	s_waitcnt lgkmcnt(2)
	v_mul_f32_e32 v49, v27, v17
	v_mul_f32_e32 v17, v26, v17
	v_fmac_f32_e32 v40, v41, v18
	v_mul_f32_e32 v41, v27, v19
	v_add_f32_e32 v34, v35, v34
	v_add_f32_e32 v35, v36, v48
	v_fma_f32 v36, v26, v16, -v49
	v_fmac_f32_e32 v17, v27, v16
	v_add_f32_e32 v38, v38, v40
	v_mul_f32_e32 v40, v26, v19
	v_fma_f32 v16, v26, v18, -v41
	v_add_f32_e32 v36, v37, v36
	v_add_f32_e32 v26, v39, v17
	s_waitcnt lgkmcnt(1)
	v_mul_f32_e32 v37, v43, v21
	v_fmac_f32_e32 v40, v27, v18
	v_add_f32_e32 v24, v24, v16
	ds_read2_b64 v[16:19], v7 offset0:192 offset1:208
	v_mul_f32_e32 v27, v42, v21
	v_fma_f32 v37, v42, v20, -v37
	v_mul_f32_e32 v39, v43, v23
	v_add_f32_e32 v40, v25, v40
	v_mul_f32_e32 v25, v42, v23
	v_fmac_f32_e32 v27, v43, v20
	v_add_f32_e32 v2, v2, v37
	v_fma_f32 v37, v42, v22, -v39
	v_fmac_f32_e32 v25, v43, v22
	v_add_f32_e32 v34, v34, v27
	v_mul_f32_e32 v27, v29, v21
	v_mul_f32_e32 v21, v28, v21
	v_add_f32_e32 v35, v35, v37
	v_mul_f32_e32 v37, v29, v23
	v_add_f32_e32 v38, v38, v25
	v_fma_f32 v27, v28, v20, -v27
	v_fmac_f32_e32 v21, v29, v20
	v_mul_f32_e32 v20, v28, v23
	v_fma_f32 v23, v28, v22, -v37
	s_waitcnt lgkmcnt(0)
	v_mul_f32_e32 v25, v45, v17
	v_add_f32_e32 v28, v36, v27
	v_add_f32_e32 v21, v26, v21
	v_fmac_f32_e32 v20, v29, v22
	v_add_f32_e32 v22, v24, v23
	v_fma_f32 v29, v44, v16, -v25
	ds_read2_b64 v[24:27], v7 offset0:224 offset1:240
	v_mul_f32_e32 v23, v44, v17
	v_mul_f32_e32 v37, v31, v17
	;; [unrolled: 1-line block ×4, first 2 shown]
	v_add_f32_e32 v2, v2, v29
	v_fmac_f32_e32 v23, v45, v16
	v_mul_f32_e32 v29, v44, v19
	v_fmac_f32_e32 v17, v31, v16
	v_fma_f32 v36, v44, v18, -v36
	v_add_f32_e32 v20, v40, v20
	v_add_f32_e32 v34, v34, v23
	v_fma_f32 v23, v30, v16, -v37
	v_mul_f32_e32 v16, v31, v19
	v_mul_f32_e32 v19, v30, v19
	v_fmac_f32_e32 v29, v45, v18
	v_add_f32_e32 v17, v21, v17
	v_add_f32_e32 v35, v35, v36
	v_fma_f32 v16, v30, v18, -v16
	v_fmac_f32_e32 v19, v31, v18
	s_waitcnt lgkmcnt(0)
	v_mul_f32_e32 v21, v47, v25
	v_mul_f32_e32 v18, v47, v27
	v_add_f32_e32 v28, v28, v23
	v_mul_f32_e32 v30, v46, v25
	v_mul_f32_e32 v31, v46, v27
	v_fma_f32 v21, v46, v24, -v21
	v_fma_f32 v18, v46, v26, -v18
	v_add_f32_e32 v36, v20, v19
	v_mul_f32_e32 v19, v32, v25
	v_add_f32_e32 v29, v38, v29
	v_add_f32_e32 v23, v2, v21
	;; [unrolled: 1-line block ×3, first 2 shown]
	v_mul_f32_e32 v2, v33, v25
	v_mul_f32_e32 v18, v33, v27
	;; [unrolled: 1-line block ×3, first 2 shown]
	v_add_f32_e32 v16, v22, v16
	v_fmac_f32_e32 v30, v47, v24
	v_fmac_f32_e32 v31, v47, v26
	v_fma_f32 v2, v32, v24, -v2
	v_fmac_f32_e32 v19, v33, v24
	v_fma_f32 v24, v32, v26, -v18
	v_fmac_f32_e32 v25, v33, v26
	v_add_f32_e32 v22, v34, v30
	v_add_f32_e32 v21, v29, v31
	;; [unrolled: 1-line block ×6, first 2 shown]
	s_barrier
	buffer_gl0_inv
	s_cbranch_vccz .LBB537_18
.LBB537_8:                              ; =>This Inner Loop Header: Depth=1
	s_mov_b32 s9, s4
	s_mov_b32 s5, 0
	s_and_saveexec_b32 s8, s0
	s_cbranch_execnz .LBB537_16
; %bb.9:                                ;   in Loop: Header=BB537_8 Depth=1
	s_or_b32 exec_lo, exec_lo, s8
	s_and_saveexec_b32 s8, s9
	s_xor_b32 s8, exec_lo, s8
	s_cbranch_execnz .LBB537_17
.LBB537_10:                             ;   in Loop: Header=BB537_8 Depth=1
	s_or_b32 exec_lo, exec_lo, s8
	v_mov_b32_e32 v24, 0
	s_and_saveexec_b32 s8, s5
	s_cbranch_execz .LBB537_12
.LBB537_11:                             ;   in Loop: Header=BB537_8 Depth=1
	v_lshlrev_b64 v[24:25], 3, v[4:5]
	v_add_co_u32 v24, vcc_lo, v14, v24
	v_add_co_ci_u32_e64 v25, null, v15, v25, vcc_lo
	flat_load_dwordx2 v[25:26], v[24:25]
	s_waitcnt vmcnt(0) lgkmcnt(0)
	v_xor_b32_e32 v24, 0x80000000, v26
	ds_write_b32 v10, v25
.LBB537_12:                             ;   in Loop: Header=BB537_8 Depth=1
	s_or_b32 exec_lo, exec_lo, s8
	v_add_nc_u32_e32 v2, s2, v6
	ds_write_b32 v10, v24 offset:4
	v_cmp_le_u64_e32 vcc_lo, s[16:17], v[2:3]
	s_or_b32 s5, vcc_lo, s1
	s_and_saveexec_b32 s8, s5
	s_xor_b32 s5, exec_lo, s8
; %bb.13:                               ;   in Loop: Header=BB537_8 Depth=1
	v_mov_b32_e32 v2, v3
	ds_write_b64 v11, v[2:3]
; %bb.14:                               ;   in Loop: Header=BB537_8 Depth=1
	s_andn2_saveexec_b32 s5, s5
	s_cbranch_execz .LBB537_7
; %bb.15:                               ;   in Loop: Header=BB537_8 Depth=1
	v_lshlrev_b64 v[24:25], 3, v[2:3]
	v_add_co_u32 v24, vcc_lo, v12, v24
	v_add_co_ci_u32_e64 v25, null, v13, v25, vcc_lo
	flat_load_dwordx2 v[24:25], v[24:25]
	s_waitcnt vmcnt(0) lgkmcnt(0)
	ds_write_b64 v11, v[24:25]
	s_branch .LBB537_7
.LBB537_16:                             ;   in Loop: Header=BB537_8 Depth=1
	v_add_nc_u32_e32 v2, s2, v9
	v_mov_b32_e32 v5, v3
	s_andn2_b32 s9, s4, exec_lo
	s_mov_b32 s5, exec_lo
	v_cmp_le_u64_e32 vcc_lo, s[16:17], v[2:3]
	v_mov_b32_e32 v4, v2
	s_and_b32 s10, vcc_lo, exec_lo
	s_or_b32 s9, s9, s10
	s_or_b32 exec_lo, exec_lo, s8
	s_and_saveexec_b32 s8, s9
	s_xor_b32 s8, exec_lo, s8
	s_cbranch_execz .LBB537_10
.LBB537_17:                             ;   in Loop: Header=BB537_8 Depth=1
	s_andn2_b32 s5, s5, exec_lo
	ds_write_b32 v10, v3
	s_or_b32 exec_lo, exec_lo, s8
	v_mov_b32_e32 v24, 0
	s_and_saveexec_b32 s8, s5
	s_cbranch_execnz .LBB537_11
	s_branch .LBB537_12
.LBB537_18:
	v_add_nc_u32_e32 v9, s7, v1
	s_lshl_b64 s[0:1], s[26:27], 3
	v_add_nc_u32_e32 v0, s6, v0
	v_cmp_neq_f32_e64 s2, s24, 0
	s_waitcnt lgkmcnt(0)
	s_add_u32 s3, s20, s0
	v_ashrrev_i32_e32 v3, 31, v9
	v_mul_lo_u32 v4, s23, v9
	v_mad_u64_u32 v[1:2], null, s22, v9, 0
	s_addc_u32 s4, s21, s1
	v_mul_lo_u32 v3, s22, v3
	s_xor_b32 s5, s31, -1
	v_cmp_le_i32_e32 vcc_lo, v9, v0
	v_cmp_gt_i32_e64 s0, s30, v0
	s_or_b32 s2, s2, s5
	v_cndmask_b32_e64 v8, 0, 1, s2
	s_and_b32 s5, vcc_lo, s0
	v_add3_u32 v2, v2, v3, v4
	v_lshlrev_b64 v[2:3], 3, v[1:2]
	v_ashrrev_i32_e32 v1, 31, v0
	v_add_co_u32 v6, s1, s3, v2
	v_add_co_ci_u32_e64 v7, null, s4, v3, s1
	s_and_saveexec_b32 s1, s5
	s_cbranch_execz .LBB537_22
; %bb.19:
	v_lshlrev_b64 v[4:5], 3, v[0:1]
	v_mul_f32_e32 v2, s19, v22
	v_mul_f32_e32 v3, s18, v22
	v_fma_f32 v2, v23, s18, -v2
	v_add_co_u32 v4, vcc_lo, v6, v4
	v_fmac_f32_e32 v3, s19, v23
	v_add_co_ci_u32_e64 v5, null, v7, v5, vcc_lo
	s_andn2_b32 vcc_lo, exec_lo, s2
	s_cbranch_vccnz .LBB537_21
; %bb.20:
	flat_load_dwordx2 v[10:11], v[4:5]
	s_waitcnt vmcnt(0) lgkmcnt(0)
	v_mul_f32_e32 v12, s25, v11
	v_mul_f32_e32 v11, s24, v11
	v_fma_f32 v12, v10, s24, -v12
	v_fmac_f32_e32 v11, s25, v10
	v_add_f32_e32 v2, v2, v12
	v_add_f32_e32 v3, v3, v11
.LBB537_21:
	flat_store_dwordx2 v[4:5], v[2:3]
.LBB537_22:
	s_or_b32 exec_lo, exec_lo, s1
	v_add_nc_u32_e32 v2, 16, v0
	v_cmp_le_i32_e32 vcc_lo, v9, v2
	v_cmp_gt_i32_e64 s1, s30, v2
	v_ashrrev_i32_e32 v3, 31, v2
	s_and_b32 s2, vcc_lo, s1
	s_and_saveexec_b32 s5, s2
	s_cbranch_execz .LBB537_26
; %bb.23:
	v_lshlrev_b64 v[10:11], 3, v[2:3]
	v_mul_f32_e32 v4, s19, v21
	v_mul_f32_e32 v5, s18, v21
	v_cmp_ne_u32_e32 vcc_lo, 1, v8
	v_fma_f32 v4, v20, s18, -v4
	v_add_co_u32 v6, s2, v6, v10
	v_fmac_f32_e32 v5, s19, v20
	v_add_co_ci_u32_e64 v7, null, v7, v11, s2
	s_cbranch_vccnz .LBB537_25
; %bb.24:
	flat_load_dwordx2 v[10:11], v[6:7]
	s_waitcnt vmcnt(0) lgkmcnt(0)
	v_mul_f32_e32 v12, s25, v11
	v_mul_f32_e32 v11, s24, v11
	v_fma_f32 v12, v10, s24, -v12
	v_fmac_f32_e32 v11, s25, v10
	v_add_f32_e32 v4, v4, v12
	v_add_f32_e32 v5, v5, v11
.LBB537_25:
	flat_store_dwordx2 v[6:7], v[4:5]
.LBB537_26:
	s_or_b32 exec_lo, exec_lo, s5
	v_add_nc_u32_e32 v9, 16, v9
	v_ashrrev_i32_e32 v6, 31, v9
	v_mul_lo_u32 v7, s23, v9
	v_mad_u64_u32 v[4:5], null, s22, v9, 0
	v_cmp_le_i32_e32 vcc_lo, v9, v0
	v_mul_lo_u32 v6, s22, v6
	s_and_b32 s0, vcc_lo, s0
	v_add3_u32 v5, v5, v6, v7
	v_lshlrev_b64 v[4:5], 3, v[4:5]
	v_add_co_u32 v6, s2, s3, v4
	v_add_co_ci_u32_e64 v7, null, s4, v5, s2
	s_and_saveexec_b32 s2, s0
	s_cbranch_execz .LBB537_30
; %bb.27:
	v_lshlrev_b64 v[0:1], 3, v[0:1]
	v_mul_f32_e32 v4, s19, v19
	v_mul_f32_e32 v5, s18, v19
	v_cmp_ne_u32_e32 vcc_lo, 1, v8
	v_fma_f32 v4, v18, s18, -v4
	v_add_co_u32 v0, s0, v6, v0
	v_fmac_f32_e32 v5, s19, v18
	v_add_co_ci_u32_e64 v1, null, v7, v1, s0
	s_cbranch_vccnz .LBB537_29
; %bb.28:
	flat_load_dwordx2 v[10:11], v[0:1]
	s_waitcnt vmcnt(0) lgkmcnt(0)
	v_mul_f32_e32 v12, s25, v11
	v_mul_f32_e32 v11, s24, v11
	v_fma_f32 v12, v10, s24, -v12
	v_fmac_f32_e32 v11, s25, v10
	v_add_f32_e32 v4, v4, v12
	v_add_f32_e32 v5, v5, v11
.LBB537_29:
	flat_store_dwordx2 v[0:1], v[4:5]
.LBB537_30:
	s_or_b32 exec_lo, exec_lo, s2
	v_cmp_le_i32_e32 vcc_lo, v9, v2
	s_and_b32 s0, vcc_lo, s1
	s_and_saveexec_b32 s1, s0
	s_cbranch_execz .LBB537_34
; %bb.31:
	v_lshlrev_b64 v[2:3], 3, v[2:3]
	v_mul_f32_e32 v0, s19, v17
	v_mul_f32_e32 v1, s18, v17
	v_cmp_ne_u32_e32 vcc_lo, 1, v8
	v_fma_f32 v0, v16, s18, -v0
	v_add_co_u32 v2, s0, v6, v2
	v_fmac_f32_e32 v1, s19, v16
	v_add_co_ci_u32_e64 v3, null, v7, v3, s0
	s_cbranch_vccnz .LBB537_33
; %bb.32:
	flat_load_dwordx2 v[4:5], v[2:3]
	s_waitcnt vmcnt(0) lgkmcnt(0)
	v_mul_f32_e32 v6, s25, v5
	v_mul_f32_e32 v5, s24, v5
	v_fma_f32 v6, v4, s24, -v6
	v_fmac_f32_e32 v5, s25, v4
	v_add_f32_e32 v0, v0, v6
	v_add_f32_e32 v1, v1, v5
.LBB537_33:
	flat_store_dwordx2 v[2:3], v[0:1]
.LBB537_34:
	s_endpgm
	.section	.rodata,"a",@progbits
	.p2align	6, 0x0
	.amdhsa_kernel _ZL29rocblas_internal_gemmt_kernelIlLi16ELi32ELi8ELc67ELc78ELc76ELb1ELb0E19rocblas_complex_numIfES1_PKPKS1_PKPS1_EviT_T9_T10_S9_lSB_S9_lSA_T11_S9_li
		.amdhsa_group_segment_fixed_size 4096
		.amdhsa_private_segment_fixed_size 0
		.amdhsa_kernarg_size 108
		.amdhsa_user_sgpr_count 6
		.amdhsa_user_sgpr_private_segment_buffer 1
		.amdhsa_user_sgpr_dispatch_ptr 0
		.amdhsa_user_sgpr_queue_ptr 0
		.amdhsa_user_sgpr_kernarg_segment_ptr 1
		.amdhsa_user_sgpr_dispatch_id 0
		.amdhsa_user_sgpr_flat_scratch_init 0
		.amdhsa_user_sgpr_private_segment_size 0
		.amdhsa_wavefront_size32 1
		.amdhsa_uses_dynamic_stack 0
		.amdhsa_system_sgpr_private_segment_wavefront_offset 0
		.amdhsa_system_sgpr_workgroup_id_x 1
		.amdhsa_system_sgpr_workgroup_id_y 1
		.amdhsa_system_sgpr_workgroup_id_z 1
		.amdhsa_system_sgpr_workgroup_info 0
		.amdhsa_system_vgpr_workitem_id 1
		.amdhsa_next_free_vgpr 61
		.amdhsa_next_free_sgpr 32
		.amdhsa_reserve_vcc 1
		.amdhsa_reserve_flat_scratch 0
		.amdhsa_float_round_mode_32 0
		.amdhsa_float_round_mode_16_64 0
		.amdhsa_float_denorm_mode_32 3
		.amdhsa_float_denorm_mode_16_64 3
		.amdhsa_dx10_clamp 1
		.amdhsa_ieee_mode 1
		.amdhsa_fp16_overflow 0
		.amdhsa_workgroup_processor_mode 1
		.amdhsa_memory_ordered 1
		.amdhsa_forward_progress 1
		.amdhsa_shared_vgpr_count 0
		.amdhsa_exception_fp_ieee_invalid_op 0
		.amdhsa_exception_fp_denorm_src 0
		.amdhsa_exception_fp_ieee_div_zero 0
		.amdhsa_exception_fp_ieee_overflow 0
		.amdhsa_exception_fp_ieee_underflow 0
		.amdhsa_exception_fp_ieee_inexact 0
		.amdhsa_exception_int_div_zero 0
	.end_amdhsa_kernel
	.section	.text._ZL29rocblas_internal_gemmt_kernelIlLi16ELi32ELi8ELc67ELc78ELc76ELb1ELb0E19rocblas_complex_numIfES1_PKPKS1_PKPS1_EviT_T9_T10_S9_lSB_S9_lSA_T11_S9_li,"axG",@progbits,_ZL29rocblas_internal_gemmt_kernelIlLi16ELi32ELi8ELc67ELc78ELc76ELb1ELb0E19rocblas_complex_numIfES1_PKPKS1_PKPS1_EviT_T9_T10_S9_lSB_S9_lSA_T11_S9_li,comdat
.Lfunc_end537:
	.size	_ZL29rocblas_internal_gemmt_kernelIlLi16ELi32ELi8ELc67ELc78ELc76ELb1ELb0E19rocblas_complex_numIfES1_PKPKS1_PKPS1_EviT_T9_T10_S9_lSB_S9_lSA_T11_S9_li, .Lfunc_end537-_ZL29rocblas_internal_gemmt_kernelIlLi16ELi32ELi8ELc67ELc78ELc76ELb1ELb0E19rocblas_complex_numIfES1_PKPKS1_PKPS1_EviT_T9_T10_S9_lSB_S9_lSA_T11_S9_li
                                        ; -- End function
	.set _ZL29rocblas_internal_gemmt_kernelIlLi16ELi32ELi8ELc67ELc78ELc76ELb1ELb0E19rocblas_complex_numIfES1_PKPKS1_PKPS1_EviT_T9_T10_S9_lSB_S9_lSA_T11_S9_li.num_vgpr, 61
	.set _ZL29rocblas_internal_gemmt_kernelIlLi16ELi32ELi8ELc67ELc78ELc76ELb1ELb0E19rocblas_complex_numIfES1_PKPKS1_PKPS1_EviT_T9_T10_S9_lSB_S9_lSA_T11_S9_li.num_agpr, 0
	.set _ZL29rocblas_internal_gemmt_kernelIlLi16ELi32ELi8ELc67ELc78ELc76ELb1ELb0E19rocblas_complex_numIfES1_PKPKS1_PKPS1_EviT_T9_T10_S9_lSB_S9_lSA_T11_S9_li.numbered_sgpr, 32
	.set _ZL29rocblas_internal_gemmt_kernelIlLi16ELi32ELi8ELc67ELc78ELc76ELb1ELb0E19rocblas_complex_numIfES1_PKPKS1_PKPS1_EviT_T9_T10_S9_lSB_S9_lSA_T11_S9_li.num_named_barrier, 0
	.set _ZL29rocblas_internal_gemmt_kernelIlLi16ELi32ELi8ELc67ELc78ELc76ELb1ELb0E19rocblas_complex_numIfES1_PKPKS1_PKPS1_EviT_T9_T10_S9_lSB_S9_lSA_T11_S9_li.private_seg_size, 0
	.set _ZL29rocblas_internal_gemmt_kernelIlLi16ELi32ELi8ELc67ELc78ELc76ELb1ELb0E19rocblas_complex_numIfES1_PKPKS1_PKPS1_EviT_T9_T10_S9_lSB_S9_lSA_T11_S9_li.uses_vcc, 1
	.set _ZL29rocblas_internal_gemmt_kernelIlLi16ELi32ELi8ELc67ELc78ELc76ELb1ELb0E19rocblas_complex_numIfES1_PKPKS1_PKPS1_EviT_T9_T10_S9_lSB_S9_lSA_T11_S9_li.uses_flat_scratch, 0
	.set _ZL29rocblas_internal_gemmt_kernelIlLi16ELi32ELi8ELc67ELc78ELc76ELb1ELb0E19rocblas_complex_numIfES1_PKPKS1_PKPS1_EviT_T9_T10_S9_lSB_S9_lSA_T11_S9_li.has_dyn_sized_stack, 0
	.set _ZL29rocblas_internal_gemmt_kernelIlLi16ELi32ELi8ELc67ELc78ELc76ELb1ELb0E19rocblas_complex_numIfES1_PKPKS1_PKPS1_EviT_T9_T10_S9_lSB_S9_lSA_T11_S9_li.has_recursion, 0
	.set _ZL29rocblas_internal_gemmt_kernelIlLi16ELi32ELi8ELc67ELc78ELc76ELb1ELb0E19rocblas_complex_numIfES1_PKPKS1_PKPS1_EviT_T9_T10_S9_lSB_S9_lSA_T11_S9_li.has_indirect_call, 0
	.section	.AMDGPU.csdata,"",@progbits
; Kernel info:
; codeLenInByte = 2676
; TotalNumSgprs: 34
; NumVgprs: 61
; ScratchSize: 0
; MemoryBound: 0
; FloatMode: 240
; IeeeMode: 1
; LDSByteSize: 4096 bytes/workgroup (compile time only)
; SGPRBlocks: 0
; VGPRBlocks: 7
; NumSGPRsForWavesPerEU: 34
; NumVGPRsForWavesPerEU: 61
; Occupancy: 16
; WaveLimiterHint : 1
; COMPUTE_PGM_RSRC2:SCRATCH_EN: 0
; COMPUTE_PGM_RSRC2:USER_SGPR: 6
; COMPUTE_PGM_RSRC2:TRAP_HANDLER: 0
; COMPUTE_PGM_RSRC2:TGID_X_EN: 1
; COMPUTE_PGM_RSRC2:TGID_Y_EN: 1
; COMPUTE_PGM_RSRC2:TGID_Z_EN: 1
; COMPUTE_PGM_RSRC2:TIDIG_COMP_CNT: 1
	.section	.text._ZL29rocblas_internal_gemmt_kernelIlLi16ELi32ELi8ELc67ELc84ELc76ELb1ELb0E19rocblas_complex_numIfES1_PKPKS1_PKPS1_EviT_T9_T10_S9_lSB_S9_lSA_T11_S9_li,"axG",@progbits,_ZL29rocblas_internal_gemmt_kernelIlLi16ELi32ELi8ELc67ELc84ELc76ELb1ELb0E19rocblas_complex_numIfES1_PKPKS1_PKPS1_EviT_T9_T10_S9_lSB_S9_lSA_T11_S9_li,comdat
	.globl	_ZL29rocblas_internal_gemmt_kernelIlLi16ELi32ELi8ELc67ELc84ELc76ELb1ELb0E19rocblas_complex_numIfES1_PKPKS1_PKPS1_EviT_T9_T10_S9_lSB_S9_lSA_T11_S9_li ; -- Begin function _ZL29rocblas_internal_gemmt_kernelIlLi16ELi32ELi8ELc67ELc84ELc76ELb1ELb0E19rocblas_complex_numIfES1_PKPKS1_PKPS1_EviT_T9_T10_S9_lSB_S9_lSA_T11_S9_li
	.p2align	8
	.type	_ZL29rocblas_internal_gemmt_kernelIlLi16ELi32ELi8ELc67ELc84ELc76ELb1ELb0E19rocblas_complex_numIfES1_PKPKS1_PKPS1_EviT_T9_T10_S9_lSB_S9_lSA_T11_S9_li,@function
_ZL29rocblas_internal_gemmt_kernelIlLi16ELi32ELi8ELc67ELc84ELc76ELb1ELb0E19rocblas_complex_numIfES1_PKPKS1_PKPS1_EviT_T9_T10_S9_lSB_S9_lSA_T11_S9_li: ; @_ZL29rocblas_internal_gemmt_kernelIlLi16ELi32ELi8ELc67ELc84ELc76ELb1ELb0E19rocblas_complex_numIfES1_PKPKS1_PKPS1_EviT_T9_T10_S9_lSB_S9_lSA_T11_S9_li
; %bb.0:
	s_clause 0x1
	s_load_dwordx2 s[24:25], s[4:5], 0x48
	s_load_dwordx4 s[16:19], s[4:5], 0x8
	s_waitcnt lgkmcnt(0)
	s_and_b32 s0, s25, 0x7fffffff
	v_cmp_eq_f32_e64 s1, s24, 1.0
	s_cmp_eq_u32 s0, 0
	s_mov_b32 s0, 0
	s_cselect_b32 s27, -1, 0
	s_and_b32 s1, s1, s27
	s_andn2_b32 vcc_lo, exec_lo, s1
	s_mov_b32 s1, -1
	s_cbranch_vccnz .LBB538_4
; %bb.1:
	s_cmp_lg_u64 s[16:17], 0
	s_cbranch_scc0 .LBB538_3
; %bb.2:
	v_cmp_neq_f32_e64 s0, s18, 0
	v_cmp_neq_f32_e64 s1, s19, 0
	s_or_b32 s0, s0, s1
.LBB538_3:
	s_mov_b32 s1, s0
.LBB538_4:
	s_and_b32 vcc_lo, exec_lo, s1
	s_cbranch_vccz .LBB538_34
; %bb.5:
	s_clause 0x1
	s_load_dwordx4 s[20:23], s[4:5], 0x50
	s_load_dword s26, s[4:5], 0x0
	s_mov_b32 s9, 0
	s_load_dwordx2 s[2:3], s[4:5], 0x60
	s_lshl_b64 s[0:1], s[8:9], 3
	v_cmp_eq_f32_e64 s10, s18, 0
	v_cmp_eq_f32_e64 s11, s19, 0
	v_mov_b32_e32 v23, 0
	v_mov_b32_e32 v22, 0
	;; [unrolled: 1-line block ×8, first 2 shown]
	s_waitcnt lgkmcnt(0)
	s_add_u32 s8, s20, s0
	s_addc_u32 s9, s21, s1
	s_lshl_b32 s28, s6, 5
	s_load_dwordx2 s[20:21], s[8:9], 0x0
	v_cmp_lt_i64_e64 s8, s[16:17], 1
	s_and_b32 s9, s10, s11
	s_lshl_b32 s29, s7, 5
	s_or_b32 s6, s9, s8
	s_and_b32 vcc_lo, exec_lo, s6
	s_cbranch_vccnz .LBB538_18
; %bb.6:
	s_clause 0x1
	s_load_dwordx8 s[8:15], s[4:5], 0x18
	s_load_dwordx4 s[4:7], s[4:5], 0x38
	v_lshl_add_u32 v2, v1, 4, v0
	v_and_b32_e32 v6, 7, v0
	v_lshlrev_b32_e32 v7, 3, v0
	v_lshl_add_u32 v8, v1, 6, 0x800
	v_mov_b32_e32 v3, 0
	v_and_b32_e32 v5, 31, v2
	v_lshrrev_b32_e32 v10, 3, v2
	v_lshlrev_b32_e32 v11, 3, v6
	v_lshrrev_b32_e32 v9, 5, v2
	v_mov_b32_e32 v17, 0
	v_or_b32_e32 v14, s28, v5
	v_add_nc_u32_e32 v4, s29, v10
	v_lshl_or_b32 v11, v10, 6, v11
	v_lshlrev_b32_e32 v2, 3, v5
	v_mov_b32_e32 v16, 0
	v_mov_b32_e32 v19, 0
	v_ashrrev_i32_e32 v5, 31, v4
	v_cmp_gt_i32_e32 vcc_lo, s26, v4
	s_waitcnt lgkmcnt(0)
	s_add_u32 s14, s14, s0
	s_addc_u32 s15, s15, s1
	s_lshl_b64 s[6:7], s[6:7], 3
	s_load_dwordx2 s[14:15], s[14:15], 0x0
	v_mul_lo_u32 v10, s11, v14
	v_mad_u64_u32 v[12:13], null, s10, v14, 0
	v_mov_b32_e32 v18, 0
	v_mov_b32_e32 v21, 0
	;; [unrolled: 1-line block ×4, first 2 shown]
	v_add_nc_u32_e32 v11, 0x800, v11
	v_mov_b32_e32 v23, 0
	s_waitcnt lgkmcnt(0)
	s_add_u32 s14, s14, s6
	s_addc_u32 s15, s15, s7
	s_add_u32 s0, s8, s0
	s_addc_u32 s1, s9, s1
	s_lshl_b64 s[6:7], s[12:13], 3
	s_load_dwordx2 s[0:1], s[0:1], 0x0
	v_cmp_le_i32_e64 s8, s26, v14
	s_waitcnt lgkmcnt(0)
	s_add_u32 s6, s0, s6
	s_addc_u32 s7, s1, s7
	s_ashr_i32 s1, s28, 31
	v_cmp_gt_i32_e64 s0, s26, v14
	s_mul_i32 s1, s10, s1
	v_lshlrev_b64 v[14:15], 3, v[4:5]
	v_add3_u32 v13, v13, s1, v10
	v_lshl_or_b32 v10, v9, 8, v2
	v_lshlrev_b64 v[4:5], 3, v[12:13]
	v_add_co_u32 v12, s1, s14, v14
	v_add_co_ci_u32_e64 v13, null, s15, v15, s1
	v_add_co_u32 v14, s1, s6, v4
	v_add_co_ci_u32_e64 v15, null, s7, v5, s1
	s_mov_b64 s[6:7], 0
	s_xor_b32 s1, vcc_lo, -1
                                        ; implicit-def: $vgpr4_vgpr5
	s_branch .LBB538_8
.LBB538_7:                              ;   in Loop: Header=BB538_8 Depth=1
	s_or_b32 exec_lo, exec_lo, s9
	s_waitcnt lgkmcnt(0)
	s_barrier
	buffer_gl0_inv
	ds_read_b128 v[24:27], v8
	ds_read2_b64 v[28:31], v7 offset1:16
	ds_read_b128 v[32:35], v8 offset:1024
	ds_read_b128 v[36:39], v8 offset:16
	;; [unrolled: 1-line block ×4, first 2 shown]
	ds_read2_b64 v[48:51], v7 offset0:32 offset1:48
	ds_read_b128 v[52:55], v8 offset:1040
	s_add_u32 s6, s6, 8
	s_addc_u32 s7, s7, 0
	v_cmp_gt_i64_e64 s9, s[16:17], s[6:7]
	s_and_b32 vcc_lo, exec_lo, s9
	s_waitcnt lgkmcnt(6)
	v_mul_f32_e32 v2, v25, v29
	v_mul_f32_e32 v56, v24, v29
	;; [unrolled: 1-line block ×4, first 2 shown]
	s_waitcnt lgkmcnt(5)
	v_mul_f32_e32 v59, v33, v29
	v_mul_f32_e32 v29, v32, v29
	;; [unrolled: 1-line block ×3, first 2 shown]
	v_fma_f32 v2, v24, v28, -v2
	v_fmac_f32_e32 v56, v25, v28
	v_fma_f32 v24, v24, v30, -v57
	v_fmac_f32_e32 v58, v25, v30
	;; [unrolled: 2-line block ×3, first 2 shown]
	v_mul_f32_e32 v31, v32, v31
	v_fma_f32 v28, v32, v30, -v60
	v_add_f32_e32 v2, v23, v2
	v_add_f32_e32 v23, v20, v24
	;; [unrolled: 1-line block ×5, first 2 shown]
	s_waitcnt lgkmcnt(1)
	v_mul_f32_e32 v32, v27, v49
	ds_read2_b64 v[18:21], v7 offset0:64 offset1:80
	v_fmac_f32_e32 v31, v33, v30
	v_add_f32_e32 v16, v16, v28
	v_mul_f32_e32 v28, v26, v49
	v_fma_f32 v30, v26, v48, -v32
	v_mul_f32_e32 v32, v27, v51
	v_add_f32_e32 v22, v22, v56
	v_add_f32_e32 v17, v17, v31
	v_fmac_f32_e32 v28, v27, v48
	v_mul_f32_e32 v31, v26, v51
	v_add_f32_e32 v2, v2, v30
	v_fma_f32 v26, v26, v50, -v32
	v_mul_f32_e32 v30, v35, v49
	v_add_f32_e32 v28, v22, v28
	v_fmac_f32_e32 v31, v27, v50
	v_mul_f32_e32 v22, v34, v49
	v_add_f32_e32 v26, v23, v26
	v_fma_f32 v23, v34, v48, -v30
	v_mul_f32_e32 v27, v35, v51
	v_add_f32_e32 v30, v24, v31
	v_fmac_f32_e32 v22, v35, v48
	v_mul_f32_e32 v31, v34, v51
	v_add_f32_e32 v32, v25, v23
	v_fma_f32 v23, v34, v50, -v27
	s_waitcnt lgkmcnt(0)
	v_mul_f32_e32 v24, v37, v19
	v_add_f32_e32 v27, v29, v22
	v_fmac_f32_e32 v31, v35, v50
	v_mul_f32_e32 v29, v36, v19
	v_add_f32_e32 v16, v16, v23
	v_fma_f32 v33, v36, v18, -v24
	v_mul_f32_e32 v34, v37, v21
	ds_read2_b64 v[22:25], v7 offset0:96 offset1:112
	v_fmac_f32_e32 v29, v37, v18
	v_add_f32_e32 v31, v17, v31
	v_add_f32_e32 v2, v2, v33
	v_mul_f32_e32 v17, v36, v21
	v_fma_f32 v33, v36, v20, -v34
	v_add_f32_e32 v28, v28, v29
	v_mul_f32_e32 v29, v53, v19
	v_mul_f32_e32 v19, v52, v19
	v_fmac_f32_e32 v17, v37, v20
	v_add_f32_e32 v26, v26, v33
	v_mul_f32_e32 v33, v53, v21
	v_mul_f32_e32 v21, v52, v21
	v_fmac_f32_e32 v19, v53, v18
	v_add_f32_e32 v30, v30, v17
	v_fma_f32 v29, v52, v18, -v29
	v_fma_f32 v17, v52, v20, -v33
	v_fmac_f32_e32 v21, v53, v20
	v_add_f32_e32 v33, v27, v19
	s_waitcnt lgkmcnt(0)
	v_mul_f32_e32 v20, v39, v23
	v_add_f32_e32 v34, v16, v17
	ds_read2_b64 v[16:19], v7 offset0:128 offset1:144
	v_add_f32_e32 v32, v32, v29
	v_mul_f32_e32 v27, v38, v23
	v_mul_f32_e32 v29, v39, v25
	v_fma_f32 v20, v38, v22, -v20
	v_add_f32_e32 v31, v31, v21
	v_mul_f32_e32 v21, v38, v25
	v_fmac_f32_e32 v27, v39, v22
	v_fma_f32 v29, v38, v24, -v29
	v_add_f32_e32 v2, v2, v20
	v_mul_f32_e32 v20, v55, v23
	v_fmac_f32_e32 v21, v39, v24
	v_add_f32_e32 v35, v28, v27
	v_add_f32_e32 v36, v26, v29
	v_mul_f32_e32 v23, v54, v23
	v_fma_f32 v20, v54, v22, -v20
	v_mul_f32_e32 v37, v55, v25
	ds_read_b128 v[26:29], v8 offset:1056
	v_add_f32_e32 v38, v30, v21
	v_fmac_f32_e32 v23, v55, v22
	v_mul_f32_e32 v25, v54, v25
	v_fma_f32 v21, v54, v24, -v37
	v_add_f32_e32 v37, v32, v20
	s_waitcnt lgkmcnt(1)
	v_mul_f32_e32 v20, v41, v17
	v_add_f32_e32 v39, v33, v23
	v_fmac_f32_e32 v25, v55, v24
	v_add_f32_e32 v24, v34, v21
	v_mul_f32_e32 v32, v41, v19
	v_fma_f32 v30, v40, v16, -v20
	ds_read2_b64 v[20:23], v7 offset0:160 offset1:176
	v_mul_f32_e32 v34, v40, v17
	v_add_f32_e32 v25, v31, v25
	v_fma_f32 v48, v40, v18, -v32
	v_mul_f32_e32 v40, v40, v19
	v_add_f32_e32 v2, v2, v30
	v_fmac_f32_e32 v34, v41, v16
	ds_read_b128 v[30:33], v8 offset:1072
	s_waitcnt lgkmcnt(2)
	v_mul_f32_e32 v49, v27, v17
	v_mul_f32_e32 v17, v26, v17
	v_fmac_f32_e32 v40, v41, v18
	v_mul_f32_e32 v41, v27, v19
	v_add_f32_e32 v34, v35, v34
	v_add_f32_e32 v35, v36, v48
	v_fma_f32 v36, v26, v16, -v49
	v_fmac_f32_e32 v17, v27, v16
	v_add_f32_e32 v38, v38, v40
	v_mul_f32_e32 v40, v26, v19
	v_fma_f32 v16, v26, v18, -v41
	v_add_f32_e32 v36, v37, v36
	v_add_f32_e32 v26, v39, v17
	s_waitcnt lgkmcnt(1)
	v_mul_f32_e32 v37, v43, v21
	v_fmac_f32_e32 v40, v27, v18
	v_add_f32_e32 v24, v24, v16
	ds_read2_b64 v[16:19], v7 offset0:192 offset1:208
	v_mul_f32_e32 v27, v42, v21
	v_fma_f32 v37, v42, v20, -v37
	v_mul_f32_e32 v39, v43, v23
	v_add_f32_e32 v40, v25, v40
	v_mul_f32_e32 v25, v42, v23
	v_fmac_f32_e32 v27, v43, v20
	v_add_f32_e32 v2, v2, v37
	v_fma_f32 v37, v42, v22, -v39
	v_fmac_f32_e32 v25, v43, v22
	v_add_f32_e32 v34, v34, v27
	v_mul_f32_e32 v27, v29, v21
	v_mul_f32_e32 v21, v28, v21
	v_add_f32_e32 v35, v35, v37
	v_mul_f32_e32 v37, v29, v23
	v_add_f32_e32 v38, v38, v25
	v_fma_f32 v27, v28, v20, -v27
	v_fmac_f32_e32 v21, v29, v20
	v_mul_f32_e32 v20, v28, v23
	v_fma_f32 v23, v28, v22, -v37
	s_waitcnt lgkmcnt(0)
	v_mul_f32_e32 v25, v45, v17
	v_add_f32_e32 v28, v36, v27
	v_add_f32_e32 v21, v26, v21
	v_fmac_f32_e32 v20, v29, v22
	v_add_f32_e32 v22, v24, v23
	v_fma_f32 v29, v44, v16, -v25
	ds_read2_b64 v[24:27], v7 offset0:224 offset1:240
	v_mul_f32_e32 v23, v44, v17
	v_mul_f32_e32 v37, v31, v17
	;; [unrolled: 1-line block ×4, first 2 shown]
	v_add_f32_e32 v2, v2, v29
	v_fmac_f32_e32 v23, v45, v16
	v_mul_f32_e32 v29, v44, v19
	v_fmac_f32_e32 v17, v31, v16
	v_fma_f32 v36, v44, v18, -v36
	v_add_f32_e32 v20, v40, v20
	v_add_f32_e32 v34, v34, v23
	v_fma_f32 v23, v30, v16, -v37
	v_mul_f32_e32 v16, v31, v19
	v_mul_f32_e32 v19, v30, v19
	v_fmac_f32_e32 v29, v45, v18
	v_add_f32_e32 v17, v21, v17
	v_add_f32_e32 v35, v35, v36
	v_fma_f32 v16, v30, v18, -v16
	v_fmac_f32_e32 v19, v31, v18
	s_waitcnt lgkmcnt(0)
	v_mul_f32_e32 v21, v47, v25
	v_mul_f32_e32 v18, v47, v27
	v_add_f32_e32 v28, v28, v23
	v_mul_f32_e32 v30, v46, v25
	v_mul_f32_e32 v31, v46, v27
	v_fma_f32 v21, v46, v24, -v21
	v_fma_f32 v18, v46, v26, -v18
	v_add_f32_e32 v36, v20, v19
	v_mul_f32_e32 v19, v32, v25
	v_add_f32_e32 v29, v38, v29
	v_add_f32_e32 v23, v2, v21
	;; [unrolled: 1-line block ×3, first 2 shown]
	v_mul_f32_e32 v2, v33, v25
	v_mul_f32_e32 v18, v33, v27
	;; [unrolled: 1-line block ×3, first 2 shown]
	v_add_f32_e32 v16, v22, v16
	v_fmac_f32_e32 v30, v47, v24
	v_fmac_f32_e32 v31, v47, v26
	v_fma_f32 v2, v32, v24, -v2
	v_fmac_f32_e32 v19, v33, v24
	v_fma_f32 v24, v32, v26, -v18
	v_fmac_f32_e32 v25, v33, v26
	v_add_f32_e32 v22, v34, v30
	v_add_f32_e32 v21, v29, v31
	;; [unrolled: 1-line block ×6, first 2 shown]
	s_barrier
	buffer_gl0_inv
	s_cbranch_vccz .LBB538_18
.LBB538_8:                              ; =>This Inner Loop Header: Depth=1
	s_mov_b32 s11, s8
	s_mov_b32 s9, 0
	s_and_saveexec_b32 s10, s0
	s_cbranch_execnz .LBB538_16
; %bb.9:                                ;   in Loop: Header=BB538_8 Depth=1
	s_or_b32 exec_lo, exec_lo, s10
	s_and_saveexec_b32 s10, s11
	s_xor_b32 s10, exec_lo, s10
	s_cbranch_execnz .LBB538_17
.LBB538_10:                             ;   in Loop: Header=BB538_8 Depth=1
	s_or_b32 exec_lo, exec_lo, s10
	v_mov_b32_e32 v24, 0
	s_and_saveexec_b32 s10, s9
	s_cbranch_execz .LBB538_12
.LBB538_11:                             ;   in Loop: Header=BB538_8 Depth=1
	v_lshlrev_b64 v[24:25], 3, v[4:5]
	v_add_co_u32 v24, vcc_lo, v14, v24
	v_add_co_ci_u32_e64 v25, null, v15, v25, vcc_lo
	flat_load_dwordx2 v[25:26], v[24:25]
	s_waitcnt vmcnt(0) lgkmcnt(0)
	v_xor_b32_e32 v24, 0x80000000, v26
	ds_write_b32 v10, v25
.LBB538_12:                             ;   in Loop: Header=BB538_8 Depth=1
	s_or_b32 exec_lo, exec_lo, s10
	v_add_nc_u32_e32 v2, s6, v6
	ds_write_b32 v10, v24 offset:4
	v_cmp_le_u64_e32 vcc_lo, s[16:17], v[2:3]
	s_or_b32 s9, vcc_lo, s1
	s_and_saveexec_b32 s10, s9
	s_xor_b32 s9, exec_lo, s10
; %bb.13:                               ;   in Loop: Header=BB538_8 Depth=1
	v_mov_b32_e32 v2, v3
	ds_write_b64 v11, v[2:3]
; %bb.14:                               ;   in Loop: Header=BB538_8 Depth=1
	s_andn2_saveexec_b32 s9, s9
	s_cbranch_execz .LBB538_7
; %bb.15:                               ;   in Loop: Header=BB538_8 Depth=1
	v_mad_u64_u32 v[24:25], null, s4, v2, 0
	v_mad_u64_u32 v[25:26], null, s5, v2, v[25:26]
	v_lshlrev_b64 v[24:25], 3, v[24:25]
	v_add_co_u32 v24, vcc_lo, v12, v24
	v_add_co_ci_u32_e64 v25, null, v13, v25, vcc_lo
	flat_load_dwordx2 v[24:25], v[24:25]
	s_waitcnt vmcnt(0) lgkmcnt(0)
	ds_write_b64 v11, v[24:25]
	s_branch .LBB538_7
.LBB538_16:                             ;   in Loop: Header=BB538_8 Depth=1
	v_add_nc_u32_e32 v2, s6, v9
	v_mov_b32_e32 v5, v3
	s_andn2_b32 s11, s8, exec_lo
	s_mov_b32 s9, exec_lo
	v_cmp_le_u64_e32 vcc_lo, s[16:17], v[2:3]
	v_mov_b32_e32 v4, v2
	s_and_b32 s12, vcc_lo, exec_lo
	s_or_b32 s11, s11, s12
	s_or_b32 exec_lo, exec_lo, s10
	s_and_saveexec_b32 s10, s11
	s_xor_b32 s10, exec_lo, s10
	s_cbranch_execz .LBB538_10
.LBB538_17:                             ;   in Loop: Header=BB538_8 Depth=1
	s_andn2_b32 s9, s9, exec_lo
	ds_write_b32 v10, v3
	s_or_b32 exec_lo, exec_lo, s10
	v_mov_b32_e32 v24, 0
	s_and_saveexec_b32 s10, s9
	s_cbranch_execnz .LBB538_11
	s_branch .LBB538_12
.LBB538_18:
	v_add_nc_u32_e32 v9, s29, v1
	s_lshl_b64 s[0:1], s[2:3], 3
	v_add_nc_u32_e32 v0, s28, v0
	v_cmp_neq_f32_e64 s2, s24, 0
	s_waitcnt lgkmcnt(0)
	s_add_u32 s3, s20, s0
	v_ashrrev_i32_e32 v3, 31, v9
	v_mul_lo_u32 v4, s23, v9
	v_mad_u64_u32 v[1:2], null, s22, v9, 0
	s_addc_u32 s4, s21, s1
	v_mul_lo_u32 v3, s22, v3
	s_xor_b32 s5, s27, -1
	v_cmp_le_i32_e32 vcc_lo, v9, v0
	v_cmp_gt_i32_e64 s0, s26, v0
	s_or_b32 s2, s2, s5
	v_cndmask_b32_e64 v8, 0, 1, s2
	s_and_b32 s5, vcc_lo, s0
	v_add3_u32 v2, v2, v3, v4
	v_lshlrev_b64 v[2:3], 3, v[1:2]
	v_ashrrev_i32_e32 v1, 31, v0
	v_add_co_u32 v6, s1, s3, v2
	v_add_co_ci_u32_e64 v7, null, s4, v3, s1
	s_and_saveexec_b32 s1, s5
	s_cbranch_execz .LBB538_22
; %bb.19:
	v_lshlrev_b64 v[4:5], 3, v[0:1]
	v_mul_f32_e32 v2, s19, v22
	v_mul_f32_e32 v3, s18, v22
	v_fma_f32 v2, v23, s18, -v2
	v_add_co_u32 v4, vcc_lo, v6, v4
	v_fmac_f32_e32 v3, s19, v23
	v_add_co_ci_u32_e64 v5, null, v7, v5, vcc_lo
	s_andn2_b32 vcc_lo, exec_lo, s2
	s_cbranch_vccnz .LBB538_21
; %bb.20:
	flat_load_dwordx2 v[10:11], v[4:5]
	s_waitcnt vmcnt(0) lgkmcnt(0)
	v_mul_f32_e32 v12, s25, v11
	v_mul_f32_e32 v11, s24, v11
	v_fma_f32 v12, v10, s24, -v12
	v_fmac_f32_e32 v11, s25, v10
	v_add_f32_e32 v2, v2, v12
	v_add_f32_e32 v3, v3, v11
.LBB538_21:
	flat_store_dwordx2 v[4:5], v[2:3]
.LBB538_22:
	s_or_b32 exec_lo, exec_lo, s1
	v_add_nc_u32_e32 v2, 16, v0
	v_cmp_le_i32_e32 vcc_lo, v9, v2
	v_cmp_gt_i32_e64 s1, s26, v2
	v_ashrrev_i32_e32 v3, 31, v2
	s_and_b32 s2, vcc_lo, s1
	s_and_saveexec_b32 s5, s2
	s_cbranch_execz .LBB538_26
; %bb.23:
	v_lshlrev_b64 v[10:11], 3, v[2:3]
	v_mul_f32_e32 v4, s19, v21
	v_mul_f32_e32 v5, s18, v21
	v_cmp_ne_u32_e32 vcc_lo, 1, v8
	v_fma_f32 v4, v20, s18, -v4
	v_add_co_u32 v6, s2, v6, v10
	v_fmac_f32_e32 v5, s19, v20
	v_add_co_ci_u32_e64 v7, null, v7, v11, s2
	s_cbranch_vccnz .LBB538_25
; %bb.24:
	flat_load_dwordx2 v[10:11], v[6:7]
	s_waitcnt vmcnt(0) lgkmcnt(0)
	v_mul_f32_e32 v12, s25, v11
	v_mul_f32_e32 v11, s24, v11
	v_fma_f32 v12, v10, s24, -v12
	v_fmac_f32_e32 v11, s25, v10
	v_add_f32_e32 v4, v4, v12
	v_add_f32_e32 v5, v5, v11
.LBB538_25:
	flat_store_dwordx2 v[6:7], v[4:5]
.LBB538_26:
	s_or_b32 exec_lo, exec_lo, s5
	v_add_nc_u32_e32 v9, 16, v9
	v_ashrrev_i32_e32 v6, 31, v9
	v_mul_lo_u32 v7, s23, v9
	v_mad_u64_u32 v[4:5], null, s22, v9, 0
	v_cmp_le_i32_e32 vcc_lo, v9, v0
	v_mul_lo_u32 v6, s22, v6
	s_and_b32 s0, vcc_lo, s0
	v_add3_u32 v5, v5, v6, v7
	v_lshlrev_b64 v[4:5], 3, v[4:5]
	v_add_co_u32 v6, s2, s3, v4
	v_add_co_ci_u32_e64 v7, null, s4, v5, s2
	s_and_saveexec_b32 s2, s0
	s_cbranch_execz .LBB538_30
; %bb.27:
	v_lshlrev_b64 v[0:1], 3, v[0:1]
	v_mul_f32_e32 v4, s19, v19
	v_mul_f32_e32 v5, s18, v19
	v_cmp_ne_u32_e32 vcc_lo, 1, v8
	v_fma_f32 v4, v18, s18, -v4
	v_add_co_u32 v0, s0, v6, v0
	v_fmac_f32_e32 v5, s19, v18
	v_add_co_ci_u32_e64 v1, null, v7, v1, s0
	s_cbranch_vccnz .LBB538_29
; %bb.28:
	flat_load_dwordx2 v[10:11], v[0:1]
	s_waitcnt vmcnt(0) lgkmcnt(0)
	v_mul_f32_e32 v12, s25, v11
	v_mul_f32_e32 v11, s24, v11
	v_fma_f32 v12, v10, s24, -v12
	v_fmac_f32_e32 v11, s25, v10
	v_add_f32_e32 v4, v4, v12
	v_add_f32_e32 v5, v5, v11
.LBB538_29:
	flat_store_dwordx2 v[0:1], v[4:5]
.LBB538_30:
	s_or_b32 exec_lo, exec_lo, s2
	v_cmp_le_i32_e32 vcc_lo, v9, v2
	s_and_b32 s0, vcc_lo, s1
	s_and_saveexec_b32 s1, s0
	s_cbranch_execz .LBB538_34
; %bb.31:
	v_lshlrev_b64 v[2:3], 3, v[2:3]
	v_mul_f32_e32 v0, s19, v17
	v_mul_f32_e32 v1, s18, v17
	v_cmp_ne_u32_e32 vcc_lo, 1, v8
	v_fma_f32 v0, v16, s18, -v0
	v_add_co_u32 v2, s0, v6, v2
	v_fmac_f32_e32 v1, s19, v16
	v_add_co_ci_u32_e64 v3, null, v7, v3, s0
	s_cbranch_vccnz .LBB538_33
; %bb.32:
	flat_load_dwordx2 v[4:5], v[2:3]
	s_waitcnt vmcnt(0) lgkmcnt(0)
	v_mul_f32_e32 v6, s25, v5
	v_mul_f32_e32 v5, s24, v5
	v_fma_f32 v6, v4, s24, -v6
	v_fmac_f32_e32 v5, s25, v4
	v_add_f32_e32 v0, v0, v6
	v_add_f32_e32 v1, v1, v5
.LBB538_33:
	flat_store_dwordx2 v[2:3], v[0:1]
.LBB538_34:
	s_endpgm
	.section	.rodata,"a",@progbits
	.p2align	6, 0x0
	.amdhsa_kernel _ZL29rocblas_internal_gemmt_kernelIlLi16ELi32ELi8ELc67ELc84ELc76ELb1ELb0E19rocblas_complex_numIfES1_PKPKS1_PKPS1_EviT_T9_T10_S9_lSB_S9_lSA_T11_S9_li
		.amdhsa_group_segment_fixed_size 4096
		.amdhsa_private_segment_fixed_size 0
		.amdhsa_kernarg_size 108
		.amdhsa_user_sgpr_count 6
		.amdhsa_user_sgpr_private_segment_buffer 1
		.amdhsa_user_sgpr_dispatch_ptr 0
		.amdhsa_user_sgpr_queue_ptr 0
		.amdhsa_user_sgpr_kernarg_segment_ptr 1
		.amdhsa_user_sgpr_dispatch_id 0
		.amdhsa_user_sgpr_flat_scratch_init 0
		.amdhsa_user_sgpr_private_segment_size 0
		.amdhsa_wavefront_size32 1
		.amdhsa_uses_dynamic_stack 0
		.amdhsa_system_sgpr_private_segment_wavefront_offset 0
		.amdhsa_system_sgpr_workgroup_id_x 1
		.amdhsa_system_sgpr_workgroup_id_y 1
		.amdhsa_system_sgpr_workgroup_id_z 1
		.amdhsa_system_sgpr_workgroup_info 0
		.amdhsa_system_vgpr_workitem_id 1
		.amdhsa_next_free_vgpr 61
		.amdhsa_next_free_sgpr 30
		.amdhsa_reserve_vcc 1
		.amdhsa_reserve_flat_scratch 0
		.amdhsa_float_round_mode_32 0
		.amdhsa_float_round_mode_16_64 0
		.amdhsa_float_denorm_mode_32 3
		.amdhsa_float_denorm_mode_16_64 3
		.amdhsa_dx10_clamp 1
		.amdhsa_ieee_mode 1
		.amdhsa_fp16_overflow 0
		.amdhsa_workgroup_processor_mode 1
		.amdhsa_memory_ordered 1
		.amdhsa_forward_progress 1
		.amdhsa_shared_vgpr_count 0
		.amdhsa_exception_fp_ieee_invalid_op 0
		.amdhsa_exception_fp_denorm_src 0
		.amdhsa_exception_fp_ieee_div_zero 0
		.amdhsa_exception_fp_ieee_overflow 0
		.amdhsa_exception_fp_ieee_underflow 0
		.amdhsa_exception_fp_ieee_inexact 0
		.amdhsa_exception_int_div_zero 0
	.end_amdhsa_kernel
	.section	.text._ZL29rocblas_internal_gemmt_kernelIlLi16ELi32ELi8ELc67ELc84ELc76ELb1ELb0E19rocblas_complex_numIfES1_PKPKS1_PKPS1_EviT_T9_T10_S9_lSB_S9_lSA_T11_S9_li,"axG",@progbits,_ZL29rocblas_internal_gemmt_kernelIlLi16ELi32ELi8ELc67ELc84ELc76ELb1ELb0E19rocblas_complex_numIfES1_PKPKS1_PKPS1_EviT_T9_T10_S9_lSB_S9_lSA_T11_S9_li,comdat
.Lfunc_end538:
	.size	_ZL29rocblas_internal_gemmt_kernelIlLi16ELi32ELi8ELc67ELc84ELc76ELb1ELb0E19rocblas_complex_numIfES1_PKPKS1_PKPS1_EviT_T9_T10_S9_lSB_S9_lSA_T11_S9_li, .Lfunc_end538-_ZL29rocblas_internal_gemmt_kernelIlLi16ELi32ELi8ELc67ELc84ELc76ELb1ELb0E19rocblas_complex_numIfES1_PKPKS1_PKPS1_EviT_T9_T10_S9_lSB_S9_lSA_T11_S9_li
                                        ; -- End function
	.set _ZL29rocblas_internal_gemmt_kernelIlLi16ELi32ELi8ELc67ELc84ELc76ELb1ELb0E19rocblas_complex_numIfES1_PKPKS1_PKPS1_EviT_T9_T10_S9_lSB_S9_lSA_T11_S9_li.num_vgpr, 61
	.set _ZL29rocblas_internal_gemmt_kernelIlLi16ELi32ELi8ELc67ELc84ELc76ELb1ELb0E19rocblas_complex_numIfES1_PKPKS1_PKPS1_EviT_T9_T10_S9_lSB_S9_lSA_T11_S9_li.num_agpr, 0
	.set _ZL29rocblas_internal_gemmt_kernelIlLi16ELi32ELi8ELc67ELc84ELc76ELb1ELb0E19rocblas_complex_numIfES1_PKPKS1_PKPS1_EviT_T9_T10_S9_lSB_S9_lSA_T11_S9_li.numbered_sgpr, 30
	.set _ZL29rocblas_internal_gemmt_kernelIlLi16ELi32ELi8ELc67ELc84ELc76ELb1ELb0E19rocblas_complex_numIfES1_PKPKS1_PKPS1_EviT_T9_T10_S9_lSB_S9_lSA_T11_S9_li.num_named_barrier, 0
	.set _ZL29rocblas_internal_gemmt_kernelIlLi16ELi32ELi8ELc67ELc84ELc76ELb1ELb0E19rocblas_complex_numIfES1_PKPKS1_PKPS1_EviT_T9_T10_S9_lSB_S9_lSA_T11_S9_li.private_seg_size, 0
	.set _ZL29rocblas_internal_gemmt_kernelIlLi16ELi32ELi8ELc67ELc84ELc76ELb1ELb0E19rocblas_complex_numIfES1_PKPKS1_PKPS1_EviT_T9_T10_S9_lSB_S9_lSA_T11_S9_li.uses_vcc, 1
	.set _ZL29rocblas_internal_gemmt_kernelIlLi16ELi32ELi8ELc67ELc84ELc76ELb1ELb0E19rocblas_complex_numIfES1_PKPKS1_PKPS1_EviT_T9_T10_S9_lSB_S9_lSA_T11_S9_li.uses_flat_scratch, 0
	.set _ZL29rocblas_internal_gemmt_kernelIlLi16ELi32ELi8ELc67ELc84ELc76ELb1ELb0E19rocblas_complex_numIfES1_PKPKS1_PKPS1_EviT_T9_T10_S9_lSB_S9_lSA_T11_S9_li.has_dyn_sized_stack, 0
	.set _ZL29rocblas_internal_gemmt_kernelIlLi16ELi32ELi8ELc67ELc84ELc76ELb1ELb0E19rocblas_complex_numIfES1_PKPKS1_PKPS1_EviT_T9_T10_S9_lSB_S9_lSA_T11_S9_li.has_recursion, 0
	.set _ZL29rocblas_internal_gemmt_kernelIlLi16ELi32ELi8ELc67ELc84ELc76ELb1ELb0E19rocblas_complex_numIfES1_PKPKS1_PKPS1_EviT_T9_T10_S9_lSB_S9_lSA_T11_S9_li.has_indirect_call, 0
	.section	.AMDGPU.csdata,"",@progbits
; Kernel info:
; codeLenInByte = 2660
; TotalNumSgprs: 32
; NumVgprs: 61
; ScratchSize: 0
; MemoryBound: 0
; FloatMode: 240
; IeeeMode: 1
; LDSByteSize: 4096 bytes/workgroup (compile time only)
; SGPRBlocks: 0
; VGPRBlocks: 7
; NumSGPRsForWavesPerEU: 32
; NumVGPRsForWavesPerEU: 61
; Occupancy: 16
; WaveLimiterHint : 1
; COMPUTE_PGM_RSRC2:SCRATCH_EN: 0
; COMPUTE_PGM_RSRC2:USER_SGPR: 6
; COMPUTE_PGM_RSRC2:TRAP_HANDLER: 0
; COMPUTE_PGM_RSRC2:TGID_X_EN: 1
; COMPUTE_PGM_RSRC2:TGID_Y_EN: 1
; COMPUTE_PGM_RSRC2:TGID_Z_EN: 1
; COMPUTE_PGM_RSRC2:TIDIG_COMP_CNT: 1
	.section	.text._ZL29rocblas_internal_gemmt_kernelIlLi16ELi32ELi8ELc67ELc67ELc76ELb1ELb1E19rocblas_complex_numIfES1_PKPKS1_PKPS1_EviT_T9_T10_S9_lSB_S9_lSA_T11_S9_li,"axG",@progbits,_ZL29rocblas_internal_gemmt_kernelIlLi16ELi32ELi8ELc67ELc67ELc76ELb1ELb1E19rocblas_complex_numIfES1_PKPKS1_PKPS1_EviT_T9_T10_S9_lSB_S9_lSA_T11_S9_li,comdat
	.globl	_ZL29rocblas_internal_gemmt_kernelIlLi16ELi32ELi8ELc67ELc67ELc76ELb1ELb1E19rocblas_complex_numIfES1_PKPKS1_PKPS1_EviT_T9_T10_S9_lSB_S9_lSA_T11_S9_li ; -- Begin function _ZL29rocblas_internal_gemmt_kernelIlLi16ELi32ELi8ELc67ELc67ELc76ELb1ELb1E19rocblas_complex_numIfES1_PKPKS1_PKPS1_EviT_T9_T10_S9_lSB_S9_lSA_T11_S9_li
	.p2align	8
	.type	_ZL29rocblas_internal_gemmt_kernelIlLi16ELi32ELi8ELc67ELc67ELc76ELb1ELb1E19rocblas_complex_numIfES1_PKPKS1_PKPS1_EviT_T9_T10_S9_lSB_S9_lSA_T11_S9_li,@function
_ZL29rocblas_internal_gemmt_kernelIlLi16ELi32ELi8ELc67ELc67ELc76ELb1ELb1E19rocblas_complex_numIfES1_PKPKS1_PKPS1_EviT_T9_T10_S9_lSB_S9_lSA_T11_S9_li: ; @_ZL29rocblas_internal_gemmt_kernelIlLi16ELi32ELi8ELc67ELc67ELc76ELb1ELb1E19rocblas_complex_numIfES1_PKPKS1_PKPS1_EviT_T9_T10_S9_lSB_S9_lSA_T11_S9_li
; %bb.0:
	s_clause 0x1
	s_load_dwordx2 s[24:25], s[4:5], 0x48
	s_load_dwordx4 s[16:19], s[4:5], 0x8
	s_waitcnt lgkmcnt(0)
	s_and_b32 s0, s25, 0x7fffffff
	v_cmp_eq_f32_e64 s1, s24, 1.0
	s_cmp_eq_u32 s0, 0
	s_mov_b32 s0, 0
	s_cselect_b32 s27, -1, 0
	s_and_b32 s1, s1, s27
	s_andn2_b32 vcc_lo, exec_lo, s1
	s_mov_b32 s1, -1
	s_cbranch_vccnz .LBB539_4
; %bb.1:
	s_cmp_lg_u64 s[16:17], 0
	s_cbranch_scc0 .LBB539_3
; %bb.2:
	v_cmp_neq_f32_e64 s0, s18, 0
	v_cmp_neq_f32_e64 s1, s19, 0
	s_or_b32 s0, s0, s1
.LBB539_3:
	s_mov_b32 s1, s0
.LBB539_4:
	s_and_b32 vcc_lo, exec_lo, s1
	s_cbranch_vccz .LBB539_34
; %bb.5:
	s_clause 0x1
	s_load_dwordx4 s[20:23], s[4:5], 0x50
	s_load_dword s26, s[4:5], 0x0
	s_mov_b32 s9, 0
	s_load_dwordx2 s[2:3], s[4:5], 0x60
	s_lshl_b64 s[0:1], s[8:9], 3
	v_cmp_eq_f32_e64 s10, s18, 0
	v_cmp_eq_f32_e64 s11, s19, 0
	v_mov_b32_e32 v23, 0
	v_mov_b32_e32 v22, 0
	;; [unrolled: 1-line block ×8, first 2 shown]
	s_waitcnt lgkmcnt(0)
	s_add_u32 s8, s20, s0
	s_addc_u32 s9, s21, s1
	s_lshl_b32 s28, s6, 5
	s_load_dwordx2 s[20:21], s[8:9], 0x0
	v_cmp_lt_i64_e64 s8, s[16:17], 1
	s_and_b32 s9, s10, s11
	s_lshl_b32 s29, s7, 5
	s_or_b32 s6, s9, s8
	s_and_b32 vcc_lo, exec_lo, s6
	s_cbranch_vccnz .LBB539_18
; %bb.6:
	s_clause 0x1
	s_load_dwordx8 s[8:15], s[4:5], 0x18
	s_load_dwordx4 s[4:7], s[4:5], 0x38
	v_lshl_add_u32 v2, v1, 4, v0
	v_and_b32_e32 v6, 7, v0
	v_lshlrev_b32_e32 v7, 3, v0
	v_lshl_add_u32 v8, v1, 6, 0x800
	v_mov_b32_e32 v3, 0
	v_and_b32_e32 v5, 31, v2
	v_lshrrev_b32_e32 v10, 3, v2
	v_lshlrev_b32_e32 v11, 3, v6
	v_lshrrev_b32_e32 v9, 5, v2
	v_mov_b32_e32 v17, 0
	v_or_b32_e32 v14, s28, v5
	v_add_nc_u32_e32 v4, s29, v10
	v_lshl_or_b32 v11, v10, 6, v11
	v_lshlrev_b32_e32 v2, 3, v5
	v_mov_b32_e32 v16, 0
	v_mov_b32_e32 v19, 0
	v_ashrrev_i32_e32 v5, 31, v4
	v_cmp_gt_i32_e32 vcc_lo, s26, v4
	s_waitcnt lgkmcnt(0)
	s_add_u32 s14, s14, s0
	s_addc_u32 s15, s15, s1
	s_lshl_b64 s[6:7], s[6:7], 3
	s_load_dwordx2 s[14:15], s[14:15], 0x0
	v_mul_lo_u32 v10, s11, v14
	v_mad_u64_u32 v[12:13], null, s10, v14, 0
	v_mov_b32_e32 v18, 0
	v_mov_b32_e32 v21, 0
	;; [unrolled: 1-line block ×4, first 2 shown]
	v_add_nc_u32_e32 v11, 0x800, v11
	v_mov_b32_e32 v23, 0
	s_waitcnt lgkmcnt(0)
	s_add_u32 s14, s14, s6
	s_addc_u32 s15, s15, s7
	s_add_u32 s0, s8, s0
	s_addc_u32 s1, s9, s1
	s_lshl_b64 s[6:7], s[12:13], 3
	s_load_dwordx2 s[0:1], s[0:1], 0x0
	v_cmp_le_i32_e64 s8, s26, v14
	s_waitcnt lgkmcnt(0)
	s_add_u32 s6, s0, s6
	s_addc_u32 s7, s1, s7
	s_ashr_i32 s1, s28, 31
	v_cmp_gt_i32_e64 s0, s26, v14
	s_mul_i32 s1, s10, s1
	v_lshlrev_b64 v[14:15], 3, v[4:5]
	v_add3_u32 v13, v13, s1, v10
	v_lshl_or_b32 v10, v9, 8, v2
	v_lshlrev_b64 v[4:5], 3, v[12:13]
	v_add_co_u32 v12, s1, s14, v14
	v_add_co_ci_u32_e64 v13, null, s15, v15, s1
	v_add_co_u32 v14, s1, s6, v4
	v_add_co_ci_u32_e64 v15, null, s7, v5, s1
	s_mov_b64 s[6:7], 0
	s_xor_b32 s1, vcc_lo, -1
                                        ; implicit-def: $vgpr4_vgpr5
	s_branch .LBB539_8
.LBB539_7:                              ;   in Loop: Header=BB539_8 Depth=1
	s_or_b32 exec_lo, exec_lo, s9
	ds_write_b32 v11, v24 offset:4
	s_waitcnt lgkmcnt(0)
	s_barrier
	buffer_gl0_inv
	ds_read_b128 v[24:27], v8
	ds_read2_b64 v[28:31], v7 offset1:16
	ds_read_b128 v[32:35], v8 offset:1024
	ds_read_b128 v[36:39], v8 offset:16
	;; [unrolled: 1-line block ×4, first 2 shown]
	ds_read2_b64 v[48:51], v7 offset0:32 offset1:48
	ds_read_b128 v[52:55], v8 offset:1040
	s_add_u32 s6, s6, 8
	s_addc_u32 s7, s7, 0
	v_cmp_gt_i64_e64 s9, s[16:17], s[6:7]
	s_and_b32 vcc_lo, exec_lo, s9
	s_waitcnt lgkmcnt(6)
	v_mul_f32_e32 v2, v25, v29
	v_mul_f32_e32 v56, v24, v29
	;; [unrolled: 1-line block ×4, first 2 shown]
	s_waitcnt lgkmcnt(5)
	v_mul_f32_e32 v59, v33, v29
	v_mul_f32_e32 v29, v32, v29
	;; [unrolled: 1-line block ×3, first 2 shown]
	v_fma_f32 v2, v24, v28, -v2
	v_fmac_f32_e32 v56, v25, v28
	v_fma_f32 v24, v24, v30, -v57
	v_fmac_f32_e32 v58, v25, v30
	;; [unrolled: 2-line block ×3, first 2 shown]
	v_mul_f32_e32 v31, v32, v31
	v_fma_f32 v28, v32, v30, -v60
	v_add_f32_e32 v2, v23, v2
	v_add_f32_e32 v23, v20, v24
	v_add_f32_e32 v24, v21, v58
	v_add_f32_e32 v25, v18, v25
	v_add_f32_e32 v29, v19, v29
	s_waitcnt lgkmcnt(1)
	v_mul_f32_e32 v32, v27, v49
	ds_read2_b64 v[18:21], v7 offset0:64 offset1:80
	v_fmac_f32_e32 v31, v33, v30
	v_add_f32_e32 v16, v16, v28
	v_mul_f32_e32 v28, v26, v49
	v_fma_f32 v30, v26, v48, -v32
	v_mul_f32_e32 v32, v27, v51
	v_add_f32_e32 v22, v22, v56
	v_add_f32_e32 v17, v17, v31
	v_fmac_f32_e32 v28, v27, v48
	v_mul_f32_e32 v31, v26, v51
	v_add_f32_e32 v2, v2, v30
	v_fma_f32 v26, v26, v50, -v32
	v_mul_f32_e32 v30, v35, v49
	v_add_f32_e32 v28, v22, v28
	v_fmac_f32_e32 v31, v27, v50
	v_mul_f32_e32 v22, v34, v49
	v_add_f32_e32 v26, v23, v26
	v_fma_f32 v23, v34, v48, -v30
	v_mul_f32_e32 v27, v35, v51
	v_add_f32_e32 v30, v24, v31
	v_fmac_f32_e32 v22, v35, v48
	v_mul_f32_e32 v31, v34, v51
	v_add_f32_e32 v32, v25, v23
	v_fma_f32 v23, v34, v50, -v27
	s_waitcnt lgkmcnt(0)
	v_mul_f32_e32 v24, v37, v19
	v_add_f32_e32 v27, v29, v22
	v_fmac_f32_e32 v31, v35, v50
	v_mul_f32_e32 v29, v36, v19
	v_add_f32_e32 v16, v16, v23
	v_fma_f32 v33, v36, v18, -v24
	v_mul_f32_e32 v34, v37, v21
	ds_read2_b64 v[22:25], v7 offset0:96 offset1:112
	v_fmac_f32_e32 v29, v37, v18
	v_add_f32_e32 v31, v17, v31
	v_add_f32_e32 v2, v2, v33
	v_mul_f32_e32 v17, v36, v21
	v_fma_f32 v33, v36, v20, -v34
	v_add_f32_e32 v28, v28, v29
	v_mul_f32_e32 v29, v53, v19
	v_mul_f32_e32 v19, v52, v19
	v_fmac_f32_e32 v17, v37, v20
	v_add_f32_e32 v26, v26, v33
	v_mul_f32_e32 v33, v53, v21
	v_mul_f32_e32 v21, v52, v21
	v_fmac_f32_e32 v19, v53, v18
	v_add_f32_e32 v30, v30, v17
	v_fma_f32 v29, v52, v18, -v29
	v_fma_f32 v17, v52, v20, -v33
	v_fmac_f32_e32 v21, v53, v20
	v_add_f32_e32 v33, v27, v19
	s_waitcnt lgkmcnt(0)
	v_mul_f32_e32 v20, v39, v23
	v_add_f32_e32 v34, v16, v17
	ds_read2_b64 v[16:19], v7 offset0:128 offset1:144
	v_add_f32_e32 v32, v32, v29
	v_mul_f32_e32 v27, v38, v23
	v_mul_f32_e32 v29, v39, v25
	v_fma_f32 v20, v38, v22, -v20
	v_add_f32_e32 v31, v31, v21
	v_mul_f32_e32 v21, v38, v25
	v_fmac_f32_e32 v27, v39, v22
	v_fma_f32 v29, v38, v24, -v29
	v_add_f32_e32 v2, v2, v20
	v_mul_f32_e32 v20, v55, v23
	v_fmac_f32_e32 v21, v39, v24
	v_add_f32_e32 v35, v28, v27
	v_add_f32_e32 v36, v26, v29
	v_mul_f32_e32 v23, v54, v23
	v_fma_f32 v20, v54, v22, -v20
	v_mul_f32_e32 v37, v55, v25
	ds_read_b128 v[26:29], v8 offset:1056
	v_add_f32_e32 v38, v30, v21
	v_fmac_f32_e32 v23, v55, v22
	v_mul_f32_e32 v25, v54, v25
	v_fma_f32 v21, v54, v24, -v37
	v_add_f32_e32 v37, v32, v20
	s_waitcnt lgkmcnt(1)
	v_mul_f32_e32 v20, v41, v17
	v_add_f32_e32 v39, v33, v23
	v_fmac_f32_e32 v25, v55, v24
	v_add_f32_e32 v24, v34, v21
	v_mul_f32_e32 v32, v41, v19
	v_fma_f32 v30, v40, v16, -v20
	ds_read2_b64 v[20:23], v7 offset0:160 offset1:176
	v_mul_f32_e32 v34, v40, v17
	v_add_f32_e32 v25, v31, v25
	v_fma_f32 v48, v40, v18, -v32
	v_mul_f32_e32 v40, v40, v19
	v_add_f32_e32 v2, v2, v30
	v_fmac_f32_e32 v34, v41, v16
	ds_read_b128 v[30:33], v8 offset:1072
	s_waitcnt lgkmcnt(2)
	v_mul_f32_e32 v49, v27, v17
	v_mul_f32_e32 v17, v26, v17
	v_fmac_f32_e32 v40, v41, v18
	v_mul_f32_e32 v41, v27, v19
	v_add_f32_e32 v34, v35, v34
	v_add_f32_e32 v35, v36, v48
	v_fma_f32 v36, v26, v16, -v49
	v_fmac_f32_e32 v17, v27, v16
	v_add_f32_e32 v38, v38, v40
	v_mul_f32_e32 v40, v26, v19
	v_fma_f32 v16, v26, v18, -v41
	v_add_f32_e32 v36, v37, v36
	v_add_f32_e32 v26, v39, v17
	s_waitcnt lgkmcnt(1)
	v_mul_f32_e32 v37, v43, v21
	v_fmac_f32_e32 v40, v27, v18
	v_add_f32_e32 v24, v24, v16
	ds_read2_b64 v[16:19], v7 offset0:192 offset1:208
	v_mul_f32_e32 v27, v42, v21
	v_fma_f32 v37, v42, v20, -v37
	v_mul_f32_e32 v39, v43, v23
	v_add_f32_e32 v40, v25, v40
	v_mul_f32_e32 v25, v42, v23
	v_fmac_f32_e32 v27, v43, v20
	v_add_f32_e32 v2, v2, v37
	v_fma_f32 v37, v42, v22, -v39
	v_fmac_f32_e32 v25, v43, v22
	v_add_f32_e32 v34, v34, v27
	v_mul_f32_e32 v27, v29, v21
	v_mul_f32_e32 v21, v28, v21
	v_add_f32_e32 v35, v35, v37
	v_mul_f32_e32 v37, v29, v23
	v_add_f32_e32 v38, v38, v25
	v_fma_f32 v27, v28, v20, -v27
	v_fmac_f32_e32 v21, v29, v20
	v_mul_f32_e32 v20, v28, v23
	v_fma_f32 v23, v28, v22, -v37
	s_waitcnt lgkmcnt(0)
	v_mul_f32_e32 v25, v45, v17
	v_add_f32_e32 v28, v36, v27
	v_add_f32_e32 v21, v26, v21
	v_fmac_f32_e32 v20, v29, v22
	v_add_f32_e32 v22, v24, v23
	v_fma_f32 v29, v44, v16, -v25
	ds_read2_b64 v[24:27], v7 offset0:224 offset1:240
	v_mul_f32_e32 v23, v44, v17
	v_mul_f32_e32 v37, v31, v17
	;; [unrolled: 1-line block ×4, first 2 shown]
	v_add_f32_e32 v2, v2, v29
	v_fmac_f32_e32 v23, v45, v16
	v_mul_f32_e32 v29, v44, v19
	v_fmac_f32_e32 v17, v31, v16
	v_fma_f32 v36, v44, v18, -v36
	v_add_f32_e32 v20, v40, v20
	v_add_f32_e32 v34, v34, v23
	v_fma_f32 v23, v30, v16, -v37
	v_mul_f32_e32 v16, v31, v19
	v_mul_f32_e32 v19, v30, v19
	v_fmac_f32_e32 v29, v45, v18
	v_add_f32_e32 v17, v21, v17
	v_add_f32_e32 v35, v35, v36
	v_fma_f32 v16, v30, v18, -v16
	v_fmac_f32_e32 v19, v31, v18
	s_waitcnt lgkmcnt(0)
	v_mul_f32_e32 v21, v47, v25
	v_mul_f32_e32 v18, v47, v27
	v_add_f32_e32 v28, v28, v23
	v_mul_f32_e32 v30, v46, v25
	v_mul_f32_e32 v31, v46, v27
	v_fma_f32 v21, v46, v24, -v21
	v_fma_f32 v18, v46, v26, -v18
	v_add_f32_e32 v36, v20, v19
	v_mul_f32_e32 v19, v32, v25
	v_add_f32_e32 v29, v38, v29
	v_add_f32_e32 v23, v2, v21
	;; [unrolled: 1-line block ×3, first 2 shown]
	v_mul_f32_e32 v2, v33, v25
	v_mul_f32_e32 v18, v33, v27
	;; [unrolled: 1-line block ×3, first 2 shown]
	v_add_f32_e32 v16, v22, v16
	v_fmac_f32_e32 v30, v47, v24
	v_fmac_f32_e32 v31, v47, v26
	v_fma_f32 v2, v32, v24, -v2
	v_fmac_f32_e32 v19, v33, v24
	v_fma_f32 v24, v32, v26, -v18
	v_fmac_f32_e32 v25, v33, v26
	v_add_f32_e32 v22, v34, v30
	v_add_f32_e32 v21, v29, v31
	;; [unrolled: 1-line block ×6, first 2 shown]
	s_barrier
	buffer_gl0_inv
	s_cbranch_vccz .LBB539_18
.LBB539_8:                              ; =>This Inner Loop Header: Depth=1
	s_mov_b32 s9, 0
	s_mov_b32 s11, s8
	s_and_saveexec_b32 s10, s0
	s_cbranch_execnz .LBB539_16
; %bb.9:                                ;   in Loop: Header=BB539_8 Depth=1
	s_or_b32 exec_lo, exec_lo, s10
	s_and_saveexec_b32 s10, s11
	s_xor_b32 s10, exec_lo, s10
	s_cbranch_execnz .LBB539_17
.LBB539_10:                             ;   in Loop: Header=BB539_8 Depth=1
	s_or_b32 exec_lo, exec_lo, s10
	v_mov_b32_e32 v24, 0
	s_and_saveexec_b32 s10, s9
	s_cbranch_execz .LBB539_12
.LBB539_11:                             ;   in Loop: Header=BB539_8 Depth=1
	v_lshlrev_b64 v[24:25], 3, v[4:5]
	v_add_co_u32 v24, vcc_lo, v14, v24
	v_add_co_ci_u32_e64 v25, null, v15, v25, vcc_lo
	flat_load_dwordx2 v[25:26], v[24:25]
	s_waitcnt vmcnt(0) lgkmcnt(0)
	v_xor_b32_e32 v24, 0x80000000, v26
	ds_write_b32 v10, v25
.LBB539_12:                             ;   in Loop: Header=BB539_8 Depth=1
	s_or_b32 exec_lo, exec_lo, s10
	v_add_nc_u32_e32 v2, s6, v6
	ds_write_b32 v10, v24 offset:4
	v_cmp_le_u64_e32 vcc_lo, s[16:17], v[2:3]
	s_or_b32 s9, vcc_lo, s1
	s_and_saveexec_b32 s10, s9
	s_xor_b32 s9, exec_lo, s10
; %bb.13:                               ;   in Loop: Header=BB539_8 Depth=1
	ds_write_b32 v11, v3
; %bb.14:                               ;   in Loop: Header=BB539_8 Depth=1
	s_or_saveexec_b32 s9, s9
	v_mov_b32_e32 v24, 0
	s_xor_b32 exec_lo, exec_lo, s9
	s_cbranch_execz .LBB539_7
; %bb.15:                               ;   in Loop: Header=BB539_8 Depth=1
	v_mad_u64_u32 v[24:25], null, s4, v2, 0
	v_mad_u64_u32 v[25:26], null, s5, v2, v[25:26]
	v_lshlrev_b64 v[24:25], 3, v[24:25]
	v_add_co_u32 v24, vcc_lo, v12, v24
	v_add_co_ci_u32_e64 v25, null, v13, v25, vcc_lo
	flat_load_dwordx2 v[25:26], v[24:25]
	s_waitcnt vmcnt(0) lgkmcnt(0)
	v_xor_b32_e32 v24, 0x80000000, v26
	ds_write_b32 v11, v25
	s_branch .LBB539_7
.LBB539_16:                             ;   in Loop: Header=BB539_8 Depth=1
	v_add_nc_u32_e32 v2, s6, v9
	v_mov_b32_e32 v5, v3
	s_andn2_b32 s11, s8, exec_lo
	s_mov_b32 s9, exec_lo
	v_cmp_le_u64_e32 vcc_lo, s[16:17], v[2:3]
	v_mov_b32_e32 v4, v2
	s_and_b32 s12, vcc_lo, exec_lo
	s_or_b32 s11, s11, s12
	s_or_b32 exec_lo, exec_lo, s10
	s_and_saveexec_b32 s10, s11
	s_xor_b32 s10, exec_lo, s10
	s_cbranch_execz .LBB539_10
.LBB539_17:                             ;   in Loop: Header=BB539_8 Depth=1
	s_andn2_b32 s9, s9, exec_lo
	ds_write_b32 v10, v3
	s_or_b32 exec_lo, exec_lo, s10
	v_mov_b32_e32 v24, 0
	s_and_saveexec_b32 s10, s9
	s_cbranch_execnz .LBB539_11
	s_branch .LBB539_12
.LBB539_18:
	v_add_nc_u32_e32 v9, s29, v1
	s_lshl_b64 s[0:1], s[2:3], 3
	v_add_nc_u32_e32 v0, s28, v0
	v_cmp_neq_f32_e64 s2, s24, 0
	s_waitcnt lgkmcnt(0)
	s_add_u32 s3, s20, s0
	v_ashrrev_i32_e32 v3, 31, v9
	v_mul_lo_u32 v4, s23, v9
	v_mad_u64_u32 v[1:2], null, s22, v9, 0
	s_addc_u32 s4, s21, s1
	v_mul_lo_u32 v3, s22, v3
	s_xor_b32 s5, s27, -1
	v_cmp_le_i32_e32 vcc_lo, v9, v0
	v_cmp_gt_i32_e64 s0, s26, v0
	s_or_b32 s2, s2, s5
	v_cndmask_b32_e64 v8, 0, 1, s2
	s_and_b32 s5, vcc_lo, s0
	v_add3_u32 v2, v2, v3, v4
	v_lshlrev_b64 v[2:3], 3, v[1:2]
	v_ashrrev_i32_e32 v1, 31, v0
	v_add_co_u32 v6, s1, s3, v2
	v_add_co_ci_u32_e64 v7, null, s4, v3, s1
	s_and_saveexec_b32 s1, s5
	s_cbranch_execz .LBB539_22
; %bb.19:
	v_lshlrev_b64 v[4:5], 3, v[0:1]
	v_mul_f32_e32 v2, s19, v22
	v_mul_f32_e32 v3, s18, v22
	v_fma_f32 v2, v23, s18, -v2
	v_add_co_u32 v4, vcc_lo, v6, v4
	v_fmac_f32_e32 v3, s19, v23
	v_add_co_ci_u32_e64 v5, null, v7, v5, vcc_lo
	s_andn2_b32 vcc_lo, exec_lo, s2
	s_cbranch_vccnz .LBB539_21
; %bb.20:
	flat_load_dwordx2 v[10:11], v[4:5]
	s_waitcnt vmcnt(0) lgkmcnt(0)
	v_mul_f32_e32 v12, s25, v11
	v_mul_f32_e32 v11, s24, v11
	v_fma_f32 v12, v10, s24, -v12
	v_fmac_f32_e32 v11, s25, v10
	v_add_f32_e32 v2, v2, v12
	v_add_f32_e32 v3, v3, v11
.LBB539_21:
	flat_store_dwordx2 v[4:5], v[2:3]
.LBB539_22:
	s_or_b32 exec_lo, exec_lo, s1
	v_add_nc_u32_e32 v2, 16, v0
	v_cmp_le_i32_e32 vcc_lo, v9, v2
	v_cmp_gt_i32_e64 s1, s26, v2
	v_ashrrev_i32_e32 v3, 31, v2
	s_and_b32 s2, vcc_lo, s1
	s_and_saveexec_b32 s5, s2
	s_cbranch_execz .LBB539_26
; %bb.23:
	v_lshlrev_b64 v[10:11], 3, v[2:3]
	v_mul_f32_e32 v4, s19, v21
	v_mul_f32_e32 v5, s18, v21
	v_cmp_ne_u32_e32 vcc_lo, 1, v8
	v_fma_f32 v4, v20, s18, -v4
	v_add_co_u32 v6, s2, v6, v10
	v_fmac_f32_e32 v5, s19, v20
	v_add_co_ci_u32_e64 v7, null, v7, v11, s2
	s_cbranch_vccnz .LBB539_25
; %bb.24:
	flat_load_dwordx2 v[10:11], v[6:7]
	s_waitcnt vmcnt(0) lgkmcnt(0)
	v_mul_f32_e32 v12, s25, v11
	v_mul_f32_e32 v11, s24, v11
	v_fma_f32 v12, v10, s24, -v12
	v_fmac_f32_e32 v11, s25, v10
	v_add_f32_e32 v4, v4, v12
	v_add_f32_e32 v5, v5, v11
.LBB539_25:
	flat_store_dwordx2 v[6:7], v[4:5]
.LBB539_26:
	s_or_b32 exec_lo, exec_lo, s5
	v_add_nc_u32_e32 v9, 16, v9
	v_ashrrev_i32_e32 v6, 31, v9
	v_mul_lo_u32 v7, s23, v9
	v_mad_u64_u32 v[4:5], null, s22, v9, 0
	v_cmp_le_i32_e32 vcc_lo, v9, v0
	v_mul_lo_u32 v6, s22, v6
	s_and_b32 s0, vcc_lo, s0
	v_add3_u32 v5, v5, v6, v7
	v_lshlrev_b64 v[4:5], 3, v[4:5]
	v_add_co_u32 v6, s2, s3, v4
	v_add_co_ci_u32_e64 v7, null, s4, v5, s2
	s_and_saveexec_b32 s2, s0
	s_cbranch_execz .LBB539_30
; %bb.27:
	v_lshlrev_b64 v[0:1], 3, v[0:1]
	v_mul_f32_e32 v4, s19, v19
	v_mul_f32_e32 v5, s18, v19
	v_cmp_ne_u32_e32 vcc_lo, 1, v8
	v_fma_f32 v4, v18, s18, -v4
	v_add_co_u32 v0, s0, v6, v0
	v_fmac_f32_e32 v5, s19, v18
	v_add_co_ci_u32_e64 v1, null, v7, v1, s0
	s_cbranch_vccnz .LBB539_29
; %bb.28:
	flat_load_dwordx2 v[10:11], v[0:1]
	s_waitcnt vmcnt(0) lgkmcnt(0)
	v_mul_f32_e32 v12, s25, v11
	v_mul_f32_e32 v11, s24, v11
	v_fma_f32 v12, v10, s24, -v12
	v_fmac_f32_e32 v11, s25, v10
	v_add_f32_e32 v4, v4, v12
	v_add_f32_e32 v5, v5, v11
.LBB539_29:
	flat_store_dwordx2 v[0:1], v[4:5]
.LBB539_30:
	s_or_b32 exec_lo, exec_lo, s2
	v_cmp_le_i32_e32 vcc_lo, v9, v2
	s_and_b32 s0, vcc_lo, s1
	s_and_saveexec_b32 s1, s0
	s_cbranch_execz .LBB539_34
; %bb.31:
	v_lshlrev_b64 v[2:3], 3, v[2:3]
	v_mul_f32_e32 v0, s19, v17
	v_mul_f32_e32 v1, s18, v17
	v_cmp_ne_u32_e32 vcc_lo, 1, v8
	v_fma_f32 v0, v16, s18, -v0
	v_add_co_u32 v2, s0, v6, v2
	v_fmac_f32_e32 v1, s19, v16
	v_add_co_ci_u32_e64 v3, null, v7, v3, s0
	s_cbranch_vccnz .LBB539_33
; %bb.32:
	flat_load_dwordx2 v[4:5], v[2:3]
	s_waitcnt vmcnt(0) lgkmcnt(0)
	v_mul_f32_e32 v6, s25, v5
	v_mul_f32_e32 v5, s24, v5
	v_fma_f32 v6, v4, s24, -v6
	v_fmac_f32_e32 v5, s25, v4
	v_add_f32_e32 v0, v0, v6
	v_add_f32_e32 v1, v1, v5
.LBB539_33:
	flat_store_dwordx2 v[2:3], v[0:1]
.LBB539_34:
	s_endpgm
	.section	.rodata,"a",@progbits
	.p2align	6, 0x0
	.amdhsa_kernel _ZL29rocblas_internal_gemmt_kernelIlLi16ELi32ELi8ELc67ELc67ELc76ELb1ELb1E19rocblas_complex_numIfES1_PKPKS1_PKPS1_EviT_T9_T10_S9_lSB_S9_lSA_T11_S9_li
		.amdhsa_group_segment_fixed_size 4096
		.amdhsa_private_segment_fixed_size 0
		.amdhsa_kernarg_size 108
		.amdhsa_user_sgpr_count 6
		.amdhsa_user_sgpr_private_segment_buffer 1
		.amdhsa_user_sgpr_dispatch_ptr 0
		.amdhsa_user_sgpr_queue_ptr 0
		.amdhsa_user_sgpr_kernarg_segment_ptr 1
		.amdhsa_user_sgpr_dispatch_id 0
		.amdhsa_user_sgpr_flat_scratch_init 0
		.amdhsa_user_sgpr_private_segment_size 0
		.amdhsa_wavefront_size32 1
		.amdhsa_uses_dynamic_stack 0
		.amdhsa_system_sgpr_private_segment_wavefront_offset 0
		.amdhsa_system_sgpr_workgroup_id_x 1
		.amdhsa_system_sgpr_workgroup_id_y 1
		.amdhsa_system_sgpr_workgroup_id_z 1
		.amdhsa_system_sgpr_workgroup_info 0
		.amdhsa_system_vgpr_workitem_id 1
		.amdhsa_next_free_vgpr 61
		.amdhsa_next_free_sgpr 30
		.amdhsa_reserve_vcc 1
		.amdhsa_reserve_flat_scratch 0
		.amdhsa_float_round_mode_32 0
		.amdhsa_float_round_mode_16_64 0
		.amdhsa_float_denorm_mode_32 3
		.amdhsa_float_denorm_mode_16_64 3
		.amdhsa_dx10_clamp 1
		.amdhsa_ieee_mode 1
		.amdhsa_fp16_overflow 0
		.amdhsa_workgroup_processor_mode 1
		.amdhsa_memory_ordered 1
		.amdhsa_forward_progress 1
		.amdhsa_shared_vgpr_count 0
		.amdhsa_exception_fp_ieee_invalid_op 0
		.amdhsa_exception_fp_denorm_src 0
		.amdhsa_exception_fp_ieee_div_zero 0
		.amdhsa_exception_fp_ieee_overflow 0
		.amdhsa_exception_fp_ieee_underflow 0
		.amdhsa_exception_fp_ieee_inexact 0
		.amdhsa_exception_int_div_zero 0
	.end_amdhsa_kernel
	.section	.text._ZL29rocblas_internal_gemmt_kernelIlLi16ELi32ELi8ELc67ELc67ELc76ELb1ELb1E19rocblas_complex_numIfES1_PKPKS1_PKPS1_EviT_T9_T10_S9_lSB_S9_lSA_T11_S9_li,"axG",@progbits,_ZL29rocblas_internal_gemmt_kernelIlLi16ELi32ELi8ELc67ELc67ELc76ELb1ELb1E19rocblas_complex_numIfES1_PKPKS1_PKPS1_EviT_T9_T10_S9_lSB_S9_lSA_T11_S9_li,comdat
.Lfunc_end539:
	.size	_ZL29rocblas_internal_gemmt_kernelIlLi16ELi32ELi8ELc67ELc67ELc76ELb1ELb1E19rocblas_complex_numIfES1_PKPKS1_PKPS1_EviT_T9_T10_S9_lSB_S9_lSA_T11_S9_li, .Lfunc_end539-_ZL29rocblas_internal_gemmt_kernelIlLi16ELi32ELi8ELc67ELc67ELc76ELb1ELb1E19rocblas_complex_numIfES1_PKPKS1_PKPS1_EviT_T9_T10_S9_lSB_S9_lSA_T11_S9_li
                                        ; -- End function
	.set _ZL29rocblas_internal_gemmt_kernelIlLi16ELi32ELi8ELc67ELc67ELc76ELb1ELb1E19rocblas_complex_numIfES1_PKPKS1_PKPS1_EviT_T9_T10_S9_lSB_S9_lSA_T11_S9_li.num_vgpr, 61
	.set _ZL29rocblas_internal_gemmt_kernelIlLi16ELi32ELi8ELc67ELc67ELc76ELb1ELb1E19rocblas_complex_numIfES1_PKPKS1_PKPS1_EviT_T9_T10_S9_lSB_S9_lSA_T11_S9_li.num_agpr, 0
	.set _ZL29rocblas_internal_gemmt_kernelIlLi16ELi32ELi8ELc67ELc67ELc76ELb1ELb1E19rocblas_complex_numIfES1_PKPKS1_PKPS1_EviT_T9_T10_S9_lSB_S9_lSA_T11_S9_li.numbered_sgpr, 30
	.set _ZL29rocblas_internal_gemmt_kernelIlLi16ELi32ELi8ELc67ELc67ELc76ELb1ELb1E19rocblas_complex_numIfES1_PKPKS1_PKPS1_EviT_T9_T10_S9_lSB_S9_lSA_T11_S9_li.num_named_barrier, 0
	.set _ZL29rocblas_internal_gemmt_kernelIlLi16ELi32ELi8ELc67ELc67ELc76ELb1ELb1E19rocblas_complex_numIfES1_PKPKS1_PKPS1_EviT_T9_T10_S9_lSB_S9_lSA_T11_S9_li.private_seg_size, 0
	.set _ZL29rocblas_internal_gemmt_kernelIlLi16ELi32ELi8ELc67ELc67ELc76ELb1ELb1E19rocblas_complex_numIfES1_PKPKS1_PKPS1_EviT_T9_T10_S9_lSB_S9_lSA_T11_S9_li.uses_vcc, 1
	.set _ZL29rocblas_internal_gemmt_kernelIlLi16ELi32ELi8ELc67ELc67ELc76ELb1ELb1E19rocblas_complex_numIfES1_PKPKS1_PKPS1_EviT_T9_T10_S9_lSB_S9_lSA_T11_S9_li.uses_flat_scratch, 0
	.set _ZL29rocblas_internal_gemmt_kernelIlLi16ELi32ELi8ELc67ELc67ELc76ELb1ELb1E19rocblas_complex_numIfES1_PKPKS1_PKPS1_EviT_T9_T10_S9_lSB_S9_lSA_T11_S9_li.has_dyn_sized_stack, 0
	.set _ZL29rocblas_internal_gemmt_kernelIlLi16ELi32ELi8ELc67ELc67ELc76ELb1ELb1E19rocblas_complex_numIfES1_PKPKS1_PKPS1_EviT_T9_T10_S9_lSB_S9_lSA_T11_S9_li.has_recursion, 0
	.set _ZL29rocblas_internal_gemmt_kernelIlLi16ELi32ELi8ELc67ELc67ELc76ELb1ELb1E19rocblas_complex_numIfES1_PKPKS1_PKPS1_EviT_T9_T10_S9_lSB_S9_lSA_T11_S9_li.has_indirect_call, 0
	.section	.AMDGPU.csdata,"",@progbits
; Kernel info:
; codeLenInByte = 2680
; TotalNumSgprs: 32
; NumVgprs: 61
; ScratchSize: 0
; MemoryBound: 0
; FloatMode: 240
; IeeeMode: 1
; LDSByteSize: 4096 bytes/workgroup (compile time only)
; SGPRBlocks: 0
; VGPRBlocks: 7
; NumSGPRsForWavesPerEU: 32
; NumVGPRsForWavesPerEU: 61
; Occupancy: 16
; WaveLimiterHint : 1
; COMPUTE_PGM_RSRC2:SCRATCH_EN: 0
; COMPUTE_PGM_RSRC2:USER_SGPR: 6
; COMPUTE_PGM_RSRC2:TRAP_HANDLER: 0
; COMPUTE_PGM_RSRC2:TGID_X_EN: 1
; COMPUTE_PGM_RSRC2:TGID_Y_EN: 1
; COMPUTE_PGM_RSRC2:TGID_Z_EN: 1
; COMPUTE_PGM_RSRC2:TIDIG_COMP_CNT: 1
	.section	.text._ZL29rocblas_internal_gemmt_kernelIlLi16ELi32ELi8ELc78ELc78ELc85ELb0ELb0E19rocblas_complex_numIdEPKS1_PKS3_PKPS1_EviT_T9_T10_S9_lSB_S9_lSA_T11_S9_li,"axG",@progbits,_ZL29rocblas_internal_gemmt_kernelIlLi16ELi32ELi8ELc78ELc78ELc85ELb0ELb0E19rocblas_complex_numIdEPKS1_PKS3_PKPS1_EviT_T9_T10_S9_lSB_S9_lSA_T11_S9_li,comdat
	.globl	_ZL29rocblas_internal_gemmt_kernelIlLi16ELi32ELi8ELc78ELc78ELc85ELb0ELb0E19rocblas_complex_numIdEPKS1_PKS3_PKPS1_EviT_T9_T10_S9_lSB_S9_lSA_T11_S9_li ; -- Begin function _ZL29rocblas_internal_gemmt_kernelIlLi16ELi32ELi8ELc78ELc78ELc85ELb0ELb0E19rocblas_complex_numIdEPKS1_PKS3_PKPS1_EviT_T9_T10_S9_lSB_S9_lSA_T11_S9_li
	.p2align	8
	.type	_ZL29rocblas_internal_gemmt_kernelIlLi16ELi32ELi8ELc78ELc78ELc85ELb0ELb0E19rocblas_complex_numIdEPKS1_PKS3_PKPS1_EviT_T9_T10_S9_lSB_S9_lSA_T11_S9_li,@function
_ZL29rocblas_internal_gemmt_kernelIlLi16ELi32ELi8ELc78ELc78ELc85ELb0ELb0E19rocblas_complex_numIdEPKS1_PKS3_PKPS1_EviT_T9_T10_S9_lSB_S9_lSA_T11_S9_li: ; @_ZL29rocblas_internal_gemmt_kernelIlLi16ELi32ELi8ELc78ELc78ELc85ELb0ELb0E19rocblas_complex_numIdEPKS1_PKS3_PKPS1_EviT_T9_T10_S9_lSB_S9_lSA_T11_S9_li
; %bb.0:
	s_load_dwordx8 s[36:43], s[4:5], 0x48
	s_waitcnt lgkmcnt(0)
	s_load_dwordx4 s[28:31], s[36:37], 0x0
	s_load_dwordx16 s[12:27], s[4:5], 0x8
	s_waitcnt lgkmcnt(0)
	v_cmp_eq_f64_e64 s0, s[28:29], 1.0
	v_cmp_eq_f64_e64 s10, s[30:31], 0
	s_load_dwordx4 s[44:47], s[14:15], 0x0
	s_and_b32 s0, s0, s10
	s_andn2_b32 vcc_lo, exec_lo, s0
	s_mov_b32 s0, -1
	s_cbranch_vccnz .LBB540_3
; %bb.1:
	s_cmp_lg_u64 s[12:13], 0
	s_cbranch_scc0 .LBB540_33
; %bb.2:
	s_waitcnt lgkmcnt(0)
	v_cmp_neq_f64_e64 s0, s[44:45], 0
	v_cmp_neq_f64_e64 s1, s[46:47], 0
	s_or_b32 s0, s0, s1
.LBB540_3:
	s_and_b32 vcc_lo, exec_lo, s0
	s_cbranch_vccz .LBB540_34
; %bb.4:
	s_waitcnt lgkmcnt(0)
	v_cmp_eq_f64_e64 s11, s[44:45], 0
	v_cmp_eq_f64_e64 s14, s[46:47], 0
	s_mov_b32 s9, 0
	v_mov_b32_e32 v20, 0
	s_lshl_b64 s[0:1], s[8:9], 3
	v_mov_b32_e32 v22, 0
	s_add_u32 s2, s38, s0
	s_addc_u32 s3, s39, s1
	s_load_dword s8, s[4:5], 0x0
	s_load_dwordx2 s[2:3], s[2:3], 0x0
	v_cmp_lt_i64_e64 s4, s[12:13], 1
	v_mov_b32_e32 v18, 0
	v_mov_b32_e32 v16, 0
	;; [unrolled: 1-line block ×13, first 2 shown]
	s_and_b32 s5, s11, s14
	v_mov_b32_e32 v7, 0
	s_or_b32 s4, s5, s4
	s_lshl_b32 s6, s6, 5
	s_and_b32 vcc_lo, exec_lo, s4
	s_lshl_b32 s7, s7, 5
	s_cbranch_vccnz .LBB540_17
; %bb.5:
	s_add_u32 s4, s22, s0
	s_addc_u32 s5, s23, s1
	v_lshl_add_u32 v5, v1, 4, v0
	s_load_dwordx2 s[4:5], s[4:5], 0x0
	s_lshl_b64 s[14:15], s[26:27], 4
	v_and_b32_e32 v24, 7, v0
	v_mov_b32_e32 v6, 0
	v_lshrrev_b32_e32 v10, 3, v5
	v_and_b32_e32 v20, 31, v5
	v_lshrrev_b32_e32 v27, 5, v5
	v_lshlrev_b32_e32 v23, 4, v24
	v_mov_b32_e32 v8, 0
	v_add_nc_u32_e32 v11, s7, v10
	v_mov_b32_e32 v12, 0
	v_mov_b32_e32 v14, 0
	v_lshl_or_b32 v10, v10, 7, v23
	v_mov_b32_e32 v16, 0
	v_ashrrev_i32_e32 v4, 31, v11
	v_mul_lo_u32 v21, s25, v11
	v_mad_u64_u32 v[2:3], null, s24, v11, 0
	s_waitcnt lgkmcnt(0)
	v_cmp_gt_i32_e32 vcc_lo, s8, v11
	v_mul_lo_u32 v22, s24, v4
	s_add_u32 s11, s4, s14
	s_addc_u32 s22, s5, s15
	s_add_u32 s0, s16, s0
	s_addc_u32 s1, s17, s1
	v_or_b32_e32 v4, s6, v20
	s_load_dwordx2 s[4:5], s[0:1], 0x0
	v_lshlrev_b32_e32 v20, 4, v20
	v_add3_u32 v3, v3, v22, v21
	s_lshl_b64 s[14:15], s[20:21], 4
	v_ashrrev_i32_e32 v5, 31, v4
	v_cmp_gt_i32_e64 s0, s8, v4
	v_cmp_le_i32_e64 s9, s8, v4
	v_lshlrev_b64 v[2:3], 4, v[2:3]
	v_mov_b32_e32 v18, 0
	v_lshlrev_b64 v[4:5], 4, v[4:5]
	v_lshl_or_b32 v28, v27, 9, v20
	v_mov_b32_e32 v22, 0
	v_mov_b32_e32 v20, 0
	v_add_co_u32 v30, s1, s11, v2
	v_add_co_ci_u32_e64 v31, null, s22, v3, s1
	v_lshlrev_b32_e32 v25, 4, v0
	v_lshl_add_u32 v26, v1, 7, 0x1000
	v_mov_b32_e32 v7, 0
	s_waitcnt lgkmcnt(0)
	s_add_u32 s1, s4, s14
	s_addc_u32 s4, s5, s15
	v_add_co_u32 v32, s1, s1, v4
	v_mov_b32_e32 v9, 0
	v_mov_b32_e32 v13, 0
	;; [unrolled: 1-line block ×5, first 2 shown]
	v_add_nc_u32_e32 v29, 0x1000, v10
	v_add_co_ci_u32_e64 v33, null, s4, v5, s1
	v_mov_b32_e32 v23, 0
	v_mov_b32_e32 v21, 0
	;; [unrolled: 1-line block ×3, first 2 shown]
	s_mov_b64 s[4:5], 0
	s_xor_b32 s1, vcc_lo, -1
                                        ; implicit-def: $vgpr10_vgpr11
	s_branch .LBB540_7
.LBB540_6:                              ;   in Loop: Header=BB540_7 Depth=1
	s_or_b32 exec_lo, exec_lo, s11
	s_waitcnt lgkmcnt(0)
	s_barrier
	buffer_gl0_inv
	ds_read_b128 v[34:37], v26
	ds_read_b128 v[38:41], v25
	ds_read_b128 v[42:45], v25 offset:256
	ds_read_b128 v[46:49], v26 offset:2048
	;; [unrolled: 1-line block ×16, first 2 shown]
	s_add_u32 s4, s4, 8
	s_addc_u32 s5, s5, 0
	v_cmp_gt_i64_e64 s11, s[12:13], s[4:5]
	s_waitcnt lgkmcnt(16)
	v_mul_f64 v[4:5], v[36:37], v[40:41]
	v_mul_f64 v[106:107], v[34:35], v[40:41]
	s_waitcnt lgkmcnt(15)
	v_mul_f64 v[108:109], v[36:37], v[44:45]
	v_mul_f64 v[110:111], v[34:35], v[44:45]
	;; [unrolled: 3-line block ×3, first 2 shown]
	v_mul_f64 v[114:115], v[48:49], v[44:45]
	v_mul_f64 v[44:45], v[46:47], v[44:45]
	s_waitcnt lgkmcnt(12)
	v_mul_f64 v[116:117], v[52:53], v[56:57]
	v_mul_f64 v[118:119], v[50:51], v[56:57]
	s_waitcnt lgkmcnt(11)
	;; [unrolled: 3-line block ×3, first 2 shown]
	v_mul_f64 v[124:125], v[64:65], v[56:57]
	v_mul_f64 v[56:57], v[62:63], v[56:57]
	;; [unrolled: 1-line block ×4, first 2 shown]
	s_waitcnt lgkmcnt(7)
	v_mul_f64 v[132:133], v[76:77], v[68:69]
	v_mul_f64 v[134:135], v[74:75], v[68:69]
	;; [unrolled: 1-line block ×4, first 2 shown]
	s_and_b32 vcc_lo, exec_lo, s11
	v_fma_f64 v[4:5], v[34:35], v[38:39], -v[4:5]
	v_fma_f64 v[106:107], v[36:37], v[38:39], v[106:107]
	v_fma_f64 v[108:109], v[34:35], v[42:43], -v[108:109]
	v_fma_f64 v[110:111], v[36:37], v[42:43], v[110:111]
	;; [unrolled: 2-line block ×8, first 2 shown]
	s_waitcnt lgkmcnt(5)
	v_mul_f64 v[60:61], v[84:85], v[68:69]
	v_mul_f64 v[64:65], v[84:85], v[72:73]
	s_waitcnt lgkmcnt(3)
	v_mul_f64 v[126:127], v[88:89], v[92:93]
	ds_read_b128 v[34:37], v26 offset:64
	ds_read_b128 v[38:41], v26 offset:80
	;; [unrolled: 1-line block ×6, first 2 shown]
	v_add_f64 v[4:5], v[20:21], v[4:5]
	v_add_f64 v[20:21], v[106:107], v[22:23]
	;; [unrolled: 1-line block ×3, first 2 shown]
	v_mul_f64 v[22:23], v[82:83], v[68:69]
	v_add_f64 v[16:17], v[110:111], v[16:17]
	v_add_f64 v[14:15], v[14:15], v[112:113]
	v_mul_f64 v[68:69], v[82:83], v[72:73]
	v_add_f64 v[12:13], v[128:129], v[12:13]
	v_add_f64 v[8:9], v[8:9], v[114:115]
	v_add_f64 v[6:7], v[130:131], v[6:7]
	v_mul_f64 v[72:73], v[80:81], v[92:93]
	v_mul_f64 v[106:107], v[78:79], v[92:93]
	s_waitcnt lgkmcnt(8)
	v_mul_f64 v[108:109], v[80:81], v[96:97]
	v_mul_f64 v[110:111], v[78:79], v[96:97]
	v_fma_f64 v[112:113], v[74:75], v[66:67], -v[132:133]
	v_fma_f64 v[114:115], v[76:77], v[66:67], v[134:135]
	v_fma_f64 v[74:75], v[74:75], v[70:71], -v[136:137]
	v_fma_f64 v[76:77], v[76:77], v[70:71], v[140:141]
	v_mul_f64 v[92:93], v[86:87], v[92:93]
	v_mul_f64 v[128:129], v[88:89], v[96:97]
	v_fma_f64 v[60:61], v[82:83], v[66:67], -v[60:61]
	v_mul_f64 v[96:97], v[86:87], v[96:97]
	v_add_f64 v[4:5], v[4:5], v[116:117]
	v_add_f64 v[20:21], v[118:119], v[20:21]
	;; [unrolled: 1-line block ×3, first 2 shown]
	v_fma_f64 v[22:23], v[84:85], v[66:67], v[22:23]
	v_add_f64 v[16:17], v[122:123], v[16:17]
	v_add_f64 v[14:15], v[14:15], v[124:125]
	v_fma_f64 v[64:65], v[82:83], v[70:71], -v[64:65]
	v_add_f64 v[12:13], v[138:139], v[12:13]
	v_add_f64 v[8:9], v[8:9], v[62:63]
	v_fma_f64 v[66:67], v[84:85], v[70:71], v[68:69]
	v_add_f64 v[6:7], v[58:59], v[6:7]
	s_waitcnt lgkmcnt(5)
	v_mul_f64 v[116:117], v[36:37], v[100:101]
	v_mul_f64 v[118:119], v[34:35], v[100:101]
	;; [unrolled: 1-line block ×4, first 2 shown]
	s_waitcnt lgkmcnt(1)
	v_mul_f64 v[62:63], v[52:53], v[100:101]
	v_fma_f64 v[68:69], v[78:79], v[90:91], -v[72:73]
	v_fma_f64 v[70:71], v[80:81], v[90:91], v[106:107]
	v_fma_f64 v[72:73], v[78:79], v[94:95], -v[108:109]
	v_fma_f64 v[78:79], v[80:81], v[94:95], v[110:111]
	;; [unrolled: 2-line block ×3, first 2 shown]
	v_add_f64 v[4:5], v[4:5], v[112:113]
	v_add_f64 v[20:21], v[114:115], v[20:21]
	;; [unrolled: 1-line block ×3, first 2 shown]
	v_mul_f64 v[74:75], v[52:53], v[104:105]
	v_add_f64 v[16:17], v[76:77], v[16:17]
	v_add_f64 v[14:15], v[14:15], v[60:61]
	v_mul_f64 v[60:61], v[50:51], v[100:101]
	v_mul_f64 v[76:77], v[50:51], v[104:105]
	v_fma_f64 v[86:87], v[86:87], v[94:95], -v[128:129]
	v_add_f64 v[12:13], v[22:23], v[12:13]
	v_add_f64 v[8:9], v[8:9], v[64:65]
	v_fma_f64 v[88:89], v[88:89], v[94:95], v[96:97]
	v_add_f64 v[66:67], v[66:67], v[6:7]
	v_mul_f64 v[80:81], v[40:41], v[44:45]
	v_mul_f64 v[82:83], v[38:39], v[44:45]
	;; [unrolled: 1-line block ×3, first 2 shown]
	v_fma_f64 v[90:91], v[34:35], v[98:99], -v[116:117]
	v_fma_f64 v[92:93], v[36:37], v[98:99], v[118:119]
	v_fma_f64 v[34:35], v[34:35], v[102:103], -v[120:121]
	v_fma_f64 v[36:37], v[36:37], v[102:103], v[122:123]
	v_fma_f64 v[62:63], v[50:51], v[98:99], -v[62:63]
	v_mul_f64 v[94:95], v[38:39], v[48:49]
	v_add_f64 v[68:69], v[4:5], v[68:69]
	v_add_f64 v[70:71], v[70:71], v[20:21]
	v_add_f64 v[72:73], v[18:19], v[72:73]
	s_waitcnt lgkmcnt(0)
	v_mul_f64 v[96:97], v[56:57], v[44:45]
	v_add_f64 v[78:79], v[78:79], v[16:17]
	v_add_f64 v[58:59], v[14:15], v[58:59]
	v_mul_f64 v[44:45], v[54:55], v[44:45]
	v_mul_f64 v[100:101], v[56:57], v[48:49]
	;; [unrolled: 1-line block ×3, first 2 shown]
	v_fma_f64 v[60:61], v[52:53], v[98:99], v[60:61]
	v_fma_f64 v[50:51], v[50:51], v[102:103], -v[74:75]
	v_add_f64 v[74:75], v[84:85], v[12:13]
	v_add_f64 v[8:9], v[8:9], v[86:87]
	v_fma_f64 v[52:53], v[52:53], v[102:103], v[76:77]
	v_add_f64 v[66:67], v[88:89], v[66:67]
	ds_read_b128 v[4:7], v26 offset:96
	ds_read_b128 v[12:15], v25 offset:3072
	;; [unrolled: 1-line block ×4, first 2 shown]
	v_fma_f64 v[76:77], v[38:39], v[42:43], -v[80:81]
	v_fma_f64 v[64:65], v[38:39], v[46:47], -v[64:65]
	v_fma_f64 v[80:81], v[40:41], v[46:47], v[94:95]
	v_add_f64 v[68:69], v[68:69], v[90:91]
	v_add_f64 v[70:71], v[92:93], v[70:71]
	;; [unrolled: 1-line block ×5, first 2 shown]
	v_fma_f64 v[62:63], v[40:41], v[42:43], v[82:83]
	v_fma_f64 v[82:83], v[54:55], v[42:43], -v[96:97]
	v_fma_f64 v[84:85], v[56:57], v[42:43], v[44:45]
	v_fma_f64 v[54:55], v[54:55], v[46:47], -v[100:101]
	v_fma_f64 v[56:57], v[56:57], v[46:47], v[48:49]
	v_add_f64 v[60:61], v[60:61], v[74:75]
	v_add_f64 v[8:9], v[8:9], v[50:51]
	s_waitcnt lgkmcnt(2)
	v_mul_f64 v[50:51], v[6:7], v[14:15]
	v_mul_f64 v[74:75], v[4:5], v[14:15]
	s_waitcnt lgkmcnt(1)
	v_mul_f64 v[86:87], v[6:7], v[18:19]
	v_mul_f64 v[88:89], v[4:5], v[18:19]
	;; [unrolled: 3-line block ×3, first 2 shown]
	v_mul_f64 v[92:93], v[22:23], v[18:19]
	v_add_f64 v[52:53], v[52:53], v[66:67]
	v_mul_f64 v[18:19], v[20:21], v[18:19]
	ds_read_b128 v[34:37], v26 offset:112
	ds_read_b128 v[38:41], v26 offset:2160
	;; [unrolled: 1-line block ×4, first 2 shown]
	v_add_f64 v[66:67], v[68:69], v[76:77]
	v_add_f64 v[64:65], v[72:73], v[64:65]
	;; [unrolled: 1-line block ×5, first 2 shown]
	s_waitcnt lgkmcnt(0)
	s_barrier
	buffer_gl0_inv
	v_add_f64 v[60:61], v[84:85], v[60:61]
	v_add_f64 v[8:9], v[8:9], v[54:55]
	v_fma_f64 v[50:51], v[4:5], v[12:13], -v[50:51]
	v_fma_f64 v[54:55], v[6:7], v[12:13], v[74:75]
	v_fma_f64 v[4:5], v[4:5], v[16:17], -v[86:87]
	v_fma_f64 v[6:7], v[6:7], v[16:17], v[88:89]
	;; [unrolled: 2-line block ×3, first 2 shown]
	v_fma_f64 v[14:15], v[20:21], v[16:17], -v[92:93]
	v_add_f64 v[20:21], v[56:57], v[52:53]
	v_fma_f64 v[16:17], v[22:23], v[16:17], v[18:19]
	v_mul_f64 v[18:19], v[36:37], v[44:45]
	v_mul_f64 v[22:23], v[34:35], v[44:45]
	v_mul_f64 v[52:53], v[36:37], v[48:49]
	v_mul_f64 v[56:57], v[34:35], v[48:49]
	v_mul_f64 v[72:73], v[40:41], v[44:45]
	v_mul_f64 v[44:45], v[38:39], v[44:45]
	v_mul_f64 v[74:75], v[40:41], v[48:49]
	v_mul_f64 v[48:49], v[38:39], v[48:49]
	v_add_f64 v[50:51], v[66:67], v[50:51]
	v_add_f64 v[54:55], v[54:55], v[62:63]
	;; [unrolled: 1-line block ×8, first 2 shown]
	v_fma_f64 v[14:15], v[34:35], v[42:43], -v[18:19]
	v_fma_f64 v[16:17], v[36:37], v[42:43], v[22:23]
	v_fma_f64 v[18:19], v[34:35], v[46:47], -v[52:53]
	v_fma_f64 v[34:35], v[36:37], v[46:47], v[56:57]
	;; [unrolled: 2-line block ×4, first 2 shown]
	v_add_f64 v[20:21], v[50:51], v[14:15]
	v_add_f64 v[22:23], v[16:17], v[54:55]
	;; [unrolled: 1-line block ×8, first 2 shown]
	s_cbranch_vccz .LBB540_17
.LBB540_7:                              ; =>This Inner Loop Header: Depth=1
	s_mov_b32 s15, s9
	s_mov_b32 s11, 0
	s_and_saveexec_b32 s14, s0
	s_cbranch_execnz .LBB540_15
; %bb.8:                                ;   in Loop: Header=BB540_7 Depth=1
	s_or_b32 exec_lo, exec_lo, s14
	s_and_saveexec_b32 s14, s15
	s_xor_b32 s14, exec_lo, s14
	s_cbranch_execnz .LBB540_16
.LBB540_9:                              ;   in Loop: Header=BB540_7 Depth=1
	s_or_b32 exec_lo, exec_lo, s14
	s_and_saveexec_b32 s14, s11
	s_cbranch_execz .LBB540_11
.LBB540_10:                             ;   in Loop: Header=BB540_7 Depth=1
	v_mul_lo_u32 v2, s19, v10
	v_mul_lo_u32 v34, s18, v11
	v_mad_u64_u32 v[4:5], null, s18, v10, 0
	v_add3_u32 v5, v5, v34, v2
	v_lshlrev_b64 v[4:5], 4, v[4:5]
	v_add_co_u32 v4, vcc_lo, v32, v4
	v_add_co_ci_u32_e64 v5, null, v33, v5, vcc_lo
	flat_load_dwordx4 v[34:37], v[4:5]
	s_waitcnt vmcnt(0) lgkmcnt(0)
	ds_write2_b64 v28, v[34:35], v[36:37] offset1:1
.LBB540_11:                             ;   in Loop: Header=BB540_7 Depth=1
	s_or_b32 exec_lo, exec_lo, s14
	v_add_nc_u32_e32 v2, s4, v24
	v_cmp_le_u64_e32 vcc_lo, s[12:13], v[2:3]
	s_or_b32 s11, vcc_lo, s1
	s_and_saveexec_b32 s14, s11
	s_xor_b32 s11, exec_lo, s14
	s_cbranch_execz .LBB540_13
; %bb.12:                               ;   in Loop: Header=BB540_7 Depth=1
	v_mov_b32_e32 v2, v3
	v_mov_b32_e32 v4, v3
	;; [unrolled: 1-line block ×3, first 2 shown]
	ds_write_b128 v29, v[2:5]
.LBB540_13:                             ;   in Loop: Header=BB540_7 Depth=1
	s_andn2_saveexec_b32 s11, s11
	s_cbranch_execz .LBB540_6
; %bb.14:                               ;   in Loop: Header=BB540_7 Depth=1
	v_lshlrev_b64 v[4:5], 4, v[2:3]
	v_add_co_u32 v4, vcc_lo, v30, v4
	v_add_co_ci_u32_e64 v5, null, v31, v5, vcc_lo
	flat_load_dwordx4 v[34:37], v[4:5]
	s_waitcnt vmcnt(0) lgkmcnt(0)
	ds_write2_b64 v29, v[34:35], v[36:37] offset1:1
	s_branch .LBB540_6
.LBB540_15:                             ;   in Loop: Header=BB540_7 Depth=1
	v_add_nc_u32_e32 v2, s4, v27
	v_mov_b32_e32 v11, v3
	s_andn2_b32 s15, s9, exec_lo
	s_mov_b32 s11, exec_lo
	v_cmp_le_u64_e32 vcc_lo, s[12:13], v[2:3]
	v_mov_b32_e32 v10, v2
	s_and_b32 s16, vcc_lo, exec_lo
	s_or_b32 s15, s15, s16
	s_or_b32 exec_lo, exec_lo, s14
	s_and_saveexec_b32 s14, s15
	s_xor_b32 s14, exec_lo, s14
	s_cbranch_execz .LBB540_9
.LBB540_16:                             ;   in Loop: Header=BB540_7 Depth=1
	v_mov_b32_e32 v2, v3
	v_mov_b32_e32 v4, v3
	;; [unrolled: 1-line block ×3, first 2 shown]
	s_andn2_b32 s11, s11, exec_lo
	ds_write_b128 v28, v[2:5]
	s_or_b32 exec_lo, exec_lo, s14
	s_and_saveexec_b32 s14, s11
	s_cbranch_execnz .LBB540_10
	s_branch .LBB540_11
.LBB540_17:
	v_add_nc_u32_e32 v25, s7, v1
	v_cmp_neq_f64_e64 s4, s[28:29], 0
	s_lshl_b64 s[0:1], s[42:43], 4
	s_waitcnt lgkmcnt(0)
	s_add_u32 s2, s2, s0
	v_ashrrev_i32_e32 v3, 31, v25
	v_mul_lo_u32 v4, s41, v25
	v_mad_u64_u32 v[1:2], null, s40, v25, 0
	s_addc_u32 s3, s3, s1
	v_mul_lo_u32 v3, s40, v3
	s_xor_b32 s5, s10, -1
	v_cmp_gt_i32_e64 s0, s8, v25
	v_add3_u32 v2, v2, v3, v4
	v_add_nc_u32_e32 v4, s6, v0
	s_or_b32 s4, s4, s5
	v_lshlrev_b64 v[0:1], 4, v[1:2]
	v_cmp_le_i32_e32 vcc_lo, v4, v25
	v_ashrrev_i32_e32 v5, 31, v4
	v_cndmask_b32_e64 v24, 0, 1, s4
	s_and_b32 s5, s0, vcc_lo
	v_add_co_u32 v26, s1, s2, v0
	v_add_co_ci_u32_e64 v27, null, s3, v1, s1
	s_and_saveexec_b32 s1, s5
	s_cbranch_execz .LBB540_21
; %bb.18:
	v_mul_f64 v[0:1], s[46:47], v[22:23]
	v_mul_f64 v[2:3], s[44:45], v[22:23]
	v_lshlrev_b64 v[10:11], 4, v[4:5]
	v_add_co_u32 v10, vcc_lo, v26, v10
	v_add_co_ci_u32_e64 v11, null, v27, v11, vcc_lo
	s_andn2_b32 vcc_lo, exec_lo, s4
	v_fma_f64 v[0:1], s[44:45], v[20:21], -v[0:1]
	v_fma_f64 v[2:3], s[46:47], v[20:21], v[2:3]
	s_cbranch_vccnz .LBB540_20
; %bb.19:
	flat_load_dwordx4 v[20:23], v[10:11]
	s_waitcnt vmcnt(0) lgkmcnt(0)
	v_mul_f64 v[28:29], s[30:31], v[22:23]
	v_mul_f64 v[22:23], s[28:29], v[22:23]
	v_fma_f64 v[28:29], s[28:29], v[20:21], -v[28:29]
	v_fma_f64 v[20:21], s[30:31], v[20:21], v[22:23]
	v_add_f64 v[0:1], v[0:1], v[28:29]
	v_add_f64 v[2:3], v[2:3], v[20:21]
.LBB540_20:
	flat_store_dwordx4 v[10:11], v[0:3]
.LBB540_21:
	s_or_b32 exec_lo, exec_lo, s1
	v_add_nc_u32_e32 v10, 16, v4
	v_cmp_le_i32_e32 vcc_lo, v10, v25
	v_ashrrev_i32_e32 v11, 31, v10
	s_and_b32 s0, s0, vcc_lo
	s_and_saveexec_b32 s1, s0
	s_cbranch_execz .LBB540_25
; %bb.22:
	v_mul_f64 v[0:1], s[46:47], v[16:17]
	v_mul_f64 v[2:3], s[44:45], v[16:17]
	v_lshlrev_b64 v[16:17], 4, v[10:11]
	v_cmp_ne_u32_e32 vcc_lo, 1, v24
	s_and_b32 vcc_lo, exec_lo, vcc_lo
	v_add_co_u32 v16, s0, v26, v16
	v_add_co_ci_u32_e64 v17, null, v27, v17, s0
	v_fma_f64 v[0:1], s[44:45], v[18:19], -v[0:1]
	v_fma_f64 v[2:3], s[46:47], v[18:19], v[2:3]
	s_cbranch_vccnz .LBB540_24
; %bb.23:
	flat_load_dwordx4 v[18:21], v[16:17]
	s_waitcnt vmcnt(0) lgkmcnt(0)
	v_mul_f64 v[22:23], s[30:31], v[20:21]
	v_mul_f64 v[20:21], s[28:29], v[20:21]
	v_fma_f64 v[22:23], s[28:29], v[18:19], -v[22:23]
	v_fma_f64 v[18:19], s[30:31], v[18:19], v[20:21]
	v_add_f64 v[0:1], v[0:1], v[22:23]
	v_add_f64 v[2:3], v[2:3], v[18:19]
.LBB540_24:
	flat_store_dwordx4 v[16:17], v[0:3]
.LBB540_25:
	s_or_b32 exec_lo, exec_lo, s1
	v_add_nc_u32_e32 v18, 16, v25
	v_ashrrev_i32_e32 v2, 31, v18
	v_mul_lo_u32 v3, s41, v18
	v_mad_u64_u32 v[0:1], null, s40, v18, 0
	v_cmp_gt_i32_e64 s0, s8, v18
	v_mul_lo_u32 v2, s40, v2
	v_cmp_le_i32_e32 vcc_lo, v4, v18
	v_add3_u32 v1, v1, v2, v3
	v_lshlrev_b64 v[0:1], 4, v[0:1]
	v_add_co_u32 v16, s1, s2, v0
	v_add_co_ci_u32_e64 v17, null, s3, v1, s1
	s_and_b32 s1, s0, vcc_lo
	s_and_saveexec_b32 s2, s1
	s_cbranch_execz .LBB540_29
; %bb.26:
	v_mul_f64 v[0:1], s[46:47], v[12:13]
	v_mul_f64 v[2:3], s[44:45], v[12:13]
	v_lshlrev_b64 v[4:5], 4, v[4:5]
	v_cmp_ne_u32_e32 vcc_lo, 1, v24
	s_and_b32 vcc_lo, exec_lo, vcc_lo
	v_add_co_u32 v4, s1, v16, v4
	v_add_co_ci_u32_e64 v5, null, v17, v5, s1
	v_fma_f64 v[0:1], s[44:45], v[14:15], -v[0:1]
	v_fma_f64 v[2:3], s[46:47], v[14:15], v[2:3]
	s_cbranch_vccnz .LBB540_28
; %bb.27:
	flat_load_dwordx4 v[12:15], v[4:5]
	s_waitcnt vmcnt(0) lgkmcnt(0)
	v_mul_f64 v[19:20], s[30:31], v[14:15]
	v_mul_f64 v[14:15], s[28:29], v[14:15]
	v_fma_f64 v[19:20], s[28:29], v[12:13], -v[19:20]
	v_fma_f64 v[12:13], s[30:31], v[12:13], v[14:15]
	v_add_f64 v[0:1], v[0:1], v[19:20]
	v_add_f64 v[2:3], v[2:3], v[12:13]
.LBB540_28:
	flat_store_dwordx4 v[4:5], v[0:3]
.LBB540_29:
	s_or_b32 exec_lo, exec_lo, s2
	v_cmp_le_i32_e32 vcc_lo, v10, v18
	s_and_b32 s0, s0, vcc_lo
	s_and_saveexec_b32 s1, s0
	s_cbranch_execz .LBB540_34
; %bb.30:
	v_mul_f64 v[0:1], s[46:47], v[6:7]
	v_mul_f64 v[2:3], s[44:45], v[6:7]
	v_lshlrev_b64 v[4:5], 4, v[10:11]
	v_cmp_ne_u32_e32 vcc_lo, 1, v24
	s_and_b32 vcc_lo, exec_lo, vcc_lo
	v_add_co_u32 v4, s0, v16, v4
	v_add_co_ci_u32_e64 v5, null, v17, v5, s0
	v_fma_f64 v[0:1], s[44:45], v[8:9], -v[0:1]
	v_fma_f64 v[2:3], s[46:47], v[8:9], v[2:3]
	s_cbranch_vccnz .LBB540_32
; %bb.31:
	flat_load_dwordx4 v[6:9], v[4:5]
	s_waitcnt vmcnt(0) lgkmcnt(0)
	v_mul_f64 v[10:11], s[30:31], v[8:9]
	v_mul_f64 v[8:9], s[28:29], v[8:9]
	v_fma_f64 v[10:11], s[28:29], v[6:7], -v[10:11]
	v_fma_f64 v[6:7], s[30:31], v[6:7], v[8:9]
	v_add_f64 v[0:1], v[0:1], v[10:11]
	v_add_f64 v[2:3], v[2:3], v[6:7]
.LBB540_32:
	flat_store_dwordx4 v[4:5], v[0:3]
	s_endpgm
.LBB540_33:
.LBB540_34:
	s_endpgm
	.section	.rodata,"a",@progbits
	.p2align	6, 0x0
	.amdhsa_kernel _ZL29rocblas_internal_gemmt_kernelIlLi16ELi32ELi8ELc78ELc78ELc85ELb0ELb0E19rocblas_complex_numIdEPKS1_PKS3_PKPS1_EviT_T9_T10_S9_lSB_S9_lSA_T11_S9_li
		.amdhsa_group_segment_fixed_size 8192
		.amdhsa_private_segment_fixed_size 0
		.amdhsa_kernarg_size 108
		.amdhsa_user_sgpr_count 6
		.amdhsa_user_sgpr_private_segment_buffer 1
		.amdhsa_user_sgpr_dispatch_ptr 0
		.amdhsa_user_sgpr_queue_ptr 0
		.amdhsa_user_sgpr_kernarg_segment_ptr 1
		.amdhsa_user_sgpr_dispatch_id 0
		.amdhsa_user_sgpr_flat_scratch_init 0
		.amdhsa_user_sgpr_private_segment_size 0
		.amdhsa_wavefront_size32 1
		.amdhsa_uses_dynamic_stack 0
		.amdhsa_system_sgpr_private_segment_wavefront_offset 0
		.amdhsa_system_sgpr_workgroup_id_x 1
		.amdhsa_system_sgpr_workgroup_id_y 1
		.amdhsa_system_sgpr_workgroup_id_z 1
		.amdhsa_system_sgpr_workgroup_info 0
		.amdhsa_system_vgpr_workitem_id 1
		.amdhsa_next_free_vgpr 142
		.amdhsa_next_free_sgpr 48
		.amdhsa_reserve_vcc 1
		.amdhsa_reserve_flat_scratch 0
		.amdhsa_float_round_mode_32 0
		.amdhsa_float_round_mode_16_64 0
		.amdhsa_float_denorm_mode_32 3
		.amdhsa_float_denorm_mode_16_64 3
		.amdhsa_dx10_clamp 1
		.amdhsa_ieee_mode 1
		.amdhsa_fp16_overflow 0
		.amdhsa_workgroup_processor_mode 1
		.amdhsa_memory_ordered 1
		.amdhsa_forward_progress 1
		.amdhsa_shared_vgpr_count 0
		.amdhsa_exception_fp_ieee_invalid_op 0
		.amdhsa_exception_fp_denorm_src 0
		.amdhsa_exception_fp_ieee_div_zero 0
		.amdhsa_exception_fp_ieee_overflow 0
		.amdhsa_exception_fp_ieee_underflow 0
		.amdhsa_exception_fp_ieee_inexact 0
		.amdhsa_exception_int_div_zero 0
	.end_amdhsa_kernel
	.section	.text._ZL29rocblas_internal_gemmt_kernelIlLi16ELi32ELi8ELc78ELc78ELc85ELb0ELb0E19rocblas_complex_numIdEPKS1_PKS3_PKPS1_EviT_T9_T10_S9_lSB_S9_lSA_T11_S9_li,"axG",@progbits,_ZL29rocblas_internal_gemmt_kernelIlLi16ELi32ELi8ELc78ELc78ELc85ELb0ELb0E19rocblas_complex_numIdEPKS1_PKS3_PKPS1_EviT_T9_T10_S9_lSB_S9_lSA_T11_S9_li,comdat
.Lfunc_end540:
	.size	_ZL29rocblas_internal_gemmt_kernelIlLi16ELi32ELi8ELc78ELc78ELc85ELb0ELb0E19rocblas_complex_numIdEPKS1_PKS3_PKPS1_EviT_T9_T10_S9_lSB_S9_lSA_T11_S9_li, .Lfunc_end540-_ZL29rocblas_internal_gemmt_kernelIlLi16ELi32ELi8ELc78ELc78ELc85ELb0ELb0E19rocblas_complex_numIdEPKS1_PKS3_PKPS1_EviT_T9_T10_S9_lSB_S9_lSA_T11_S9_li
                                        ; -- End function
	.set _ZL29rocblas_internal_gemmt_kernelIlLi16ELi32ELi8ELc78ELc78ELc85ELb0ELb0E19rocblas_complex_numIdEPKS1_PKS3_PKPS1_EviT_T9_T10_S9_lSB_S9_lSA_T11_S9_li.num_vgpr, 142
	.set _ZL29rocblas_internal_gemmt_kernelIlLi16ELi32ELi8ELc78ELc78ELc85ELb0ELb0E19rocblas_complex_numIdEPKS1_PKS3_PKPS1_EviT_T9_T10_S9_lSB_S9_lSA_T11_S9_li.num_agpr, 0
	.set _ZL29rocblas_internal_gemmt_kernelIlLi16ELi32ELi8ELc78ELc78ELc85ELb0ELb0E19rocblas_complex_numIdEPKS1_PKS3_PKPS1_EviT_T9_T10_S9_lSB_S9_lSA_T11_S9_li.numbered_sgpr, 48
	.set _ZL29rocblas_internal_gemmt_kernelIlLi16ELi32ELi8ELc78ELc78ELc85ELb0ELb0E19rocblas_complex_numIdEPKS1_PKS3_PKPS1_EviT_T9_T10_S9_lSB_S9_lSA_T11_S9_li.num_named_barrier, 0
	.set _ZL29rocblas_internal_gemmt_kernelIlLi16ELi32ELi8ELc78ELc78ELc85ELb0ELb0E19rocblas_complex_numIdEPKS1_PKS3_PKPS1_EviT_T9_T10_S9_lSB_S9_lSA_T11_S9_li.private_seg_size, 0
	.set _ZL29rocblas_internal_gemmt_kernelIlLi16ELi32ELi8ELc78ELc78ELc85ELb0ELb0E19rocblas_complex_numIdEPKS1_PKS3_PKPS1_EviT_T9_T10_S9_lSB_S9_lSA_T11_S9_li.uses_vcc, 1
	.set _ZL29rocblas_internal_gemmt_kernelIlLi16ELi32ELi8ELc78ELc78ELc85ELb0ELb0E19rocblas_complex_numIdEPKS1_PKS3_PKPS1_EviT_T9_T10_S9_lSB_S9_lSA_T11_S9_li.uses_flat_scratch, 0
	.set _ZL29rocblas_internal_gemmt_kernelIlLi16ELi32ELi8ELc78ELc78ELc85ELb0ELb0E19rocblas_complex_numIdEPKS1_PKS3_PKPS1_EviT_T9_T10_S9_lSB_S9_lSA_T11_S9_li.has_dyn_sized_stack, 0
	.set _ZL29rocblas_internal_gemmt_kernelIlLi16ELi32ELi8ELc78ELc78ELc85ELb0ELb0E19rocblas_complex_numIdEPKS1_PKS3_PKPS1_EviT_T9_T10_S9_lSB_S9_lSA_T11_S9_li.has_recursion, 0
	.set _ZL29rocblas_internal_gemmt_kernelIlLi16ELi32ELi8ELc78ELc78ELc85ELb0ELb0E19rocblas_complex_numIdEPKS1_PKS3_PKPS1_EviT_T9_T10_S9_lSB_S9_lSA_T11_S9_li.has_indirect_call, 0
	.section	.AMDGPU.csdata,"",@progbits
; Kernel info:
; codeLenInByte = 3644
; TotalNumSgprs: 50
; NumVgprs: 142
; ScratchSize: 0
; MemoryBound: 0
; FloatMode: 240
; IeeeMode: 1
; LDSByteSize: 8192 bytes/workgroup (compile time only)
; SGPRBlocks: 0
; VGPRBlocks: 17
; NumSGPRsForWavesPerEU: 50
; NumVGPRsForWavesPerEU: 142
; Occupancy: 7
; WaveLimiterHint : 1
; COMPUTE_PGM_RSRC2:SCRATCH_EN: 0
; COMPUTE_PGM_RSRC2:USER_SGPR: 6
; COMPUTE_PGM_RSRC2:TRAP_HANDLER: 0
; COMPUTE_PGM_RSRC2:TGID_X_EN: 1
; COMPUTE_PGM_RSRC2:TGID_Y_EN: 1
; COMPUTE_PGM_RSRC2:TGID_Z_EN: 1
; COMPUTE_PGM_RSRC2:TIDIG_COMP_CNT: 1
	.section	.text._ZL29rocblas_internal_gemmt_kernelIlLi16ELi32ELi8ELc78ELc84ELc85ELb0ELb0E19rocblas_complex_numIdEPKS1_PKS3_PKPS1_EviT_T9_T10_S9_lSB_S9_lSA_T11_S9_li,"axG",@progbits,_ZL29rocblas_internal_gemmt_kernelIlLi16ELi32ELi8ELc78ELc84ELc85ELb0ELb0E19rocblas_complex_numIdEPKS1_PKS3_PKPS1_EviT_T9_T10_S9_lSB_S9_lSA_T11_S9_li,comdat
	.globl	_ZL29rocblas_internal_gemmt_kernelIlLi16ELi32ELi8ELc78ELc84ELc85ELb0ELb0E19rocblas_complex_numIdEPKS1_PKS3_PKPS1_EviT_T9_T10_S9_lSB_S9_lSA_T11_S9_li ; -- Begin function _ZL29rocblas_internal_gemmt_kernelIlLi16ELi32ELi8ELc78ELc84ELc85ELb0ELb0E19rocblas_complex_numIdEPKS1_PKS3_PKPS1_EviT_T9_T10_S9_lSB_S9_lSA_T11_S9_li
	.p2align	8
	.type	_ZL29rocblas_internal_gemmt_kernelIlLi16ELi32ELi8ELc78ELc84ELc85ELb0ELb0E19rocblas_complex_numIdEPKS1_PKS3_PKPS1_EviT_T9_T10_S9_lSB_S9_lSA_T11_S9_li,@function
_ZL29rocblas_internal_gemmt_kernelIlLi16ELi32ELi8ELc78ELc84ELc85ELb0ELb0E19rocblas_complex_numIdEPKS1_PKS3_PKPS1_EviT_T9_T10_S9_lSB_S9_lSA_T11_S9_li: ; @_ZL29rocblas_internal_gemmt_kernelIlLi16ELi32ELi8ELc78ELc84ELc85ELb0ELb0E19rocblas_complex_numIdEPKS1_PKS3_PKPS1_EviT_T9_T10_S9_lSB_S9_lSA_T11_S9_li
; %bb.0:
	s_load_dwordx8 s[36:43], s[4:5], 0x48
	s_waitcnt lgkmcnt(0)
	s_load_dwordx4 s[28:31], s[36:37], 0x0
	s_load_dwordx16 s[12:27], s[4:5], 0x8
	s_waitcnt lgkmcnt(0)
	v_cmp_eq_f64_e64 s0, s[28:29], 1.0
	v_cmp_eq_f64_e64 s10, s[30:31], 0
	s_load_dwordx4 s[44:47], s[14:15], 0x0
	s_and_b32 s0, s0, s10
	s_andn2_b32 vcc_lo, exec_lo, s0
	s_mov_b32 s0, -1
	s_cbranch_vccnz .LBB541_3
; %bb.1:
	s_cmp_lg_u64 s[12:13], 0
	s_cbranch_scc0 .LBB541_33
; %bb.2:
	s_waitcnt lgkmcnt(0)
	v_cmp_neq_f64_e64 s0, s[44:45], 0
	v_cmp_neq_f64_e64 s1, s[46:47], 0
	s_or_b32 s0, s0, s1
.LBB541_3:
	s_and_b32 vcc_lo, exec_lo, s0
	s_cbranch_vccz .LBB541_34
; %bb.4:
	s_waitcnt lgkmcnt(0)
	v_cmp_eq_f64_e64 s11, s[44:45], 0
	v_cmp_eq_f64_e64 s14, s[46:47], 0
	s_mov_b32 s9, 0
	v_mov_b32_e32 v20, 0
	s_lshl_b64 s[0:1], s[8:9], 3
	v_mov_b32_e32 v22, 0
	s_add_u32 s2, s38, s0
	s_addc_u32 s3, s39, s1
	s_load_dword s8, s[4:5], 0x0
	s_load_dwordx2 s[2:3], s[2:3], 0x0
	v_cmp_lt_i64_e64 s4, s[12:13], 1
	v_mov_b32_e32 v16, 0
	v_mov_b32_e32 v18, 0
	;; [unrolled: 1-line block ×13, first 2 shown]
	s_and_b32 s5, s11, s14
	v_mov_b32_e32 v7, 0
	s_or_b32 s4, s5, s4
	s_lshl_b32 s6, s6, 5
	s_and_b32 vcc_lo, exec_lo, s4
	s_lshl_b32 s7, s7, 5
	s_cbranch_vccnz .LBB541_17
; %bb.5:
	s_add_u32 s4, s22, s0
	s_addc_u32 s5, s23, s1
	v_lshl_add_u32 v3, v1, 4, v0
	s_load_dwordx2 s[4:5], s[4:5], 0x0
	s_lshl_b64 s[14:15], s[26:27], 4
	v_and_b32_e32 v24, 7, v0
	v_mov_b32_e32 v6, 0
	v_lshrrev_b32_e32 v5, 3, v3
	v_and_b32_e32 v10, 31, v3
	v_lshrrev_b32_e32 v27, 5, v3
	v_lshlrev_b32_e32 v11, 4, v24
	v_mov_b32_e32 v8, 0
	v_add_nc_u32_e32 v2, s7, v5
	v_or_b32_e32 v4, s6, v10
	v_lshlrev_b32_e32 v10, 4, v10
	v_lshl_or_b32 v29, v5, 7, v11
	v_mov_b32_e32 v12, 0
	v_ashrrev_i32_e32 v3, 31, v2
	v_ashrrev_i32_e32 v5, 31, v4
	v_lshl_or_b32 v28, v27, 9, v10
	s_waitcnt lgkmcnt(0)
	v_cmp_gt_i32_e32 vcc_lo, s8, v2
	v_mov_b32_e32 v14, 0
	v_lshlrev_b64 v[10:11], 4, v[2:3]
	s_add_u32 s11, s4, s14
	s_addc_u32 s22, s5, s15
	s_add_u32 s0, s16, s0
	s_addc_u32 s1, s17, s1
	v_lshlrev_b64 v[2:3], 4, v[4:5]
	s_load_dwordx2 s[4:5], s[0:1], 0x0
	s_lshl_b64 s[14:15], s[20:21], 4
	v_add_co_u32 v30, s1, s11, v10
	v_add_co_ci_u32_e64 v31, null, s22, v11, s1
	v_mov_b32_e32 v18, 0
	v_mov_b32_e32 v16, 0
	;; [unrolled: 1-line block ×4, first 2 shown]
	v_lshlrev_b32_e32 v25, 4, v0
	v_lshl_add_u32 v26, v1, 7, 0x1000
	v_mov_b32_e32 v7, 0
	v_mov_b32_e32 v9, 0
	;; [unrolled: 1-line block ×8, first 2 shown]
	s_waitcnt lgkmcnt(0)
	s_add_u32 s1, s4, s14
	s_addc_u32 s4, s5, s15
	v_add_co_u32 v32, s1, s1, v2
	v_cmp_gt_i32_e64 s0, s8, v4
	v_cmp_le_i32_e64 s9, s8, v4
	v_add_nc_u32_e32 v29, 0x1000, v29
	v_add_co_ci_u32_e64 v33, null, s4, v3, s1
	v_mov_b32_e32 v3, 0
	s_mov_b64 s[4:5], 0
	s_xor_b32 s1, vcc_lo, -1
                                        ; implicit-def: $vgpr10_vgpr11
	s_branch .LBB541_7
.LBB541_6:                              ;   in Loop: Header=BB541_7 Depth=1
	s_or_b32 exec_lo, exec_lo, s11
	s_waitcnt lgkmcnt(0)
	s_barrier
	buffer_gl0_inv
	ds_read_b128 v[34:37], v26
	ds_read_b128 v[38:41], v25
	ds_read_b128 v[42:45], v25 offset:256
	ds_read_b128 v[46:49], v26 offset:2048
	;; [unrolled: 1-line block ×16, first 2 shown]
	s_add_u32 s4, s4, 8
	s_addc_u32 s5, s5, 0
	v_cmp_gt_i64_e64 s11, s[12:13], s[4:5]
	s_waitcnt lgkmcnt(16)
	v_mul_f64 v[4:5], v[36:37], v[40:41]
	v_mul_f64 v[106:107], v[34:35], v[40:41]
	s_waitcnt lgkmcnt(15)
	v_mul_f64 v[108:109], v[36:37], v[44:45]
	v_mul_f64 v[110:111], v[34:35], v[44:45]
	;; [unrolled: 3-line block ×3, first 2 shown]
	v_mul_f64 v[114:115], v[48:49], v[44:45]
	v_mul_f64 v[44:45], v[46:47], v[44:45]
	s_waitcnt lgkmcnt(12)
	v_mul_f64 v[116:117], v[52:53], v[56:57]
	v_mul_f64 v[118:119], v[50:51], v[56:57]
	s_waitcnt lgkmcnt(11)
	;; [unrolled: 3-line block ×3, first 2 shown]
	v_mul_f64 v[124:125], v[64:65], v[56:57]
	v_mul_f64 v[56:57], v[62:63], v[56:57]
	;; [unrolled: 1-line block ×4, first 2 shown]
	s_waitcnt lgkmcnt(7)
	v_mul_f64 v[132:133], v[76:77], v[68:69]
	v_mul_f64 v[134:135], v[74:75], v[68:69]
	;; [unrolled: 1-line block ×4, first 2 shown]
	s_and_b32 vcc_lo, exec_lo, s11
	v_fma_f64 v[4:5], v[34:35], v[38:39], -v[4:5]
	v_fma_f64 v[106:107], v[36:37], v[38:39], v[106:107]
	v_fma_f64 v[108:109], v[34:35], v[42:43], -v[108:109]
	v_fma_f64 v[110:111], v[36:37], v[42:43], v[110:111]
	;; [unrolled: 2-line block ×8, first 2 shown]
	s_waitcnt lgkmcnt(5)
	v_mul_f64 v[60:61], v[84:85], v[68:69]
	v_mul_f64 v[64:65], v[84:85], v[72:73]
	s_waitcnt lgkmcnt(3)
	v_mul_f64 v[126:127], v[88:89], v[92:93]
	ds_read_b128 v[34:37], v26 offset:64
	ds_read_b128 v[38:41], v26 offset:80
	;; [unrolled: 1-line block ×6, first 2 shown]
	v_add_f64 v[4:5], v[20:21], v[4:5]
	v_add_f64 v[20:21], v[106:107], v[22:23]
	;; [unrolled: 1-line block ×3, first 2 shown]
	v_mul_f64 v[22:23], v[82:83], v[68:69]
	v_add_f64 v[18:19], v[110:111], v[18:19]
	v_add_f64 v[14:15], v[14:15], v[112:113]
	v_mul_f64 v[68:69], v[82:83], v[72:73]
	v_add_f64 v[12:13], v[128:129], v[12:13]
	v_add_f64 v[8:9], v[8:9], v[114:115]
	;; [unrolled: 1-line block ×3, first 2 shown]
	v_mul_f64 v[72:73], v[80:81], v[92:93]
	v_mul_f64 v[106:107], v[78:79], v[92:93]
	s_waitcnt lgkmcnt(8)
	v_mul_f64 v[108:109], v[80:81], v[96:97]
	v_mul_f64 v[110:111], v[78:79], v[96:97]
	v_fma_f64 v[112:113], v[74:75], v[66:67], -v[132:133]
	v_fma_f64 v[114:115], v[76:77], v[66:67], v[134:135]
	v_fma_f64 v[74:75], v[74:75], v[70:71], -v[136:137]
	v_fma_f64 v[76:77], v[76:77], v[70:71], v[140:141]
	v_mul_f64 v[92:93], v[86:87], v[92:93]
	v_mul_f64 v[128:129], v[88:89], v[96:97]
	v_fma_f64 v[60:61], v[82:83], v[66:67], -v[60:61]
	v_mul_f64 v[96:97], v[86:87], v[96:97]
	v_add_f64 v[4:5], v[4:5], v[116:117]
	v_add_f64 v[20:21], v[118:119], v[20:21]
	;; [unrolled: 1-line block ×3, first 2 shown]
	v_fma_f64 v[22:23], v[84:85], v[66:67], v[22:23]
	v_add_f64 v[18:19], v[122:123], v[18:19]
	v_add_f64 v[14:15], v[14:15], v[124:125]
	v_fma_f64 v[64:65], v[82:83], v[70:71], -v[64:65]
	v_add_f64 v[12:13], v[138:139], v[12:13]
	v_add_f64 v[8:9], v[8:9], v[62:63]
	v_fma_f64 v[66:67], v[84:85], v[70:71], v[68:69]
	v_add_f64 v[6:7], v[58:59], v[6:7]
	s_waitcnt lgkmcnt(5)
	v_mul_f64 v[116:117], v[36:37], v[100:101]
	v_mul_f64 v[118:119], v[34:35], v[100:101]
	;; [unrolled: 1-line block ×4, first 2 shown]
	s_waitcnt lgkmcnt(1)
	v_mul_f64 v[62:63], v[52:53], v[100:101]
	v_fma_f64 v[68:69], v[78:79], v[90:91], -v[72:73]
	v_fma_f64 v[70:71], v[80:81], v[90:91], v[106:107]
	v_fma_f64 v[72:73], v[78:79], v[94:95], -v[108:109]
	v_fma_f64 v[78:79], v[80:81], v[94:95], v[110:111]
	;; [unrolled: 2-line block ×3, first 2 shown]
	v_add_f64 v[4:5], v[4:5], v[112:113]
	v_add_f64 v[20:21], v[114:115], v[20:21]
	;; [unrolled: 1-line block ×3, first 2 shown]
	v_mul_f64 v[74:75], v[52:53], v[104:105]
	v_add_f64 v[18:19], v[76:77], v[18:19]
	v_add_f64 v[14:15], v[14:15], v[60:61]
	v_mul_f64 v[60:61], v[50:51], v[100:101]
	v_mul_f64 v[76:77], v[50:51], v[104:105]
	v_fma_f64 v[86:87], v[86:87], v[94:95], -v[128:129]
	v_add_f64 v[12:13], v[22:23], v[12:13]
	v_add_f64 v[8:9], v[8:9], v[64:65]
	v_fma_f64 v[88:89], v[88:89], v[94:95], v[96:97]
	v_add_f64 v[66:67], v[66:67], v[6:7]
	v_mul_f64 v[80:81], v[40:41], v[44:45]
	v_mul_f64 v[82:83], v[38:39], v[44:45]
	;; [unrolled: 1-line block ×3, first 2 shown]
	v_fma_f64 v[90:91], v[34:35], v[98:99], -v[116:117]
	v_fma_f64 v[92:93], v[36:37], v[98:99], v[118:119]
	v_fma_f64 v[34:35], v[34:35], v[102:103], -v[120:121]
	v_fma_f64 v[36:37], v[36:37], v[102:103], v[122:123]
	v_fma_f64 v[62:63], v[50:51], v[98:99], -v[62:63]
	v_mul_f64 v[94:95], v[38:39], v[48:49]
	v_add_f64 v[68:69], v[4:5], v[68:69]
	v_add_f64 v[70:71], v[70:71], v[20:21]
	;; [unrolled: 1-line block ×3, first 2 shown]
	s_waitcnt lgkmcnt(0)
	v_mul_f64 v[96:97], v[56:57], v[44:45]
	v_add_f64 v[78:79], v[78:79], v[18:19]
	v_add_f64 v[58:59], v[14:15], v[58:59]
	v_mul_f64 v[44:45], v[54:55], v[44:45]
	v_mul_f64 v[100:101], v[56:57], v[48:49]
	;; [unrolled: 1-line block ×3, first 2 shown]
	v_fma_f64 v[60:61], v[52:53], v[98:99], v[60:61]
	v_fma_f64 v[50:51], v[50:51], v[102:103], -v[74:75]
	v_add_f64 v[74:75], v[84:85], v[12:13]
	v_add_f64 v[8:9], v[8:9], v[86:87]
	v_fma_f64 v[52:53], v[52:53], v[102:103], v[76:77]
	v_add_f64 v[66:67], v[88:89], v[66:67]
	ds_read_b128 v[4:7], v26 offset:96
	ds_read_b128 v[12:15], v25 offset:3072
	;; [unrolled: 1-line block ×4, first 2 shown]
	v_fma_f64 v[76:77], v[38:39], v[42:43], -v[80:81]
	v_fma_f64 v[64:65], v[38:39], v[46:47], -v[64:65]
	v_fma_f64 v[80:81], v[40:41], v[46:47], v[94:95]
	v_add_f64 v[68:69], v[68:69], v[90:91]
	v_add_f64 v[70:71], v[92:93], v[70:71]
	v_add_f64 v[72:73], v[72:73], v[34:35]
	v_add_f64 v[78:79], v[36:37], v[78:79]
	v_add_f64 v[58:59], v[58:59], v[62:63]
	v_fma_f64 v[62:63], v[40:41], v[42:43], v[82:83]
	v_fma_f64 v[82:83], v[54:55], v[42:43], -v[96:97]
	v_fma_f64 v[84:85], v[56:57], v[42:43], v[44:45]
	v_fma_f64 v[54:55], v[54:55], v[46:47], -v[100:101]
	v_fma_f64 v[56:57], v[56:57], v[46:47], v[48:49]
	v_add_f64 v[60:61], v[60:61], v[74:75]
	v_add_f64 v[8:9], v[8:9], v[50:51]
	s_waitcnt lgkmcnt(2)
	v_mul_f64 v[50:51], v[6:7], v[14:15]
	v_mul_f64 v[74:75], v[4:5], v[14:15]
	s_waitcnt lgkmcnt(1)
	v_mul_f64 v[86:87], v[6:7], v[18:19]
	v_mul_f64 v[88:89], v[4:5], v[18:19]
	;; [unrolled: 3-line block ×3, first 2 shown]
	v_mul_f64 v[92:93], v[22:23], v[18:19]
	v_add_f64 v[52:53], v[52:53], v[66:67]
	v_mul_f64 v[18:19], v[20:21], v[18:19]
	ds_read_b128 v[34:37], v26 offset:112
	ds_read_b128 v[38:41], v26 offset:2160
	;; [unrolled: 1-line block ×4, first 2 shown]
	v_add_f64 v[66:67], v[68:69], v[76:77]
	v_add_f64 v[64:65], v[72:73], v[64:65]
	;; [unrolled: 1-line block ×5, first 2 shown]
	s_waitcnt lgkmcnt(0)
	s_barrier
	buffer_gl0_inv
	v_add_f64 v[60:61], v[84:85], v[60:61]
	v_add_f64 v[8:9], v[8:9], v[54:55]
	v_fma_f64 v[50:51], v[4:5], v[12:13], -v[50:51]
	v_fma_f64 v[54:55], v[6:7], v[12:13], v[74:75]
	v_fma_f64 v[4:5], v[4:5], v[16:17], -v[86:87]
	v_fma_f64 v[6:7], v[6:7], v[16:17], v[88:89]
	;; [unrolled: 2-line block ×3, first 2 shown]
	v_fma_f64 v[14:15], v[20:21], v[16:17], -v[92:93]
	v_add_f64 v[20:21], v[56:57], v[52:53]
	v_fma_f64 v[16:17], v[22:23], v[16:17], v[18:19]
	v_mul_f64 v[18:19], v[36:37], v[44:45]
	v_mul_f64 v[22:23], v[34:35], v[44:45]
	;; [unrolled: 1-line block ×8, first 2 shown]
	v_add_f64 v[50:51], v[66:67], v[50:51]
	v_add_f64 v[54:55], v[54:55], v[62:63]
	;; [unrolled: 1-line block ×8, first 2 shown]
	v_fma_f64 v[14:15], v[34:35], v[42:43], -v[18:19]
	v_fma_f64 v[16:17], v[36:37], v[42:43], v[22:23]
	v_fma_f64 v[18:19], v[34:35], v[46:47], -v[52:53]
	v_fma_f64 v[34:35], v[36:37], v[46:47], v[56:57]
	;; [unrolled: 2-line block ×4, first 2 shown]
	v_add_f64 v[20:21], v[50:51], v[14:15]
	v_add_f64 v[22:23], v[16:17], v[54:55]
	;; [unrolled: 1-line block ×8, first 2 shown]
	s_cbranch_vccz .LBB541_17
.LBB541_7:                              ; =>This Inner Loop Header: Depth=1
	s_mov_b32 s15, s9
	s_mov_b32 s11, 0
	s_and_saveexec_b32 s14, s0
	s_cbranch_execnz .LBB541_15
; %bb.8:                                ;   in Loop: Header=BB541_7 Depth=1
	s_or_b32 exec_lo, exec_lo, s14
	s_and_saveexec_b32 s14, s15
	s_xor_b32 s14, exec_lo, s14
	s_cbranch_execnz .LBB541_16
.LBB541_9:                              ;   in Loop: Header=BB541_7 Depth=1
	s_or_b32 exec_lo, exec_lo, s14
	s_and_saveexec_b32 s14, s11
	s_cbranch_execz .LBB541_11
.LBB541_10:                             ;   in Loop: Header=BB541_7 Depth=1
	v_mul_lo_u32 v2, s19, v10
	v_mul_lo_u32 v34, s18, v11
	v_mad_u64_u32 v[4:5], null, s18, v10, 0
	v_add3_u32 v5, v5, v34, v2
	v_lshlrev_b64 v[4:5], 4, v[4:5]
	v_add_co_u32 v4, vcc_lo, v32, v4
	v_add_co_ci_u32_e64 v5, null, v33, v5, vcc_lo
	flat_load_dwordx4 v[34:37], v[4:5]
	s_waitcnt vmcnt(0) lgkmcnt(0)
	ds_write2_b64 v28, v[34:35], v[36:37] offset1:1
.LBB541_11:                             ;   in Loop: Header=BB541_7 Depth=1
	s_or_b32 exec_lo, exec_lo, s14
	v_add_nc_u32_e32 v2, s4, v24
	v_cmp_le_u64_e32 vcc_lo, s[12:13], v[2:3]
	s_or_b32 s11, vcc_lo, s1
	s_and_saveexec_b32 s14, s11
	s_xor_b32 s11, exec_lo, s14
	s_cbranch_execz .LBB541_13
; %bb.12:                               ;   in Loop: Header=BB541_7 Depth=1
	v_mov_b32_e32 v2, v3
	v_mov_b32_e32 v4, v3
	;; [unrolled: 1-line block ×3, first 2 shown]
	ds_write_b128 v29, v[2:5]
.LBB541_13:                             ;   in Loop: Header=BB541_7 Depth=1
	s_andn2_saveexec_b32 s11, s11
	s_cbranch_execz .LBB541_6
; %bb.14:                               ;   in Loop: Header=BB541_7 Depth=1
	v_mad_u64_u32 v[4:5], null, s24, v2, 0
	v_mad_u64_u32 v[34:35], null, s25, v2, v[5:6]
	v_mov_b32_e32 v5, v34
	v_lshlrev_b64 v[4:5], 4, v[4:5]
	v_add_co_u32 v4, vcc_lo, v30, v4
	v_add_co_ci_u32_e64 v5, null, v31, v5, vcc_lo
	flat_load_dwordx4 v[34:37], v[4:5]
	s_waitcnt vmcnt(0) lgkmcnt(0)
	ds_write2_b64 v29, v[34:35], v[36:37] offset1:1
	s_branch .LBB541_6
.LBB541_15:                             ;   in Loop: Header=BB541_7 Depth=1
	v_add_nc_u32_e32 v2, s4, v27
	v_mov_b32_e32 v11, v3
	s_andn2_b32 s15, s9, exec_lo
	s_mov_b32 s11, exec_lo
	v_cmp_le_u64_e32 vcc_lo, s[12:13], v[2:3]
	v_mov_b32_e32 v10, v2
	s_and_b32 s16, vcc_lo, exec_lo
	s_or_b32 s15, s15, s16
	s_or_b32 exec_lo, exec_lo, s14
	s_and_saveexec_b32 s14, s15
	s_xor_b32 s14, exec_lo, s14
	s_cbranch_execz .LBB541_9
.LBB541_16:                             ;   in Loop: Header=BB541_7 Depth=1
	v_mov_b32_e32 v2, v3
	v_mov_b32_e32 v4, v3
	;; [unrolled: 1-line block ×3, first 2 shown]
	s_andn2_b32 s11, s11, exec_lo
	ds_write_b128 v28, v[2:5]
	s_or_b32 exec_lo, exec_lo, s14
	s_and_saveexec_b32 s14, s11
	s_cbranch_execnz .LBB541_10
	s_branch .LBB541_11
.LBB541_17:
	v_add_nc_u32_e32 v25, s7, v1
	v_cmp_neq_f64_e64 s4, s[28:29], 0
	s_lshl_b64 s[0:1], s[42:43], 4
	s_waitcnt lgkmcnt(0)
	s_add_u32 s2, s2, s0
	v_ashrrev_i32_e32 v3, 31, v25
	v_mul_lo_u32 v4, s41, v25
	v_mad_u64_u32 v[1:2], null, s40, v25, 0
	s_addc_u32 s3, s3, s1
	v_mul_lo_u32 v3, s40, v3
	s_xor_b32 s5, s10, -1
	v_cmp_gt_i32_e64 s0, s8, v25
	v_add3_u32 v2, v2, v3, v4
	v_add_nc_u32_e32 v4, s6, v0
	s_or_b32 s4, s4, s5
	v_lshlrev_b64 v[0:1], 4, v[1:2]
	v_cmp_le_i32_e32 vcc_lo, v4, v25
	v_ashrrev_i32_e32 v5, 31, v4
	v_cndmask_b32_e64 v24, 0, 1, s4
	s_and_b32 s5, s0, vcc_lo
	v_add_co_u32 v26, s1, s2, v0
	v_add_co_ci_u32_e64 v27, null, s3, v1, s1
	s_and_saveexec_b32 s1, s5
	s_cbranch_execz .LBB541_21
; %bb.18:
	v_mul_f64 v[0:1], s[46:47], v[22:23]
	v_mul_f64 v[2:3], s[44:45], v[22:23]
	v_lshlrev_b64 v[10:11], 4, v[4:5]
	v_add_co_u32 v10, vcc_lo, v26, v10
	v_add_co_ci_u32_e64 v11, null, v27, v11, vcc_lo
	s_andn2_b32 vcc_lo, exec_lo, s4
	v_fma_f64 v[0:1], s[44:45], v[20:21], -v[0:1]
	v_fma_f64 v[2:3], s[46:47], v[20:21], v[2:3]
	s_cbranch_vccnz .LBB541_20
; %bb.19:
	flat_load_dwordx4 v[20:23], v[10:11]
	s_waitcnt vmcnt(0) lgkmcnt(0)
	v_mul_f64 v[28:29], s[30:31], v[22:23]
	v_mul_f64 v[22:23], s[28:29], v[22:23]
	v_fma_f64 v[28:29], s[28:29], v[20:21], -v[28:29]
	v_fma_f64 v[20:21], s[30:31], v[20:21], v[22:23]
	v_add_f64 v[0:1], v[0:1], v[28:29]
	v_add_f64 v[2:3], v[2:3], v[20:21]
.LBB541_20:
	flat_store_dwordx4 v[10:11], v[0:3]
.LBB541_21:
	s_or_b32 exec_lo, exec_lo, s1
	v_add_nc_u32_e32 v10, 16, v4
	v_cmp_le_i32_e32 vcc_lo, v10, v25
	v_ashrrev_i32_e32 v11, 31, v10
	s_and_b32 s0, s0, vcc_lo
	s_and_saveexec_b32 s1, s0
	s_cbranch_execz .LBB541_25
; %bb.22:
	v_mul_f64 v[0:1], s[46:47], v[18:19]
	v_mul_f64 v[2:3], s[44:45], v[18:19]
	v_cmp_ne_u32_e32 vcc_lo, 1, v24
	s_and_b32 vcc_lo, exec_lo, vcc_lo
	v_fma_f64 v[0:1], s[44:45], v[16:17], -v[0:1]
	v_fma_f64 v[2:3], s[46:47], v[16:17], v[2:3]
	v_lshlrev_b64 v[16:17], 4, v[10:11]
	v_add_co_u32 v16, s0, v26, v16
	v_add_co_ci_u32_e64 v17, null, v27, v17, s0
	s_cbranch_vccnz .LBB541_24
; %bb.23:
	flat_load_dwordx4 v[18:21], v[16:17]
	s_waitcnt vmcnt(0) lgkmcnt(0)
	v_mul_f64 v[22:23], s[30:31], v[20:21]
	v_mul_f64 v[20:21], s[28:29], v[20:21]
	v_fma_f64 v[22:23], s[28:29], v[18:19], -v[22:23]
	v_fma_f64 v[18:19], s[30:31], v[18:19], v[20:21]
	v_add_f64 v[0:1], v[0:1], v[22:23]
	v_add_f64 v[2:3], v[2:3], v[18:19]
.LBB541_24:
	flat_store_dwordx4 v[16:17], v[0:3]
.LBB541_25:
	s_or_b32 exec_lo, exec_lo, s1
	v_add_nc_u32_e32 v18, 16, v25
	v_ashrrev_i32_e32 v2, 31, v18
	v_mul_lo_u32 v3, s41, v18
	v_mad_u64_u32 v[0:1], null, s40, v18, 0
	v_cmp_gt_i32_e64 s0, s8, v18
	v_mul_lo_u32 v2, s40, v2
	v_cmp_le_i32_e32 vcc_lo, v4, v18
	v_add3_u32 v1, v1, v2, v3
	v_lshlrev_b64 v[0:1], 4, v[0:1]
	v_add_co_u32 v16, s1, s2, v0
	v_add_co_ci_u32_e64 v17, null, s3, v1, s1
	s_and_b32 s1, s0, vcc_lo
	s_and_saveexec_b32 s2, s1
	s_cbranch_execz .LBB541_29
; %bb.26:
	v_mul_f64 v[0:1], s[46:47], v[12:13]
	v_mul_f64 v[2:3], s[44:45], v[12:13]
	v_lshlrev_b64 v[4:5], 4, v[4:5]
	v_cmp_ne_u32_e32 vcc_lo, 1, v24
	s_and_b32 vcc_lo, exec_lo, vcc_lo
	v_add_co_u32 v4, s1, v16, v4
	v_add_co_ci_u32_e64 v5, null, v17, v5, s1
	v_fma_f64 v[0:1], s[44:45], v[14:15], -v[0:1]
	v_fma_f64 v[2:3], s[46:47], v[14:15], v[2:3]
	s_cbranch_vccnz .LBB541_28
; %bb.27:
	flat_load_dwordx4 v[12:15], v[4:5]
	s_waitcnt vmcnt(0) lgkmcnt(0)
	v_mul_f64 v[19:20], s[30:31], v[14:15]
	v_mul_f64 v[14:15], s[28:29], v[14:15]
	v_fma_f64 v[19:20], s[28:29], v[12:13], -v[19:20]
	v_fma_f64 v[12:13], s[30:31], v[12:13], v[14:15]
	v_add_f64 v[0:1], v[0:1], v[19:20]
	v_add_f64 v[2:3], v[2:3], v[12:13]
.LBB541_28:
	flat_store_dwordx4 v[4:5], v[0:3]
.LBB541_29:
	s_or_b32 exec_lo, exec_lo, s2
	v_cmp_le_i32_e32 vcc_lo, v10, v18
	s_and_b32 s0, s0, vcc_lo
	s_and_saveexec_b32 s1, s0
	s_cbranch_execz .LBB541_34
; %bb.30:
	v_mul_f64 v[0:1], s[46:47], v[6:7]
	v_mul_f64 v[2:3], s[44:45], v[6:7]
	v_lshlrev_b64 v[4:5], 4, v[10:11]
	v_cmp_ne_u32_e32 vcc_lo, 1, v24
	s_and_b32 vcc_lo, exec_lo, vcc_lo
	v_add_co_u32 v4, s0, v16, v4
	v_add_co_ci_u32_e64 v5, null, v17, v5, s0
	v_fma_f64 v[0:1], s[44:45], v[8:9], -v[0:1]
	v_fma_f64 v[2:3], s[46:47], v[8:9], v[2:3]
	s_cbranch_vccnz .LBB541_32
; %bb.31:
	flat_load_dwordx4 v[6:9], v[4:5]
	s_waitcnt vmcnt(0) lgkmcnt(0)
	v_mul_f64 v[10:11], s[30:31], v[8:9]
	v_mul_f64 v[8:9], s[28:29], v[8:9]
	v_fma_f64 v[10:11], s[28:29], v[6:7], -v[10:11]
	v_fma_f64 v[6:7], s[30:31], v[6:7], v[8:9]
	v_add_f64 v[0:1], v[0:1], v[10:11]
	v_add_f64 v[2:3], v[2:3], v[6:7]
.LBB541_32:
	flat_store_dwordx4 v[4:5], v[0:3]
	s_endpgm
.LBB541_33:
.LBB541_34:
	s_endpgm
	.section	.rodata,"a",@progbits
	.p2align	6, 0x0
	.amdhsa_kernel _ZL29rocblas_internal_gemmt_kernelIlLi16ELi32ELi8ELc78ELc84ELc85ELb0ELb0E19rocblas_complex_numIdEPKS1_PKS3_PKPS1_EviT_T9_T10_S9_lSB_S9_lSA_T11_S9_li
		.amdhsa_group_segment_fixed_size 8192
		.amdhsa_private_segment_fixed_size 0
		.amdhsa_kernarg_size 108
		.amdhsa_user_sgpr_count 6
		.amdhsa_user_sgpr_private_segment_buffer 1
		.amdhsa_user_sgpr_dispatch_ptr 0
		.amdhsa_user_sgpr_queue_ptr 0
		.amdhsa_user_sgpr_kernarg_segment_ptr 1
		.amdhsa_user_sgpr_dispatch_id 0
		.amdhsa_user_sgpr_flat_scratch_init 0
		.amdhsa_user_sgpr_private_segment_size 0
		.amdhsa_wavefront_size32 1
		.amdhsa_uses_dynamic_stack 0
		.amdhsa_system_sgpr_private_segment_wavefront_offset 0
		.amdhsa_system_sgpr_workgroup_id_x 1
		.amdhsa_system_sgpr_workgroup_id_y 1
		.amdhsa_system_sgpr_workgroup_id_z 1
		.amdhsa_system_sgpr_workgroup_info 0
		.amdhsa_system_vgpr_workitem_id 1
		.amdhsa_next_free_vgpr 142
		.amdhsa_next_free_sgpr 48
		.amdhsa_reserve_vcc 1
		.amdhsa_reserve_flat_scratch 0
		.amdhsa_float_round_mode_32 0
		.amdhsa_float_round_mode_16_64 0
		.amdhsa_float_denorm_mode_32 3
		.amdhsa_float_denorm_mode_16_64 3
		.amdhsa_dx10_clamp 1
		.amdhsa_ieee_mode 1
		.amdhsa_fp16_overflow 0
		.amdhsa_workgroup_processor_mode 1
		.amdhsa_memory_ordered 1
		.amdhsa_forward_progress 1
		.amdhsa_shared_vgpr_count 0
		.amdhsa_exception_fp_ieee_invalid_op 0
		.amdhsa_exception_fp_denorm_src 0
		.amdhsa_exception_fp_ieee_div_zero 0
		.amdhsa_exception_fp_ieee_overflow 0
		.amdhsa_exception_fp_ieee_underflow 0
		.amdhsa_exception_fp_ieee_inexact 0
		.amdhsa_exception_int_div_zero 0
	.end_amdhsa_kernel
	.section	.text._ZL29rocblas_internal_gemmt_kernelIlLi16ELi32ELi8ELc78ELc84ELc85ELb0ELb0E19rocblas_complex_numIdEPKS1_PKS3_PKPS1_EviT_T9_T10_S9_lSB_S9_lSA_T11_S9_li,"axG",@progbits,_ZL29rocblas_internal_gemmt_kernelIlLi16ELi32ELi8ELc78ELc84ELc85ELb0ELb0E19rocblas_complex_numIdEPKS1_PKS3_PKPS1_EviT_T9_T10_S9_lSB_S9_lSA_T11_S9_li,comdat
.Lfunc_end541:
	.size	_ZL29rocblas_internal_gemmt_kernelIlLi16ELi32ELi8ELc78ELc84ELc85ELb0ELb0E19rocblas_complex_numIdEPKS1_PKS3_PKPS1_EviT_T9_T10_S9_lSB_S9_lSA_T11_S9_li, .Lfunc_end541-_ZL29rocblas_internal_gemmt_kernelIlLi16ELi32ELi8ELc78ELc84ELc85ELb0ELb0E19rocblas_complex_numIdEPKS1_PKS3_PKPS1_EviT_T9_T10_S9_lSB_S9_lSA_T11_S9_li
                                        ; -- End function
	.set _ZL29rocblas_internal_gemmt_kernelIlLi16ELi32ELi8ELc78ELc84ELc85ELb0ELb0E19rocblas_complex_numIdEPKS1_PKS3_PKPS1_EviT_T9_T10_S9_lSB_S9_lSA_T11_S9_li.num_vgpr, 142
	.set _ZL29rocblas_internal_gemmt_kernelIlLi16ELi32ELi8ELc78ELc84ELc85ELb0ELb0E19rocblas_complex_numIdEPKS1_PKS3_PKPS1_EviT_T9_T10_S9_lSB_S9_lSA_T11_S9_li.num_agpr, 0
	.set _ZL29rocblas_internal_gemmt_kernelIlLi16ELi32ELi8ELc78ELc84ELc85ELb0ELb0E19rocblas_complex_numIdEPKS1_PKS3_PKPS1_EviT_T9_T10_S9_lSB_S9_lSA_T11_S9_li.numbered_sgpr, 48
	.set _ZL29rocblas_internal_gemmt_kernelIlLi16ELi32ELi8ELc78ELc84ELc85ELb0ELb0E19rocblas_complex_numIdEPKS1_PKS3_PKPS1_EviT_T9_T10_S9_lSB_S9_lSA_T11_S9_li.num_named_barrier, 0
	.set _ZL29rocblas_internal_gemmt_kernelIlLi16ELi32ELi8ELc78ELc84ELc85ELb0ELb0E19rocblas_complex_numIdEPKS1_PKS3_PKPS1_EviT_T9_T10_S9_lSB_S9_lSA_T11_S9_li.private_seg_size, 0
	.set _ZL29rocblas_internal_gemmt_kernelIlLi16ELi32ELi8ELc78ELc84ELc85ELb0ELb0E19rocblas_complex_numIdEPKS1_PKS3_PKPS1_EviT_T9_T10_S9_lSB_S9_lSA_T11_S9_li.uses_vcc, 1
	.set _ZL29rocblas_internal_gemmt_kernelIlLi16ELi32ELi8ELc78ELc84ELc85ELb0ELb0E19rocblas_complex_numIdEPKS1_PKS3_PKPS1_EviT_T9_T10_S9_lSB_S9_lSA_T11_S9_li.uses_flat_scratch, 0
	.set _ZL29rocblas_internal_gemmt_kernelIlLi16ELi32ELi8ELc78ELc84ELc85ELb0ELb0E19rocblas_complex_numIdEPKS1_PKS3_PKPS1_EviT_T9_T10_S9_lSB_S9_lSA_T11_S9_li.has_dyn_sized_stack, 0
	.set _ZL29rocblas_internal_gemmt_kernelIlLi16ELi32ELi8ELc78ELc84ELc85ELb0ELb0E19rocblas_complex_numIdEPKS1_PKS3_PKPS1_EviT_T9_T10_S9_lSB_S9_lSA_T11_S9_li.has_recursion, 0
	.set _ZL29rocblas_internal_gemmt_kernelIlLi16ELi32ELi8ELc78ELc84ELc85ELb0ELb0E19rocblas_complex_numIdEPKS1_PKS3_PKPS1_EviT_T9_T10_S9_lSB_S9_lSA_T11_S9_li.has_indirect_call, 0
	.section	.AMDGPU.csdata,"",@progbits
; Kernel info:
; codeLenInByte = 3632
; TotalNumSgprs: 50
; NumVgprs: 142
; ScratchSize: 0
; MemoryBound: 0
; FloatMode: 240
; IeeeMode: 1
; LDSByteSize: 8192 bytes/workgroup (compile time only)
; SGPRBlocks: 0
; VGPRBlocks: 17
; NumSGPRsForWavesPerEU: 50
; NumVGPRsForWavesPerEU: 142
; Occupancy: 7
; WaveLimiterHint : 1
; COMPUTE_PGM_RSRC2:SCRATCH_EN: 0
; COMPUTE_PGM_RSRC2:USER_SGPR: 6
; COMPUTE_PGM_RSRC2:TRAP_HANDLER: 0
; COMPUTE_PGM_RSRC2:TGID_X_EN: 1
; COMPUTE_PGM_RSRC2:TGID_Y_EN: 1
; COMPUTE_PGM_RSRC2:TGID_Z_EN: 1
; COMPUTE_PGM_RSRC2:TIDIG_COMP_CNT: 1
	.section	.text._ZL29rocblas_internal_gemmt_kernelIlLi16ELi32ELi8ELc78ELc67ELc85ELb0ELb1E19rocblas_complex_numIdEPKS1_PKS3_PKPS1_EviT_T9_T10_S9_lSB_S9_lSA_T11_S9_li,"axG",@progbits,_ZL29rocblas_internal_gemmt_kernelIlLi16ELi32ELi8ELc78ELc67ELc85ELb0ELb1E19rocblas_complex_numIdEPKS1_PKS3_PKPS1_EviT_T9_T10_S9_lSB_S9_lSA_T11_S9_li,comdat
	.globl	_ZL29rocblas_internal_gemmt_kernelIlLi16ELi32ELi8ELc78ELc67ELc85ELb0ELb1E19rocblas_complex_numIdEPKS1_PKS3_PKPS1_EviT_T9_T10_S9_lSB_S9_lSA_T11_S9_li ; -- Begin function _ZL29rocblas_internal_gemmt_kernelIlLi16ELi32ELi8ELc78ELc67ELc85ELb0ELb1E19rocblas_complex_numIdEPKS1_PKS3_PKPS1_EviT_T9_T10_S9_lSB_S9_lSA_T11_S9_li
	.p2align	8
	.type	_ZL29rocblas_internal_gemmt_kernelIlLi16ELi32ELi8ELc78ELc67ELc85ELb0ELb1E19rocblas_complex_numIdEPKS1_PKS3_PKPS1_EviT_T9_T10_S9_lSB_S9_lSA_T11_S9_li,@function
_ZL29rocblas_internal_gemmt_kernelIlLi16ELi32ELi8ELc78ELc67ELc85ELb0ELb1E19rocblas_complex_numIdEPKS1_PKS3_PKPS1_EviT_T9_T10_S9_lSB_S9_lSA_T11_S9_li: ; @_ZL29rocblas_internal_gemmt_kernelIlLi16ELi32ELi8ELc78ELc67ELc85ELb0ELb1E19rocblas_complex_numIdEPKS1_PKS3_PKPS1_EviT_T9_T10_S9_lSB_S9_lSA_T11_S9_li
; %bb.0:
	s_load_dwordx8 s[36:43], s[4:5], 0x48
	s_waitcnt lgkmcnt(0)
	s_load_dwordx4 s[28:31], s[36:37], 0x0
	s_load_dwordx16 s[12:27], s[4:5], 0x8
	s_waitcnt lgkmcnt(0)
	v_cmp_eq_f64_e64 s0, s[28:29], 1.0
	v_cmp_eq_f64_e64 s10, s[30:31], 0
	s_load_dwordx4 s[44:47], s[14:15], 0x0
	s_and_b32 s0, s0, s10
	s_andn2_b32 vcc_lo, exec_lo, s0
	s_mov_b32 s0, -1
	s_cbranch_vccnz .LBB542_3
; %bb.1:
	s_cmp_lg_u64 s[12:13], 0
	s_cbranch_scc0 .LBB542_31
; %bb.2:
	s_waitcnt lgkmcnt(0)
	v_cmp_neq_f64_e64 s0, s[44:45], 0
	v_cmp_neq_f64_e64 s1, s[46:47], 0
	s_or_b32 s0, s0, s1
.LBB542_3:
	s_and_b32 vcc_lo, exec_lo, s0
	s_cbranch_vccz .LBB542_32
; %bb.4:
	s_waitcnt lgkmcnt(0)
	v_cmp_eq_f64_e64 s11, s[44:45], 0
	v_cmp_eq_f64_e64 s14, s[46:47], 0
	s_mov_b32 s9, 0
	v_mov_b32_e32 v22, 0
	s_lshl_b64 s[0:1], s[8:9], 3
	v_mov_b32_e32 v24, 0
	s_add_u32 s2, s38, s0
	s_addc_u32 s3, s39, s1
	s_load_dword s8, s[4:5], 0x0
	s_load_dwordx2 s[2:3], s[2:3], 0x0
	v_cmp_lt_i64_e64 s4, s[12:13], 1
	v_mov_b32_e32 v18, 0
	v_mov_b32_e32 v20, 0
	;; [unrolled: 1-line block ×13, first 2 shown]
	s_and_b32 s5, s11, s14
	v_mov_b32_e32 v11, 0
	s_or_b32 s4, s5, s4
	s_lshl_b32 s6, s6, 5
	s_and_b32 vcc_lo, exec_lo, s4
	s_lshl_b32 s7, s7, 5
	s_cbranch_vccnz .LBB542_15
; %bb.5:
	s_add_u32 s4, s22, s0
	s_addc_u32 s5, s23, s1
	s_lshl_b64 s[14:15], s[26:27], 4
	s_load_dwordx2 s[4:5], s[4:5], 0x0
	v_lshl_add_u32 v3, v1, 4, v0
	v_and_b32_e32 v26, 7, v0
	v_mov_b32_e32 v10, 0
	v_mov_b32_e32 v12, 0
	;; [unrolled: 1-line block ×3, first 2 shown]
	v_lshrrev_b32_e32 v5, 3, v3
	v_and_b32_e32 v6, 31, v3
	v_lshlrev_b32_e32 v7, 4, v26
	v_lshrrev_b32_e32 v29, 5, v3
	v_mov_b32_e32 v14, 0
	v_add_nc_u32_e32 v2, s7, v5
	v_or_b32_e32 v4, s6, v6
	v_lshlrev_b32_e32 v6, 4, v6
	v_lshl_or_b32 v8, v5, 7, v7
	v_mov_b32_e32 v20, 0
	v_ashrrev_i32_e32 v3, 31, v2
	v_ashrrev_i32_e32 v5, 31, v4
	v_lshl_or_b32 v30, v29, 9, v6
	v_mov_b32_e32 v18, 0
	s_waitcnt lgkmcnt(0)
	s_add_u32 s11, s4, s14
	s_addc_u32 s22, s5, s15
	s_add_u32 s0, s16, s0
	s_addc_u32 s1, s17, s1
	v_lshlrev_b64 v[6:7], 4, v[2:3]
	s_load_dwordx2 s[4:5], s[0:1], 0x0
	v_cmp_gt_i32_e64 s1, s8, v2
	v_lshlrev_b64 v[2:3], 4, v[4:5]
	s_lshl_b64 s[14:15], s[20:21], 4
	v_mov_b32_e32 v24, 0
	v_add_co_u32 v32, vcc_lo, s11, v6
	v_add_co_ci_u32_e64 v33, null, s22, v7, vcc_lo
	v_mov_b32_e32 v22, 0
	v_lshlrev_b32_e32 v27, 4, v0
	v_lshl_add_u32 v28, v1, 7, 0x1000
	v_mov_b32_e32 v11, 0
	v_mov_b32_e32 v13, 0
	;; [unrolled: 1-line block ×8, first 2 shown]
	s_waitcnt lgkmcnt(0)
	s_add_u32 s4, s4, s14
	s_addc_u32 s5, s5, s15
	v_add_co_u32 v34, vcc_lo, s4, v2
	v_cmp_gt_i32_e64 s0, s8, v4
	v_cmp_le_i32_e64 s9, s8, v4
	v_add_nc_u32_e32 v31, 0x1000, v8
	v_add_co_ci_u32_e64 v35, null, s5, v3, vcc_lo
	v_mov_b32_e32 v3, 0
	s_mov_b64 s[4:5], 0
                                        ; implicit-def: $vgpr8_vgpr9
	s_branch .LBB542_7
.LBB542_6:                              ;   in Loop: Header=BB542_7 Depth=1
	s_or_b32 exec_lo, exec_lo, s11
	ds_write_b128 v31, v[4:7]
	s_waitcnt lgkmcnt(0)
	s_barrier
	buffer_gl0_inv
	ds_read_b128 v[4:7], v28
	ds_read_b128 v[36:39], v27
	ds_read_b128 v[40:43], v27 offset:256
	ds_read_b128 v[44:47], v28 offset:2048
	;; [unrolled: 1-line block ×11, first 2 shown]
	s_add_u32 s4, s4, 8
	s_addc_u32 s5, s5, 0
	v_cmp_gt_i64_e64 s11, s[12:13], s[4:5]
	s_waitcnt lgkmcnt(11)
	v_mul_f64 v[84:85], v[6:7], v[38:39]
	v_mul_f64 v[86:87], v[4:5], v[38:39]
	s_waitcnt lgkmcnt(10)
	v_mul_f64 v[88:89], v[6:7], v[42:43]
	v_mul_f64 v[90:91], v[4:5], v[42:43]
	;; [unrolled: 3-line block ×3, first 2 shown]
	v_mul_f64 v[94:95], v[46:47], v[42:43]
	v_mul_f64 v[42:43], v[44:45], v[42:43]
	s_waitcnt lgkmcnt(7)
	v_mul_f64 v[96:97], v[50:51], v[54:55]
	v_mul_f64 v[98:99], v[48:49], v[54:55]
	s_waitcnt lgkmcnt(6)
	v_mul_f64 v[100:101], v[50:51], v[58:59]
	s_waitcnt lgkmcnt(5)
	v_mul_f64 v[104:105], v[62:63], v[54:55]
	v_mul_f64 v[54:55], v[60:61], v[54:55]
	;; [unrolled: 1-line block ×5, first 2 shown]
	s_waitcnt lgkmcnt(3)
	v_mul_f64 v[108:109], v[70:71], v[66:67]
	v_mul_f64 v[110:111], v[68:69], v[66:67]
	s_and_b32 vcc_lo, exec_lo, s11
	v_fma_f64 v[84:85], v[4:5], v[36:37], -v[84:85]
	v_fma_f64 v[86:87], v[6:7], v[36:37], v[86:87]
	v_fma_f64 v[88:89], v[4:5], v[40:41], -v[88:89]
	v_fma_f64 v[90:91], v[6:7], v[40:41], v[90:91]
	;; [unrolled: 2-line block ×3, first 2 shown]
	v_fma_f64 v[94:95], v[44:45], v[40:41], -v[94:95]
	ds_read_b128 v[4:7], v27 offset:1536
	s_waitcnt lgkmcnt(3)
	v_mul_f64 v[112:113], v[70:71], v[74:75]
	v_mul_f64 v[114:115], v[68:69], v[74:75]
	v_fma_f64 v[118:119], v[46:47], v[40:41], v[42:43]
	v_fma_f64 v[96:97], v[48:49], v[52:53], -v[96:97]
	v_fma_f64 v[98:99], v[50:51], v[52:53], v[98:99]
	v_fma_f64 v[48:49], v[48:49], v[56:57], -v[100:101]
	s_waitcnt lgkmcnt(2)
	v_mul_f64 v[44:45], v[78:79], v[66:67]
	v_fma_f64 v[100:101], v[60:61], v[52:53], -v[104:105]
	v_fma_f64 v[52:53], v[62:63], v[52:53], v[54:55]
	v_mul_f64 v[46:47], v[76:77], v[66:67]
	v_mul_f64 v[54:55], v[78:79], v[74:75]
	v_mul_f64 v[66:67], v[76:77], v[74:75]
	v_fma_f64 v[50:51], v[50:51], v[56:57], v[102:103]
	v_fma_f64 v[60:61], v[60:61], v[56:57], -v[106:107]
	v_fma_f64 v[56:57], v[62:63], v[56:57], v[58:59]
	v_fma_f64 v[58:59], v[68:69], v[64:65], -v[108:109]
	v_fma_f64 v[62:63], v[70:71], v[64:65], v[110:111]
	v_add_f64 v[84:85], v[22:23], v[84:85]
	v_add_f64 v[86:87], v[86:87], v[24:25]
	;; [unrolled: 1-line block ×5, first 2 shown]
	v_fma_f64 v[68:69], v[68:69], v[72:73], -v[112:113]
	v_fma_f64 v[70:71], v[70:71], v[72:73], v[114:115]
	v_add_f64 v[106:107], v[116:117], v[16:17]
	ds_read_b128 v[36:39], v27 offset:1792
	ds_read_b128 v[40:43], v28 offset:2096
	s_waitcnt lgkmcnt(2)
	v_mul_f64 v[74:75], v[82:83], v[6:7]
	v_mul_f64 v[102:103], v[80:81], v[6:7]
	v_fma_f64 v[110:111], v[76:77], v[64:65], -v[44:45]
	ds_read_b128 v[14:17], v28 offset:64
	v_fma_f64 v[64:65], v[78:79], v[64:65], v[46:47]
	v_fma_f64 v[76:77], v[76:77], v[72:73], -v[54:55]
	v_fma_f64 v[66:67], v[78:79], v[72:73], v[66:67]
	v_add_f64 v[54:55], v[12:13], v[94:95]
	v_add_f64 v[72:73], v[118:119], v[10:11]
	ds_read_b128 v[18:21], v27 offset:2048
	ds_read_b128 v[22:25], v27 offset:2304
	ds_read_b128 v[44:47], v28 offset:2112
	ds_read_b128 v[10:13], v27 offset:2560
	v_add_f64 v[84:85], v[84:85], v[96:97]
	v_add_f64 v[86:87], v[98:99], v[86:87]
	;; [unrolled: 1-line block ×5, first 2 shown]
	s_waitcnt lgkmcnt(6)
	v_mul_f64 v[104:105], v[82:83], v[38:39]
	v_mul_f64 v[108:109], v[80:81], v[38:39]
	s_waitcnt lgkmcnt(5)
	v_mul_f64 v[112:113], v[42:43], v[6:7]
	v_mul_f64 v[6:7], v[40:41], v[6:7]
	v_add_f64 v[52:53], v[52:53], v[106:107]
	v_mul_f64 v[94:95], v[42:43], v[38:39]
	v_mul_f64 v[38:39], v[40:41], v[38:39]
	v_fma_f64 v[74:75], v[80:81], v[4:5], -v[74:75]
	v_fma_f64 v[78:79], v[82:83], v[4:5], v[102:103]
	ds_read_b128 v[48:51], v28 offset:2128
	s_waitcnt lgkmcnt(4)
	v_mul_f64 v[100:101], v[16:17], v[20:21]
	v_mul_f64 v[102:103], v[14:15], v[20:21]
	v_add_f64 v[60:61], v[54:55], v[60:61]
	v_add_f64 v[56:57], v[56:57], v[72:73]
	s_waitcnt lgkmcnt(3)
	v_mul_f64 v[106:107], v[14:15], v[24:25]
	s_waitcnt lgkmcnt(2)
	v_mul_f64 v[72:73], v[46:47], v[20:21]
	v_mul_f64 v[20:21], v[44:45], v[20:21]
	v_add_f64 v[58:59], v[84:85], v[58:59]
	v_add_f64 v[62:63], v[62:63], v[86:87]
	;; [unrolled: 1-line block ×5, first 2 shown]
	v_fma_f64 v[80:81], v[80:81], v[36:37], -v[104:105]
	v_fma_f64 v[82:83], v[82:83], v[36:37], v[108:109]
	v_fma_f64 v[96:97], v[40:41], v[4:5], -v[112:113]
	v_fma_f64 v[98:99], v[42:43], v[4:5], v[6:7]
	v_mul_f64 v[104:105], v[16:17], v[24:25]
	v_add_f64 v[64:65], v[64:65], v[52:53]
	v_mul_f64 v[86:87], v[46:47], v[24:25]
	v_mul_f64 v[24:25], v[44:45], v[24:25]
	v_fma_f64 v[40:41], v[40:41], v[36:37], -v[94:95]
	v_fma_f64 v[42:43], v[42:43], v[36:37], v[38:39]
	ds_read_b128 v[4:7], v28 offset:80
	ds_read_b128 v[52:55], v27 offset:2816
	v_add_f64 v[60:61], v[60:61], v[76:77]
	v_add_f64 v[56:57], v[66:67], v[56:57]
	v_fma_f64 v[90:91], v[14:15], v[18:19], -v[100:101]
	v_fma_f64 v[92:93], v[16:17], v[18:19], v[102:103]
	v_fma_f64 v[100:101], v[16:17], v[22:23], v[106:107]
	v_fma_f64 v[66:67], v[44:45], v[18:19], -v[72:73]
	v_add_f64 v[58:59], v[58:59], v[74:75]
	v_add_f64 v[62:63], v[78:79], v[62:63]
	v_fma_f64 v[72:73], v[46:47], v[18:19], v[20:21]
	v_add_f64 v[68:69], v[68:69], v[80:81]
	v_add_f64 v[70:71], v[82:83], v[70:71]
	;; [unrolled: 1-line block ×3, first 2 shown]
	s_waitcnt lgkmcnt(2)
	v_mul_f64 v[82:83], v[50:51], v[12:13]
	v_fma_f64 v[94:95], v[14:15], v[22:23], -v[104:105]
	v_add_f64 v[64:65], v[98:99], v[64:65]
	v_fma_f64 v[44:45], v[44:45], v[22:23], -v[86:87]
	v_fma_f64 v[46:47], v[46:47], v[22:23], v[24:25]
	s_waitcnt lgkmcnt(1)
	v_mul_f64 v[88:89], v[6:7], v[12:13]
	v_mul_f64 v[76:77], v[4:5], v[12:13]
	s_waitcnt lgkmcnt(0)
	v_mul_f64 v[78:79], v[6:7], v[54:55]
	v_mul_f64 v[80:81], v[4:5], v[54:55]
	;; [unrolled: 1-line block ×5, first 2 shown]
	v_add_f64 v[40:41], v[60:61], v[40:41]
	v_add_f64 v[42:43], v[42:43], v[56:57]
	ds_read_b128 v[14:17], v28 offset:96
	ds_read_b128 v[18:21], v27 offset:3072
	;; [unrolled: 1-line block ×4, first 2 shown]
	v_add_f64 v[56:57], v[58:59], v[90:91]
	v_add_f64 v[58:59], v[92:93], v[62:63]
	;; [unrolled: 1-line block ×3, first 2 shown]
	v_fma_f64 v[82:83], v[48:49], v[10:11], -v[82:83]
	v_add_f64 v[62:63], v[68:69], v[94:95]
	v_add_f64 v[68:69], v[100:101], v[70:71]
	;; [unrolled: 1-line block ×3, first 2 shown]
	v_fma_f64 v[60:61], v[4:5], v[10:11], -v[88:89]
	v_fma_f64 v[70:71], v[6:7], v[10:11], v[76:77]
	v_fma_f64 v[72:73], v[4:5], v[52:53], -v[78:79]
	v_fma_f64 v[74:75], v[6:7], v[52:53], v[80:81]
	ds_read_b128 v[4:7], v28 offset:112
	v_fma_f64 v[88:89], v[50:51], v[10:11], v[12:13]
	s_waitcnt lgkmcnt(3)
	v_mul_f64 v[76:77], v[16:17], v[20:21]
	v_mul_f64 v[78:79], v[14:15], v[20:21]
	s_waitcnt lgkmcnt(2)
	v_mul_f64 v[80:81], v[16:17], v[38:39]
	v_mul_f64 v[86:87], v[14:15], v[38:39]
	v_fma_f64 v[48:49], v[48:49], v[52:53], -v[84:85]
	v_fma_f64 v[50:51], v[50:51], v[52:53], v[54:55]
	v_add_f64 v[52:53], v[40:41], v[44:45]
	v_add_f64 v[46:47], v[46:47], v[42:43]
	s_waitcnt lgkmcnt(1)
	v_mul_f64 v[54:55], v[24:25], v[20:21]
	v_mul_f64 v[20:21], v[22:23], v[20:21]
	;; [unrolled: 1-line block ×4, first 2 shown]
	ds_read_b128 v[10:13], v28 offset:2160
	ds_read_b128 v[38:41], v27 offset:3584
	;; [unrolled: 1-line block ×3, first 2 shown]
	v_add_f64 v[66:67], v[66:67], v[82:83]
	s_waitcnt lgkmcnt(0)
	v_add_f64 v[56:57], v[56:57], v[60:61]
	v_add_f64 v[58:59], v[70:71], v[58:59]
	;; [unrolled: 1-line block ×4, first 2 shown]
	s_barrier
	v_add_f64 v[64:65], v[88:89], v[64:65]
	v_fma_f64 v[60:61], v[14:15], v[18:19], -v[76:77]
	v_fma_f64 v[70:71], v[16:17], v[18:19], v[78:79]
	v_fma_f64 v[14:15], v[14:15], v[36:37], -v[80:81]
	v_fma_f64 v[16:17], v[16:17], v[36:37], v[86:87]
	buffer_gl0_inv
	v_add_f64 v[48:49], v[52:53], v[48:49]
	v_add_f64 v[46:47], v[50:51], v[46:47]
	v_fma_f64 v[50:51], v[22:23], v[18:19], -v[54:55]
	v_fma_f64 v[18:19], v[24:25], v[18:19], v[20:21]
	v_fma_f64 v[20:21], v[22:23], v[36:37], -v[84:85]
	v_fma_f64 v[22:23], v[24:25], v[36:37], v[90:91]
	v_mul_f64 v[24:25], v[6:7], v[40:41]
	v_mul_f64 v[36:37], v[4:5], v[40:41]
	;; [unrolled: 1-line block ×8, first 2 shown]
	v_add_f64 v[56:57], v[56:57], v[60:61]
	v_add_f64 v[58:59], v[70:71], v[58:59]
	v_add_f64 v[14:15], v[62:63], v[14:15]
	v_add_f64 v[16:17], v[16:17], v[68:69]
	v_add_f64 v[50:51], v[66:67], v[50:51]
	v_add_f64 v[60:61], v[18:19], v[64:65]
	v_add_f64 v[48:49], v[48:49], v[20:21]
	v_add_f64 v[46:47], v[22:23], v[46:47]
	v_fma_f64 v[18:19], v[4:5], v[38:39], -v[24:25]
	v_fma_f64 v[20:21], v[6:7], v[38:39], v[36:37]
	v_fma_f64 v[4:5], v[4:5], v[42:43], -v[52:53]
	v_fma_f64 v[6:7], v[6:7], v[42:43], v[54:55]
	;; [unrolled: 2-line block ×4, first 2 shown]
	v_add_f64 v[22:23], v[56:57], v[18:19]
	v_add_f64 v[24:25], v[20:21], v[58:59]
	;; [unrolled: 1-line block ×8, first 2 shown]
	s_cbranch_vccz .LBB542_15
.LBB542_7:                              ; =>This Inner Loop Header: Depth=1
	s_mov_b32 s15, s9
	s_mov_b32 s11, 0
	s_and_saveexec_b32 s14, s0
	s_cbranch_execnz .LBB542_13
; %bb.8:                                ;   in Loop: Header=BB542_7 Depth=1
	s_or_b32 exec_lo, exec_lo, s14
	s_and_saveexec_b32 s14, s15
	s_xor_b32 s14, exec_lo, s14
	s_cbranch_execnz .LBB542_14
.LBB542_9:                              ;   in Loop: Header=BB542_7 Depth=1
	s_or_b32 exec_lo, exec_lo, s14
	s_and_saveexec_b32 s14, s11
	s_cbranch_execz .LBB542_11
.LBB542_10:                             ;   in Loop: Header=BB542_7 Depth=1
	v_mul_lo_u32 v2, s19, v8
	v_mul_lo_u32 v6, s18, v9
	v_mad_u64_u32 v[4:5], null, s18, v8, 0
	v_add3_u32 v5, v5, v6, v2
	v_lshlrev_b64 v[4:5], 4, v[4:5]
	v_add_co_u32 v4, vcc_lo, v34, v4
	v_add_co_ci_u32_e64 v5, null, v35, v5, vcc_lo
	flat_load_dwordx4 v[4:7], v[4:5]
	s_waitcnt vmcnt(0) lgkmcnt(0)
	ds_write2_b64 v30, v[4:5], v[6:7] offset1:1
.LBB542_11:                             ;   in Loop: Header=BB542_7 Depth=1
	s_or_b32 exec_lo, exec_lo, s14
	v_add_nc_u32_e32 v2, s4, v26
	v_mov_b32_e32 v4, 0
	v_mov_b32_e32 v6, 0
	v_mov_b32_e32 v5, 0
	v_mov_b32_e32 v7, 0
	v_cmp_gt_u64_e32 vcc_lo, s[12:13], v[2:3]
	s_and_b32 s14, vcc_lo, s1
	s_and_saveexec_b32 s11, s14
	s_cbranch_execz .LBB542_6
; %bb.12:                               ;   in Loop: Header=BB542_7 Depth=1
	v_mad_u64_u32 v[4:5], null, s24, v2, 0
	v_mad_u64_u32 v[5:6], null, s25, v2, v[5:6]
	v_lshlrev_b64 v[4:5], 4, v[4:5]
	v_add_co_u32 v4, vcc_lo, v32, v4
	v_add_co_ci_u32_e64 v5, null, v33, v5, vcc_lo
	flat_load_dwordx4 v[4:7], v[4:5]
	s_waitcnt vmcnt(0) lgkmcnt(0)
	v_xor_b32_e32 v7, 0x80000000, v7
	s_branch .LBB542_6
.LBB542_13:                             ;   in Loop: Header=BB542_7 Depth=1
	v_add_nc_u32_e32 v2, s4, v29
	v_mov_b32_e32 v9, v3
	s_andn2_b32 s15, s9, exec_lo
	s_mov_b32 s11, exec_lo
	v_cmp_le_u64_e32 vcc_lo, s[12:13], v[2:3]
	v_mov_b32_e32 v8, v2
	s_and_b32 s16, vcc_lo, exec_lo
	s_or_b32 s15, s15, s16
	s_or_b32 exec_lo, exec_lo, s14
	s_and_saveexec_b32 s14, s15
	s_xor_b32 s14, exec_lo, s14
	s_cbranch_execz .LBB542_9
.LBB542_14:                             ;   in Loop: Header=BB542_7 Depth=1
	v_mov_b32_e32 v2, v3
	v_mov_b32_e32 v4, v3
	;; [unrolled: 1-line block ×3, first 2 shown]
	s_andn2_b32 s11, s11, exec_lo
	ds_write_b128 v30, v[2:5]
	s_or_b32 exec_lo, exec_lo, s14
	s_and_saveexec_b32 s14, s11
	s_cbranch_execnz .LBB542_10
	s_branch .LBB542_11
.LBB542_15:
	v_add_nc_u32_e32 v27, s7, v1
	v_cmp_neq_f64_e64 s4, s[28:29], 0
	s_lshl_b64 s[0:1], s[42:43], 4
	s_waitcnt lgkmcnt(0)
	s_add_u32 s2, s2, s0
	v_ashrrev_i32_e32 v3, 31, v27
	v_mul_lo_u32 v4, s41, v27
	v_mad_u64_u32 v[1:2], null, s40, v27, 0
	s_addc_u32 s3, s3, s1
	v_mul_lo_u32 v3, s40, v3
	s_xor_b32 s5, s10, -1
	v_cmp_gt_i32_e64 s0, s8, v27
	v_add3_u32 v2, v2, v3, v4
	v_add_nc_u32_e32 v4, s6, v0
	s_or_b32 s4, s4, s5
	v_lshlrev_b64 v[0:1], 4, v[1:2]
	v_cmp_le_i32_e32 vcc_lo, v4, v27
	v_ashrrev_i32_e32 v5, 31, v4
	v_cndmask_b32_e64 v26, 0, 1, s4
	s_and_b32 s5, s0, vcc_lo
	v_add_co_u32 v8, s1, s2, v0
	v_add_co_ci_u32_e64 v9, null, s3, v1, s1
	s_and_saveexec_b32 s1, s5
	s_cbranch_execz .LBB542_19
; %bb.16:
	v_mul_f64 v[0:1], s[46:47], v[24:25]
	v_mul_f64 v[2:3], s[44:45], v[24:25]
	v_lshlrev_b64 v[6:7], 4, v[4:5]
	v_add_co_u32 v6, vcc_lo, v8, v6
	v_add_co_ci_u32_e64 v7, null, v9, v7, vcc_lo
	s_andn2_b32 vcc_lo, exec_lo, s4
	v_fma_f64 v[0:1], s[44:45], v[22:23], -v[0:1]
	v_fma_f64 v[2:3], s[46:47], v[22:23], v[2:3]
	s_cbranch_vccnz .LBB542_18
; %bb.17:
	flat_load_dwordx4 v[22:25], v[6:7]
	s_waitcnt vmcnt(0) lgkmcnt(0)
	v_mul_f64 v[28:29], s[30:31], v[24:25]
	v_mul_f64 v[24:25], s[28:29], v[24:25]
	v_fma_f64 v[28:29], s[28:29], v[22:23], -v[28:29]
	v_fma_f64 v[22:23], s[30:31], v[22:23], v[24:25]
	v_add_f64 v[0:1], v[0:1], v[28:29]
	v_add_f64 v[2:3], v[2:3], v[22:23]
.LBB542_18:
	flat_store_dwordx4 v[6:7], v[0:3]
.LBB542_19:
	s_or_b32 exec_lo, exec_lo, s1
	v_add_nc_u32_e32 v6, 16, v4
	v_cmp_le_i32_e32 vcc_lo, v6, v27
	v_ashrrev_i32_e32 v7, 31, v6
	s_and_b32 s0, s0, vcc_lo
	s_and_saveexec_b32 s1, s0
	s_cbranch_execz .LBB542_23
; %bb.20:
	v_mul_f64 v[0:1], s[46:47], v[20:21]
	v_mul_f64 v[2:3], s[44:45], v[20:21]
	v_cmp_ne_u32_e32 vcc_lo, 1, v26
	s_and_b32 vcc_lo, exec_lo, vcc_lo
	v_fma_f64 v[0:1], s[44:45], v[18:19], -v[0:1]
	v_fma_f64 v[2:3], s[46:47], v[18:19], v[2:3]
	v_lshlrev_b64 v[18:19], 4, v[6:7]
	v_add_co_u32 v8, s0, v8, v18
	v_add_co_ci_u32_e64 v9, null, v9, v19, s0
	s_cbranch_vccnz .LBB542_22
; %bb.21:
	flat_load_dwordx4 v[18:21], v[8:9]
	s_waitcnt vmcnt(0) lgkmcnt(0)
	v_mul_f64 v[22:23], s[30:31], v[20:21]
	v_mul_f64 v[20:21], s[28:29], v[20:21]
	v_fma_f64 v[22:23], s[28:29], v[18:19], -v[22:23]
	v_fma_f64 v[18:19], s[30:31], v[18:19], v[20:21]
	v_add_f64 v[0:1], v[0:1], v[22:23]
	v_add_f64 v[2:3], v[2:3], v[18:19]
.LBB542_22:
	flat_store_dwordx4 v[8:9], v[0:3]
.LBB542_23:
	s_or_b32 exec_lo, exec_lo, s1
	v_add_nc_u32_e32 v18, 16, v27
	v_ashrrev_i32_e32 v2, 31, v18
	v_mul_lo_u32 v3, s41, v18
	v_mad_u64_u32 v[0:1], null, s40, v18, 0
	v_cmp_gt_i32_e64 s0, s8, v18
	v_mul_lo_u32 v2, s40, v2
	v_cmp_le_i32_e32 vcc_lo, v4, v18
	v_add3_u32 v1, v1, v2, v3
	v_lshlrev_b64 v[0:1], 4, v[0:1]
	v_add_co_u32 v8, s1, s2, v0
	v_add_co_ci_u32_e64 v9, null, s3, v1, s1
	s_and_b32 s1, s0, vcc_lo
	s_and_saveexec_b32 s2, s1
	s_cbranch_execz .LBB542_27
; %bb.24:
	v_mul_f64 v[0:1], s[46:47], v[16:17]
	v_mul_f64 v[2:3], s[44:45], v[16:17]
	v_lshlrev_b64 v[4:5], 4, v[4:5]
	v_cmp_ne_u32_e32 vcc_lo, 1, v26
	s_and_b32 vcc_lo, exec_lo, vcc_lo
	v_add_co_u32 v4, s1, v8, v4
	v_add_co_ci_u32_e64 v5, null, v9, v5, s1
	v_fma_f64 v[0:1], s[44:45], v[14:15], -v[0:1]
	v_fma_f64 v[2:3], s[46:47], v[14:15], v[2:3]
	s_cbranch_vccnz .LBB542_26
; %bb.25:
	flat_load_dwordx4 v[14:17], v[4:5]
	s_waitcnt vmcnt(0) lgkmcnt(0)
	v_mul_f64 v[19:20], s[30:31], v[16:17]
	v_mul_f64 v[16:17], s[28:29], v[16:17]
	v_fma_f64 v[19:20], s[28:29], v[14:15], -v[19:20]
	v_fma_f64 v[14:15], s[30:31], v[14:15], v[16:17]
	v_add_f64 v[0:1], v[0:1], v[19:20]
	v_add_f64 v[2:3], v[2:3], v[14:15]
.LBB542_26:
	flat_store_dwordx4 v[4:5], v[0:3]
.LBB542_27:
	s_or_b32 exec_lo, exec_lo, s2
	v_cmp_le_i32_e32 vcc_lo, v6, v18
	s_and_b32 s0, s0, vcc_lo
	s_and_saveexec_b32 s1, s0
	s_cbranch_execz .LBB542_32
; %bb.28:
	v_mul_f64 v[0:1], s[46:47], v[10:11]
	v_mul_f64 v[2:3], s[44:45], v[10:11]
	v_lshlrev_b64 v[4:5], 4, v[6:7]
	v_cmp_ne_u32_e32 vcc_lo, 1, v26
	s_and_b32 vcc_lo, exec_lo, vcc_lo
	v_add_co_u32 v4, s0, v8, v4
	v_add_co_ci_u32_e64 v5, null, v9, v5, s0
	v_fma_f64 v[0:1], s[44:45], v[12:13], -v[0:1]
	v_fma_f64 v[2:3], s[46:47], v[12:13], v[2:3]
	s_cbranch_vccnz .LBB542_30
; %bb.29:
	flat_load_dwordx4 v[6:9], v[4:5]
	s_waitcnt vmcnt(0) lgkmcnt(0)
	v_mul_f64 v[10:11], s[30:31], v[8:9]
	v_mul_f64 v[8:9], s[28:29], v[8:9]
	v_fma_f64 v[10:11], s[28:29], v[6:7], -v[10:11]
	v_fma_f64 v[6:7], s[30:31], v[6:7], v[8:9]
	v_add_f64 v[0:1], v[0:1], v[10:11]
	v_add_f64 v[2:3], v[2:3], v[6:7]
.LBB542_30:
	flat_store_dwordx4 v[4:5], v[0:3]
	s_endpgm
.LBB542_31:
.LBB542_32:
	s_endpgm
	.section	.rodata,"a",@progbits
	.p2align	6, 0x0
	.amdhsa_kernel _ZL29rocblas_internal_gemmt_kernelIlLi16ELi32ELi8ELc78ELc67ELc85ELb0ELb1E19rocblas_complex_numIdEPKS1_PKS3_PKPS1_EviT_T9_T10_S9_lSB_S9_lSA_T11_S9_li
		.amdhsa_group_segment_fixed_size 8192
		.amdhsa_private_segment_fixed_size 0
		.amdhsa_kernarg_size 108
		.amdhsa_user_sgpr_count 6
		.amdhsa_user_sgpr_private_segment_buffer 1
		.amdhsa_user_sgpr_dispatch_ptr 0
		.amdhsa_user_sgpr_queue_ptr 0
		.amdhsa_user_sgpr_kernarg_segment_ptr 1
		.amdhsa_user_sgpr_dispatch_id 0
		.amdhsa_user_sgpr_flat_scratch_init 0
		.amdhsa_user_sgpr_private_segment_size 0
		.amdhsa_wavefront_size32 1
		.amdhsa_uses_dynamic_stack 0
		.amdhsa_system_sgpr_private_segment_wavefront_offset 0
		.amdhsa_system_sgpr_workgroup_id_x 1
		.amdhsa_system_sgpr_workgroup_id_y 1
		.amdhsa_system_sgpr_workgroup_id_z 1
		.amdhsa_system_sgpr_workgroup_info 0
		.amdhsa_system_vgpr_workitem_id 1
		.amdhsa_next_free_vgpr 120
		.amdhsa_next_free_sgpr 48
		.amdhsa_reserve_vcc 1
		.amdhsa_reserve_flat_scratch 0
		.amdhsa_float_round_mode_32 0
		.amdhsa_float_round_mode_16_64 0
		.amdhsa_float_denorm_mode_32 3
		.amdhsa_float_denorm_mode_16_64 3
		.amdhsa_dx10_clamp 1
		.amdhsa_ieee_mode 1
		.amdhsa_fp16_overflow 0
		.amdhsa_workgroup_processor_mode 1
		.amdhsa_memory_ordered 1
		.amdhsa_forward_progress 1
		.amdhsa_shared_vgpr_count 0
		.amdhsa_exception_fp_ieee_invalid_op 0
		.amdhsa_exception_fp_denorm_src 0
		.amdhsa_exception_fp_ieee_div_zero 0
		.amdhsa_exception_fp_ieee_overflow 0
		.amdhsa_exception_fp_ieee_underflow 0
		.amdhsa_exception_fp_ieee_inexact 0
		.amdhsa_exception_int_div_zero 0
	.end_amdhsa_kernel
	.section	.text._ZL29rocblas_internal_gemmt_kernelIlLi16ELi32ELi8ELc78ELc67ELc85ELb0ELb1E19rocblas_complex_numIdEPKS1_PKS3_PKPS1_EviT_T9_T10_S9_lSB_S9_lSA_T11_S9_li,"axG",@progbits,_ZL29rocblas_internal_gemmt_kernelIlLi16ELi32ELi8ELc78ELc67ELc85ELb0ELb1E19rocblas_complex_numIdEPKS1_PKS3_PKPS1_EviT_T9_T10_S9_lSB_S9_lSA_T11_S9_li,comdat
.Lfunc_end542:
	.size	_ZL29rocblas_internal_gemmt_kernelIlLi16ELi32ELi8ELc78ELc67ELc85ELb0ELb1E19rocblas_complex_numIdEPKS1_PKS3_PKPS1_EviT_T9_T10_S9_lSB_S9_lSA_T11_S9_li, .Lfunc_end542-_ZL29rocblas_internal_gemmt_kernelIlLi16ELi32ELi8ELc78ELc67ELc85ELb0ELb1E19rocblas_complex_numIdEPKS1_PKS3_PKPS1_EviT_T9_T10_S9_lSB_S9_lSA_T11_S9_li
                                        ; -- End function
	.set _ZL29rocblas_internal_gemmt_kernelIlLi16ELi32ELi8ELc78ELc67ELc85ELb0ELb1E19rocblas_complex_numIdEPKS1_PKS3_PKPS1_EviT_T9_T10_S9_lSB_S9_lSA_T11_S9_li.num_vgpr, 120
	.set _ZL29rocblas_internal_gemmt_kernelIlLi16ELi32ELi8ELc78ELc67ELc85ELb0ELb1E19rocblas_complex_numIdEPKS1_PKS3_PKPS1_EviT_T9_T10_S9_lSB_S9_lSA_T11_S9_li.num_agpr, 0
	.set _ZL29rocblas_internal_gemmt_kernelIlLi16ELi32ELi8ELc78ELc67ELc85ELb0ELb1E19rocblas_complex_numIdEPKS1_PKS3_PKPS1_EviT_T9_T10_S9_lSB_S9_lSA_T11_S9_li.numbered_sgpr, 48
	.set _ZL29rocblas_internal_gemmt_kernelIlLi16ELi32ELi8ELc78ELc67ELc85ELb0ELb1E19rocblas_complex_numIdEPKS1_PKS3_PKPS1_EviT_T9_T10_S9_lSB_S9_lSA_T11_S9_li.num_named_barrier, 0
	.set _ZL29rocblas_internal_gemmt_kernelIlLi16ELi32ELi8ELc78ELc67ELc85ELb0ELb1E19rocblas_complex_numIdEPKS1_PKS3_PKPS1_EviT_T9_T10_S9_lSB_S9_lSA_T11_S9_li.private_seg_size, 0
	.set _ZL29rocblas_internal_gemmt_kernelIlLi16ELi32ELi8ELc78ELc67ELc85ELb0ELb1E19rocblas_complex_numIdEPKS1_PKS3_PKPS1_EviT_T9_T10_S9_lSB_S9_lSA_T11_S9_li.uses_vcc, 1
	.set _ZL29rocblas_internal_gemmt_kernelIlLi16ELi32ELi8ELc78ELc67ELc85ELb0ELb1E19rocblas_complex_numIdEPKS1_PKS3_PKPS1_EviT_T9_T10_S9_lSB_S9_lSA_T11_S9_li.uses_flat_scratch, 0
	.set _ZL29rocblas_internal_gemmt_kernelIlLi16ELi32ELi8ELc78ELc67ELc85ELb0ELb1E19rocblas_complex_numIdEPKS1_PKS3_PKPS1_EviT_T9_T10_S9_lSB_S9_lSA_T11_S9_li.has_dyn_sized_stack, 0
	.set _ZL29rocblas_internal_gemmt_kernelIlLi16ELi32ELi8ELc78ELc67ELc85ELb0ELb1E19rocblas_complex_numIdEPKS1_PKS3_PKPS1_EviT_T9_T10_S9_lSB_S9_lSA_T11_S9_li.has_recursion, 0
	.set _ZL29rocblas_internal_gemmt_kernelIlLi16ELi32ELi8ELc78ELc67ELc85ELb0ELb1E19rocblas_complex_numIdEPKS1_PKS3_PKPS1_EviT_T9_T10_S9_lSB_S9_lSA_T11_S9_li.has_indirect_call, 0
	.section	.AMDGPU.csdata,"",@progbits
; Kernel info:
; codeLenInByte = 3640
; TotalNumSgprs: 50
; NumVgprs: 120
; ScratchSize: 0
; MemoryBound: 1
; FloatMode: 240
; IeeeMode: 1
; LDSByteSize: 8192 bytes/workgroup (compile time only)
; SGPRBlocks: 0
; VGPRBlocks: 14
; NumSGPRsForWavesPerEU: 50
; NumVGPRsForWavesPerEU: 120
; Occupancy: 8
; WaveLimiterHint : 1
; COMPUTE_PGM_RSRC2:SCRATCH_EN: 0
; COMPUTE_PGM_RSRC2:USER_SGPR: 6
; COMPUTE_PGM_RSRC2:TRAP_HANDLER: 0
; COMPUTE_PGM_RSRC2:TGID_X_EN: 1
; COMPUTE_PGM_RSRC2:TGID_Y_EN: 1
; COMPUTE_PGM_RSRC2:TGID_Z_EN: 1
; COMPUTE_PGM_RSRC2:TIDIG_COMP_CNT: 1
	.section	.text._ZL29rocblas_internal_gemmt_kernelIlLi16ELi32ELi8ELc84ELc78ELc85ELb0ELb0E19rocblas_complex_numIdEPKS1_PKS3_PKPS1_EviT_T9_T10_S9_lSB_S9_lSA_T11_S9_li,"axG",@progbits,_ZL29rocblas_internal_gemmt_kernelIlLi16ELi32ELi8ELc84ELc78ELc85ELb0ELb0E19rocblas_complex_numIdEPKS1_PKS3_PKPS1_EviT_T9_T10_S9_lSB_S9_lSA_T11_S9_li,comdat
	.globl	_ZL29rocblas_internal_gemmt_kernelIlLi16ELi32ELi8ELc84ELc78ELc85ELb0ELb0E19rocblas_complex_numIdEPKS1_PKS3_PKPS1_EviT_T9_T10_S9_lSB_S9_lSA_T11_S9_li ; -- Begin function _ZL29rocblas_internal_gemmt_kernelIlLi16ELi32ELi8ELc84ELc78ELc85ELb0ELb0E19rocblas_complex_numIdEPKS1_PKS3_PKPS1_EviT_T9_T10_S9_lSB_S9_lSA_T11_S9_li
	.p2align	8
	.type	_ZL29rocblas_internal_gemmt_kernelIlLi16ELi32ELi8ELc84ELc78ELc85ELb0ELb0E19rocblas_complex_numIdEPKS1_PKS3_PKPS1_EviT_T9_T10_S9_lSB_S9_lSA_T11_S9_li,@function
_ZL29rocblas_internal_gemmt_kernelIlLi16ELi32ELi8ELc84ELc78ELc85ELb0ELb0E19rocblas_complex_numIdEPKS1_PKS3_PKPS1_EviT_T9_T10_S9_lSB_S9_lSA_T11_S9_li: ; @_ZL29rocblas_internal_gemmt_kernelIlLi16ELi32ELi8ELc84ELc78ELc85ELb0ELb0E19rocblas_complex_numIdEPKS1_PKS3_PKPS1_EviT_T9_T10_S9_lSB_S9_lSA_T11_S9_li
; %bb.0:
	s_load_dwordx8 s[36:43], s[4:5], 0x48
	s_waitcnt lgkmcnt(0)
	s_load_dwordx4 s[28:31], s[36:37], 0x0
	s_load_dwordx16 s[12:27], s[4:5], 0x8
	s_waitcnt lgkmcnt(0)
	v_cmp_eq_f64_e64 s0, s[28:29], 1.0
	v_cmp_eq_f64_e64 s10, s[30:31], 0
	s_load_dwordx4 s[44:47], s[14:15], 0x0
	s_and_b32 s0, s0, s10
	s_andn2_b32 vcc_lo, exec_lo, s0
	s_mov_b32 s0, -1
	s_cbranch_vccnz .LBB543_3
; %bb.1:
	s_cmp_lg_u64 s[12:13], 0
	s_cbranch_scc0 .LBB543_33
; %bb.2:
	s_waitcnt lgkmcnt(0)
	v_cmp_neq_f64_e64 s0, s[44:45], 0
	v_cmp_neq_f64_e64 s1, s[46:47], 0
	s_or_b32 s0, s0, s1
.LBB543_3:
	s_and_b32 vcc_lo, exec_lo, s0
	s_cbranch_vccz .LBB543_34
; %bb.4:
	s_waitcnt lgkmcnt(0)
	v_cmp_eq_f64_e64 s11, s[44:45], 0
	v_cmp_eq_f64_e64 s14, s[46:47], 0
	s_mov_b32 s9, 0
	v_mov_b32_e32 v20, 0
	s_lshl_b64 s[0:1], s[8:9], 3
	v_mov_b32_e32 v22, 0
	s_add_u32 s2, s38, s0
	s_addc_u32 s3, s39, s1
	s_load_dword s8, s[4:5], 0x0
	s_load_dwordx2 s[2:3], s[2:3], 0x0
	v_cmp_lt_i64_e64 s4, s[12:13], 1
	v_mov_b32_e32 v18, 0
	v_mov_b32_e32 v16, 0
	;; [unrolled: 1-line block ×13, first 2 shown]
	s_and_b32 s5, s11, s14
	v_mov_b32_e32 v7, 0
	s_or_b32 s4, s5, s4
	s_lshl_b32 s6, s6, 5
	s_and_b32 vcc_lo, exec_lo, s4
	s_lshl_b32 s7, s7, 5
	s_cbranch_vccnz .LBB543_17
; %bb.5:
	s_add_u32 s4, s22, s0
	s_addc_u32 s5, s23, s1
	s_lshl_b64 s[14:15], s[26:27], 4
	s_load_dwordx2 s[4:5], s[4:5], 0x0
	v_lshl_add_u32 v4, v1, 4, v0
	v_and_b32_e32 v24, 7, v0
	v_mov_b32_e32 v6, 0
	v_mov_b32_e32 v8, 0
	;; [unrolled: 1-line block ×3, first 2 shown]
	v_lshrrev_b32_e32 v5, 3, v4
	v_and_b32_e32 v11, 31, v4
	v_lshlrev_b32_e32 v28, 4, v24
	v_mov_b32_e32 v14, 0
	v_mov_b32_e32 v16, 0
	v_add_nc_u32_e32 v10, s7, v5
	v_or_b32_e32 v29, s6, v11
	v_lshl_or_b32 v32, v5, 7, v28
	v_lshlrev_b32_e32 v11, 4, v11
	v_mov_b32_e32 v18, 0
	v_ashrrev_i32_e32 v27, 31, v10
	v_mul_lo_u32 v30, s25, v10
	v_mad_u64_u32 v[2:3], null, s24, v10, 0
	s_waitcnt lgkmcnt(0)
	s_add_u32 s11, s4, s14
	s_addc_u32 s14, s5, s15
	s_add_u32 s0, s16, s0
	s_addc_u32 s1, s17, s1
	v_mul_lo_u32 v31, s24, v27
	s_load_dwordx2 s[0:1], s[0:1], 0x0
	v_lshrrev_b32_e32 v27, 5, v4
	v_mul_lo_u32 v28, s19, v29
	v_mad_u64_u32 v[4:5], null, s18, v29, 0
	s_lshl_b64 s[4:5], s[20:21], 4
	v_cmp_le_i32_e64 s9, s8, v29
	v_add3_u32 v3, v3, v31, v30
	v_cmp_gt_i32_e32 vcc_lo, s8, v10
	v_mov_b32_e32 v22, 0
	v_mov_b32_e32 v20, 0
	v_lshlrev_b32_e32 v25, 4, v0
	v_lshlrev_b64 v[2:3], 4, v[2:3]
	v_lshl_add_u32 v26, v1, 7, 0x1000
	v_mov_b32_e32 v7, 0
	v_mov_b32_e32 v9, 0
	;; [unrolled: 1-line block ×6, first 2 shown]
	s_waitcnt lgkmcnt(0)
	s_add_u32 s4, s0, s4
	s_addc_u32 s5, s1, s5
	s_ashr_i32 s1, s6, 31
	v_cmp_gt_i32_e64 s0, s8, v29
	s_mul_i32 s1, s18, s1
	v_add_nc_u32_e32 v29, 0x1000, v32
	v_add3_u32 v5, v5, s1, v28
	v_add_co_u32 v30, s1, s11, v2
	v_add_co_ci_u32_e64 v31, null, s14, v3, s1
	v_lshlrev_b64 v[4:5], 4, v[4:5]
	v_mov_b32_e32 v23, 0
	v_mov_b32_e32 v21, 0
	v_lshl_or_b32 v28, v27, 9, v11
	v_mov_b32_e32 v3, 0
                                        ; implicit-def: $vgpr10_vgpr11
	v_add_co_u32 v32, s1, s4, v4
	v_add_co_ci_u32_e64 v33, null, s5, v5, s1
	s_mov_b64 s[4:5], 0
	s_xor_b32 s1, vcc_lo, -1
	s_branch .LBB543_7
.LBB543_6:                              ;   in Loop: Header=BB543_7 Depth=1
	s_or_b32 exec_lo, exec_lo, s11
	s_waitcnt lgkmcnt(0)
	s_barrier
	buffer_gl0_inv
	ds_read_b128 v[34:37], v26
	ds_read_b128 v[38:41], v25
	ds_read_b128 v[42:45], v25 offset:256
	ds_read_b128 v[46:49], v26 offset:2048
	;; [unrolled: 1-line block ×16, first 2 shown]
	s_add_u32 s4, s4, 8
	s_addc_u32 s5, s5, 0
	v_cmp_gt_i64_e64 s11, s[12:13], s[4:5]
	s_waitcnt lgkmcnt(16)
	v_mul_f64 v[4:5], v[36:37], v[40:41]
	v_mul_f64 v[106:107], v[34:35], v[40:41]
	s_waitcnt lgkmcnt(15)
	v_mul_f64 v[108:109], v[36:37], v[44:45]
	v_mul_f64 v[110:111], v[34:35], v[44:45]
	;; [unrolled: 3-line block ×3, first 2 shown]
	v_mul_f64 v[114:115], v[48:49], v[44:45]
	v_mul_f64 v[44:45], v[46:47], v[44:45]
	s_waitcnt lgkmcnt(12)
	v_mul_f64 v[116:117], v[52:53], v[56:57]
	v_mul_f64 v[118:119], v[50:51], v[56:57]
	s_waitcnt lgkmcnt(11)
	;; [unrolled: 3-line block ×3, first 2 shown]
	v_mul_f64 v[124:125], v[64:65], v[56:57]
	v_mul_f64 v[56:57], v[62:63], v[56:57]
	;; [unrolled: 1-line block ×4, first 2 shown]
	s_waitcnt lgkmcnt(7)
	v_mul_f64 v[132:133], v[76:77], v[68:69]
	v_mul_f64 v[134:135], v[74:75], v[68:69]
	;; [unrolled: 1-line block ×4, first 2 shown]
	s_and_b32 vcc_lo, exec_lo, s11
	v_fma_f64 v[4:5], v[34:35], v[38:39], -v[4:5]
	v_fma_f64 v[106:107], v[36:37], v[38:39], v[106:107]
	v_fma_f64 v[108:109], v[34:35], v[42:43], -v[108:109]
	v_fma_f64 v[110:111], v[36:37], v[42:43], v[110:111]
	;; [unrolled: 2-line block ×8, first 2 shown]
	s_waitcnt lgkmcnt(5)
	v_mul_f64 v[60:61], v[84:85], v[68:69]
	v_mul_f64 v[64:65], v[84:85], v[72:73]
	s_waitcnt lgkmcnt(3)
	v_mul_f64 v[126:127], v[88:89], v[92:93]
	ds_read_b128 v[34:37], v26 offset:64
	ds_read_b128 v[38:41], v26 offset:80
	ds_read_b128 v[42:45], v25 offset:2560
	ds_read_b128 v[46:49], v25 offset:2816
	ds_read_b128 v[50:53], v26 offset:2112
	ds_read_b128 v[54:57], v26 offset:2128
	v_add_f64 v[4:5], v[20:21], v[4:5]
	v_add_f64 v[20:21], v[106:107], v[22:23]
	;; [unrolled: 1-line block ×3, first 2 shown]
	v_mul_f64 v[22:23], v[82:83], v[68:69]
	v_add_f64 v[16:17], v[110:111], v[16:17]
	v_add_f64 v[14:15], v[14:15], v[112:113]
	v_mul_f64 v[68:69], v[82:83], v[72:73]
	v_add_f64 v[12:13], v[128:129], v[12:13]
	v_add_f64 v[8:9], v[8:9], v[114:115]
	v_add_f64 v[6:7], v[130:131], v[6:7]
	v_mul_f64 v[72:73], v[80:81], v[92:93]
	v_mul_f64 v[106:107], v[78:79], v[92:93]
	s_waitcnt lgkmcnt(8)
	v_mul_f64 v[108:109], v[80:81], v[96:97]
	v_mul_f64 v[110:111], v[78:79], v[96:97]
	v_fma_f64 v[112:113], v[74:75], v[66:67], -v[132:133]
	v_fma_f64 v[114:115], v[76:77], v[66:67], v[134:135]
	v_fma_f64 v[74:75], v[74:75], v[70:71], -v[136:137]
	v_fma_f64 v[76:77], v[76:77], v[70:71], v[140:141]
	v_mul_f64 v[92:93], v[86:87], v[92:93]
	v_mul_f64 v[128:129], v[88:89], v[96:97]
	v_fma_f64 v[60:61], v[82:83], v[66:67], -v[60:61]
	v_mul_f64 v[96:97], v[86:87], v[96:97]
	v_add_f64 v[4:5], v[4:5], v[116:117]
	v_add_f64 v[20:21], v[118:119], v[20:21]
	;; [unrolled: 1-line block ×3, first 2 shown]
	v_fma_f64 v[22:23], v[84:85], v[66:67], v[22:23]
	v_add_f64 v[16:17], v[122:123], v[16:17]
	v_add_f64 v[14:15], v[14:15], v[124:125]
	v_fma_f64 v[64:65], v[82:83], v[70:71], -v[64:65]
	v_add_f64 v[12:13], v[138:139], v[12:13]
	v_add_f64 v[8:9], v[8:9], v[62:63]
	v_fma_f64 v[66:67], v[84:85], v[70:71], v[68:69]
	v_add_f64 v[6:7], v[58:59], v[6:7]
	s_waitcnt lgkmcnt(5)
	v_mul_f64 v[116:117], v[36:37], v[100:101]
	v_mul_f64 v[118:119], v[34:35], v[100:101]
	;; [unrolled: 1-line block ×4, first 2 shown]
	s_waitcnt lgkmcnt(1)
	v_mul_f64 v[62:63], v[52:53], v[100:101]
	v_fma_f64 v[68:69], v[78:79], v[90:91], -v[72:73]
	v_fma_f64 v[70:71], v[80:81], v[90:91], v[106:107]
	v_fma_f64 v[72:73], v[78:79], v[94:95], -v[108:109]
	v_fma_f64 v[78:79], v[80:81], v[94:95], v[110:111]
	v_fma_f64 v[58:59], v[86:87], v[90:91], -v[126:127]
	v_fma_f64 v[84:85], v[88:89], v[90:91], v[92:93]
	v_add_f64 v[4:5], v[4:5], v[112:113]
	v_add_f64 v[20:21], v[114:115], v[20:21]
	;; [unrolled: 1-line block ×3, first 2 shown]
	v_mul_f64 v[74:75], v[52:53], v[104:105]
	v_add_f64 v[16:17], v[76:77], v[16:17]
	v_add_f64 v[14:15], v[14:15], v[60:61]
	v_mul_f64 v[60:61], v[50:51], v[100:101]
	v_mul_f64 v[76:77], v[50:51], v[104:105]
	v_fma_f64 v[86:87], v[86:87], v[94:95], -v[128:129]
	v_add_f64 v[12:13], v[22:23], v[12:13]
	v_add_f64 v[8:9], v[8:9], v[64:65]
	v_fma_f64 v[88:89], v[88:89], v[94:95], v[96:97]
	v_add_f64 v[66:67], v[66:67], v[6:7]
	v_mul_f64 v[80:81], v[40:41], v[44:45]
	v_mul_f64 v[82:83], v[38:39], v[44:45]
	v_mul_f64 v[64:65], v[40:41], v[48:49]
	v_fma_f64 v[90:91], v[34:35], v[98:99], -v[116:117]
	v_fma_f64 v[92:93], v[36:37], v[98:99], v[118:119]
	v_fma_f64 v[34:35], v[34:35], v[102:103], -v[120:121]
	v_fma_f64 v[36:37], v[36:37], v[102:103], v[122:123]
	v_fma_f64 v[62:63], v[50:51], v[98:99], -v[62:63]
	v_mul_f64 v[94:95], v[38:39], v[48:49]
	v_add_f64 v[68:69], v[4:5], v[68:69]
	v_add_f64 v[70:71], v[70:71], v[20:21]
	;; [unrolled: 1-line block ×3, first 2 shown]
	s_waitcnt lgkmcnt(0)
	v_mul_f64 v[96:97], v[56:57], v[44:45]
	v_add_f64 v[78:79], v[78:79], v[16:17]
	v_add_f64 v[58:59], v[14:15], v[58:59]
	v_mul_f64 v[44:45], v[54:55], v[44:45]
	v_mul_f64 v[100:101], v[56:57], v[48:49]
	;; [unrolled: 1-line block ×3, first 2 shown]
	v_fma_f64 v[60:61], v[52:53], v[98:99], v[60:61]
	v_fma_f64 v[50:51], v[50:51], v[102:103], -v[74:75]
	v_add_f64 v[74:75], v[84:85], v[12:13]
	v_add_f64 v[8:9], v[8:9], v[86:87]
	v_fma_f64 v[52:53], v[52:53], v[102:103], v[76:77]
	v_add_f64 v[66:67], v[88:89], v[66:67]
	ds_read_b128 v[4:7], v26 offset:96
	ds_read_b128 v[12:15], v25 offset:3072
	;; [unrolled: 1-line block ×4, first 2 shown]
	v_fma_f64 v[76:77], v[38:39], v[42:43], -v[80:81]
	v_fma_f64 v[64:65], v[38:39], v[46:47], -v[64:65]
	v_fma_f64 v[80:81], v[40:41], v[46:47], v[94:95]
	v_add_f64 v[68:69], v[68:69], v[90:91]
	v_add_f64 v[70:71], v[92:93], v[70:71]
	;; [unrolled: 1-line block ×5, first 2 shown]
	v_fma_f64 v[62:63], v[40:41], v[42:43], v[82:83]
	v_fma_f64 v[82:83], v[54:55], v[42:43], -v[96:97]
	v_fma_f64 v[84:85], v[56:57], v[42:43], v[44:45]
	v_fma_f64 v[54:55], v[54:55], v[46:47], -v[100:101]
	v_fma_f64 v[56:57], v[56:57], v[46:47], v[48:49]
	v_add_f64 v[60:61], v[60:61], v[74:75]
	v_add_f64 v[8:9], v[8:9], v[50:51]
	s_waitcnt lgkmcnt(2)
	v_mul_f64 v[50:51], v[6:7], v[14:15]
	v_mul_f64 v[74:75], v[4:5], v[14:15]
	s_waitcnt lgkmcnt(1)
	v_mul_f64 v[86:87], v[6:7], v[18:19]
	v_mul_f64 v[88:89], v[4:5], v[18:19]
	;; [unrolled: 3-line block ×3, first 2 shown]
	v_mul_f64 v[92:93], v[22:23], v[18:19]
	v_add_f64 v[52:53], v[52:53], v[66:67]
	v_mul_f64 v[18:19], v[20:21], v[18:19]
	ds_read_b128 v[34:37], v26 offset:112
	ds_read_b128 v[38:41], v26 offset:2160
	ds_read_b128 v[42:45], v25 offset:3584
	ds_read_b128 v[46:49], v25 offset:3840
	v_add_f64 v[66:67], v[68:69], v[76:77]
	v_add_f64 v[64:65], v[72:73], v[64:65]
	;; [unrolled: 1-line block ×5, first 2 shown]
	s_waitcnt lgkmcnt(0)
	s_barrier
	buffer_gl0_inv
	v_add_f64 v[60:61], v[84:85], v[60:61]
	v_add_f64 v[8:9], v[8:9], v[54:55]
	v_fma_f64 v[50:51], v[4:5], v[12:13], -v[50:51]
	v_fma_f64 v[54:55], v[6:7], v[12:13], v[74:75]
	v_fma_f64 v[4:5], v[4:5], v[16:17], -v[86:87]
	v_fma_f64 v[6:7], v[6:7], v[16:17], v[88:89]
	;; [unrolled: 2-line block ×3, first 2 shown]
	v_fma_f64 v[14:15], v[20:21], v[16:17], -v[92:93]
	v_add_f64 v[20:21], v[56:57], v[52:53]
	v_fma_f64 v[16:17], v[22:23], v[16:17], v[18:19]
	v_mul_f64 v[18:19], v[36:37], v[44:45]
	v_mul_f64 v[22:23], v[34:35], v[44:45]
	;; [unrolled: 1-line block ×8, first 2 shown]
	v_add_f64 v[50:51], v[66:67], v[50:51]
	v_add_f64 v[54:55], v[54:55], v[62:63]
	;; [unrolled: 1-line block ×8, first 2 shown]
	v_fma_f64 v[14:15], v[34:35], v[42:43], -v[18:19]
	v_fma_f64 v[16:17], v[36:37], v[42:43], v[22:23]
	v_fma_f64 v[18:19], v[34:35], v[46:47], -v[52:53]
	v_fma_f64 v[34:35], v[36:37], v[46:47], v[56:57]
	v_fma_f64 v[36:37], v[38:39], v[42:43], -v[72:73]
	v_fma_f64 v[42:43], v[40:41], v[42:43], v[44:45]
	v_fma_f64 v[38:39], v[38:39], v[46:47], -v[74:75]
	v_fma_f64 v[40:41], v[40:41], v[46:47], v[48:49]
	v_add_f64 v[20:21], v[50:51], v[14:15]
	v_add_f64 v[22:23], v[16:17], v[54:55]
	;; [unrolled: 1-line block ×8, first 2 shown]
	s_cbranch_vccz .LBB543_17
.LBB543_7:                              ; =>This Inner Loop Header: Depth=1
	s_mov_b32 s15, s9
	s_mov_b32 s11, 0
	s_and_saveexec_b32 s14, s0
	s_cbranch_execnz .LBB543_15
; %bb.8:                                ;   in Loop: Header=BB543_7 Depth=1
	s_or_b32 exec_lo, exec_lo, s14
	s_and_saveexec_b32 s14, s15
	s_xor_b32 s14, exec_lo, s14
	s_cbranch_execnz .LBB543_16
.LBB543_9:                              ;   in Loop: Header=BB543_7 Depth=1
	s_or_b32 exec_lo, exec_lo, s14
	s_and_saveexec_b32 s14, s11
	s_cbranch_execz .LBB543_11
.LBB543_10:                             ;   in Loop: Header=BB543_7 Depth=1
	v_lshlrev_b64 v[4:5], 4, v[10:11]
	v_add_co_u32 v4, vcc_lo, v32, v4
	v_add_co_ci_u32_e64 v5, null, v33, v5, vcc_lo
	flat_load_dwordx4 v[34:37], v[4:5]
	s_waitcnt vmcnt(0) lgkmcnt(0)
	ds_write2_b64 v28, v[34:35], v[36:37] offset1:1
.LBB543_11:                             ;   in Loop: Header=BB543_7 Depth=1
	s_or_b32 exec_lo, exec_lo, s14
	v_add_nc_u32_e32 v2, s4, v24
	v_cmp_le_u64_e32 vcc_lo, s[12:13], v[2:3]
	s_or_b32 s11, vcc_lo, s1
	s_and_saveexec_b32 s14, s11
	s_xor_b32 s11, exec_lo, s14
	s_cbranch_execz .LBB543_13
; %bb.12:                               ;   in Loop: Header=BB543_7 Depth=1
	v_mov_b32_e32 v2, v3
	v_mov_b32_e32 v4, v3
	;; [unrolled: 1-line block ×3, first 2 shown]
	ds_write_b128 v29, v[2:5]
.LBB543_13:                             ;   in Loop: Header=BB543_7 Depth=1
	s_andn2_saveexec_b32 s11, s11
	s_cbranch_execz .LBB543_6
; %bb.14:                               ;   in Loop: Header=BB543_7 Depth=1
	v_lshlrev_b64 v[4:5], 4, v[2:3]
	v_add_co_u32 v4, vcc_lo, v30, v4
	v_add_co_ci_u32_e64 v5, null, v31, v5, vcc_lo
	flat_load_dwordx4 v[34:37], v[4:5]
	s_waitcnt vmcnt(0) lgkmcnt(0)
	ds_write2_b64 v29, v[34:35], v[36:37] offset1:1
	s_branch .LBB543_6
.LBB543_15:                             ;   in Loop: Header=BB543_7 Depth=1
	v_add_nc_u32_e32 v2, s4, v27
	v_mov_b32_e32 v11, v3
	s_andn2_b32 s15, s9, exec_lo
	s_mov_b32 s11, exec_lo
	v_cmp_le_u64_e32 vcc_lo, s[12:13], v[2:3]
	v_mov_b32_e32 v10, v2
	s_and_b32 s16, vcc_lo, exec_lo
	s_or_b32 s15, s15, s16
	s_or_b32 exec_lo, exec_lo, s14
	s_and_saveexec_b32 s14, s15
	s_xor_b32 s14, exec_lo, s14
	s_cbranch_execz .LBB543_9
.LBB543_16:                             ;   in Loop: Header=BB543_7 Depth=1
	v_mov_b32_e32 v2, v3
	v_mov_b32_e32 v4, v3
	;; [unrolled: 1-line block ×3, first 2 shown]
	s_andn2_b32 s11, s11, exec_lo
	ds_write_b128 v28, v[2:5]
	s_or_b32 exec_lo, exec_lo, s14
	s_and_saveexec_b32 s14, s11
	s_cbranch_execnz .LBB543_10
	s_branch .LBB543_11
.LBB543_17:
	v_add_nc_u32_e32 v25, s7, v1
	v_cmp_neq_f64_e64 s4, s[28:29], 0
	s_lshl_b64 s[0:1], s[42:43], 4
	s_waitcnt lgkmcnt(0)
	s_add_u32 s2, s2, s0
	v_ashrrev_i32_e32 v3, 31, v25
	v_mul_lo_u32 v4, s41, v25
	v_mad_u64_u32 v[1:2], null, s40, v25, 0
	s_addc_u32 s3, s3, s1
	v_mul_lo_u32 v3, s40, v3
	s_xor_b32 s5, s10, -1
	v_cmp_gt_i32_e64 s0, s8, v25
	v_add3_u32 v2, v2, v3, v4
	v_add_nc_u32_e32 v4, s6, v0
	s_or_b32 s4, s4, s5
	v_lshlrev_b64 v[0:1], 4, v[1:2]
	v_cmp_le_i32_e32 vcc_lo, v4, v25
	v_ashrrev_i32_e32 v5, 31, v4
	v_cndmask_b32_e64 v24, 0, 1, s4
	s_and_b32 s5, s0, vcc_lo
	v_add_co_u32 v26, s1, s2, v0
	v_add_co_ci_u32_e64 v27, null, s3, v1, s1
	s_and_saveexec_b32 s1, s5
	s_cbranch_execz .LBB543_21
; %bb.18:
	v_mul_f64 v[0:1], s[46:47], v[22:23]
	v_mul_f64 v[2:3], s[44:45], v[22:23]
	v_lshlrev_b64 v[10:11], 4, v[4:5]
	v_add_co_u32 v10, vcc_lo, v26, v10
	v_add_co_ci_u32_e64 v11, null, v27, v11, vcc_lo
	s_andn2_b32 vcc_lo, exec_lo, s4
	v_fma_f64 v[0:1], s[44:45], v[20:21], -v[0:1]
	v_fma_f64 v[2:3], s[46:47], v[20:21], v[2:3]
	s_cbranch_vccnz .LBB543_20
; %bb.19:
	flat_load_dwordx4 v[20:23], v[10:11]
	s_waitcnt vmcnt(0) lgkmcnt(0)
	v_mul_f64 v[28:29], s[30:31], v[22:23]
	v_mul_f64 v[22:23], s[28:29], v[22:23]
	v_fma_f64 v[28:29], s[28:29], v[20:21], -v[28:29]
	v_fma_f64 v[20:21], s[30:31], v[20:21], v[22:23]
	v_add_f64 v[0:1], v[0:1], v[28:29]
	v_add_f64 v[2:3], v[2:3], v[20:21]
.LBB543_20:
	flat_store_dwordx4 v[10:11], v[0:3]
.LBB543_21:
	s_or_b32 exec_lo, exec_lo, s1
	v_add_nc_u32_e32 v10, 16, v4
	v_cmp_le_i32_e32 vcc_lo, v10, v25
	v_ashrrev_i32_e32 v11, 31, v10
	s_and_b32 s0, s0, vcc_lo
	s_and_saveexec_b32 s1, s0
	s_cbranch_execz .LBB543_25
; %bb.22:
	v_mul_f64 v[0:1], s[46:47], v[16:17]
	v_mul_f64 v[2:3], s[44:45], v[16:17]
	v_lshlrev_b64 v[16:17], 4, v[10:11]
	v_cmp_ne_u32_e32 vcc_lo, 1, v24
	s_and_b32 vcc_lo, exec_lo, vcc_lo
	v_add_co_u32 v16, s0, v26, v16
	v_add_co_ci_u32_e64 v17, null, v27, v17, s0
	v_fma_f64 v[0:1], s[44:45], v[18:19], -v[0:1]
	v_fma_f64 v[2:3], s[46:47], v[18:19], v[2:3]
	s_cbranch_vccnz .LBB543_24
; %bb.23:
	flat_load_dwordx4 v[18:21], v[16:17]
	s_waitcnt vmcnt(0) lgkmcnt(0)
	v_mul_f64 v[22:23], s[30:31], v[20:21]
	v_mul_f64 v[20:21], s[28:29], v[20:21]
	v_fma_f64 v[22:23], s[28:29], v[18:19], -v[22:23]
	v_fma_f64 v[18:19], s[30:31], v[18:19], v[20:21]
	v_add_f64 v[0:1], v[0:1], v[22:23]
	v_add_f64 v[2:3], v[2:3], v[18:19]
.LBB543_24:
	flat_store_dwordx4 v[16:17], v[0:3]
.LBB543_25:
	s_or_b32 exec_lo, exec_lo, s1
	v_add_nc_u32_e32 v18, 16, v25
	v_ashrrev_i32_e32 v2, 31, v18
	v_mul_lo_u32 v3, s41, v18
	v_mad_u64_u32 v[0:1], null, s40, v18, 0
	v_cmp_gt_i32_e64 s0, s8, v18
	v_mul_lo_u32 v2, s40, v2
	v_cmp_le_i32_e32 vcc_lo, v4, v18
	v_add3_u32 v1, v1, v2, v3
	v_lshlrev_b64 v[0:1], 4, v[0:1]
	v_add_co_u32 v16, s1, s2, v0
	v_add_co_ci_u32_e64 v17, null, s3, v1, s1
	s_and_b32 s1, s0, vcc_lo
	s_and_saveexec_b32 s2, s1
	s_cbranch_execz .LBB543_29
; %bb.26:
	v_mul_f64 v[0:1], s[46:47], v[12:13]
	v_mul_f64 v[2:3], s[44:45], v[12:13]
	v_lshlrev_b64 v[4:5], 4, v[4:5]
	v_cmp_ne_u32_e32 vcc_lo, 1, v24
	s_and_b32 vcc_lo, exec_lo, vcc_lo
	v_add_co_u32 v4, s1, v16, v4
	v_add_co_ci_u32_e64 v5, null, v17, v5, s1
	v_fma_f64 v[0:1], s[44:45], v[14:15], -v[0:1]
	v_fma_f64 v[2:3], s[46:47], v[14:15], v[2:3]
	s_cbranch_vccnz .LBB543_28
; %bb.27:
	flat_load_dwordx4 v[12:15], v[4:5]
	s_waitcnt vmcnt(0) lgkmcnt(0)
	v_mul_f64 v[19:20], s[30:31], v[14:15]
	v_mul_f64 v[14:15], s[28:29], v[14:15]
	v_fma_f64 v[19:20], s[28:29], v[12:13], -v[19:20]
	v_fma_f64 v[12:13], s[30:31], v[12:13], v[14:15]
	v_add_f64 v[0:1], v[0:1], v[19:20]
	v_add_f64 v[2:3], v[2:3], v[12:13]
.LBB543_28:
	flat_store_dwordx4 v[4:5], v[0:3]
.LBB543_29:
	s_or_b32 exec_lo, exec_lo, s2
	v_cmp_le_i32_e32 vcc_lo, v10, v18
	s_and_b32 s0, s0, vcc_lo
	s_and_saveexec_b32 s1, s0
	s_cbranch_execz .LBB543_34
; %bb.30:
	v_mul_f64 v[0:1], s[46:47], v[6:7]
	v_mul_f64 v[2:3], s[44:45], v[6:7]
	v_lshlrev_b64 v[4:5], 4, v[10:11]
	v_cmp_ne_u32_e32 vcc_lo, 1, v24
	s_and_b32 vcc_lo, exec_lo, vcc_lo
	v_add_co_u32 v4, s0, v16, v4
	v_add_co_ci_u32_e64 v5, null, v17, v5, s0
	v_fma_f64 v[0:1], s[44:45], v[8:9], -v[0:1]
	v_fma_f64 v[2:3], s[46:47], v[8:9], v[2:3]
	s_cbranch_vccnz .LBB543_32
; %bb.31:
	flat_load_dwordx4 v[6:9], v[4:5]
	s_waitcnt vmcnt(0) lgkmcnt(0)
	v_mul_f64 v[10:11], s[30:31], v[8:9]
	v_mul_f64 v[8:9], s[28:29], v[8:9]
	v_fma_f64 v[10:11], s[28:29], v[6:7], -v[10:11]
	v_fma_f64 v[6:7], s[30:31], v[6:7], v[8:9]
	v_add_f64 v[0:1], v[0:1], v[10:11]
	v_add_f64 v[2:3], v[2:3], v[6:7]
.LBB543_32:
	flat_store_dwordx4 v[4:5], v[0:3]
	s_endpgm
.LBB543_33:
.LBB543_34:
	s_endpgm
	.section	.rodata,"a",@progbits
	.p2align	6, 0x0
	.amdhsa_kernel _ZL29rocblas_internal_gemmt_kernelIlLi16ELi32ELi8ELc84ELc78ELc85ELb0ELb0E19rocblas_complex_numIdEPKS1_PKS3_PKPS1_EviT_T9_T10_S9_lSB_S9_lSA_T11_S9_li
		.amdhsa_group_segment_fixed_size 8192
		.amdhsa_private_segment_fixed_size 0
		.amdhsa_kernarg_size 108
		.amdhsa_user_sgpr_count 6
		.amdhsa_user_sgpr_private_segment_buffer 1
		.amdhsa_user_sgpr_dispatch_ptr 0
		.amdhsa_user_sgpr_queue_ptr 0
		.amdhsa_user_sgpr_kernarg_segment_ptr 1
		.amdhsa_user_sgpr_dispatch_id 0
		.amdhsa_user_sgpr_flat_scratch_init 0
		.amdhsa_user_sgpr_private_segment_size 0
		.amdhsa_wavefront_size32 1
		.amdhsa_uses_dynamic_stack 0
		.amdhsa_system_sgpr_private_segment_wavefront_offset 0
		.amdhsa_system_sgpr_workgroup_id_x 1
		.amdhsa_system_sgpr_workgroup_id_y 1
		.amdhsa_system_sgpr_workgroup_id_z 1
		.amdhsa_system_sgpr_workgroup_info 0
		.amdhsa_system_vgpr_workitem_id 1
		.amdhsa_next_free_vgpr 142
		.amdhsa_next_free_sgpr 48
		.amdhsa_reserve_vcc 1
		.amdhsa_reserve_flat_scratch 0
		.amdhsa_float_round_mode_32 0
		.amdhsa_float_round_mode_16_64 0
		.amdhsa_float_denorm_mode_32 3
		.amdhsa_float_denorm_mode_16_64 3
		.amdhsa_dx10_clamp 1
		.amdhsa_ieee_mode 1
		.amdhsa_fp16_overflow 0
		.amdhsa_workgroup_processor_mode 1
		.amdhsa_memory_ordered 1
		.amdhsa_forward_progress 1
		.amdhsa_shared_vgpr_count 0
		.amdhsa_exception_fp_ieee_invalid_op 0
		.amdhsa_exception_fp_denorm_src 0
		.amdhsa_exception_fp_ieee_div_zero 0
		.amdhsa_exception_fp_ieee_overflow 0
		.amdhsa_exception_fp_ieee_underflow 0
		.amdhsa_exception_fp_ieee_inexact 0
		.amdhsa_exception_int_div_zero 0
	.end_amdhsa_kernel
	.section	.text._ZL29rocblas_internal_gemmt_kernelIlLi16ELi32ELi8ELc84ELc78ELc85ELb0ELb0E19rocblas_complex_numIdEPKS1_PKS3_PKPS1_EviT_T9_T10_S9_lSB_S9_lSA_T11_S9_li,"axG",@progbits,_ZL29rocblas_internal_gemmt_kernelIlLi16ELi32ELi8ELc84ELc78ELc85ELb0ELb0E19rocblas_complex_numIdEPKS1_PKS3_PKPS1_EviT_T9_T10_S9_lSB_S9_lSA_T11_S9_li,comdat
.Lfunc_end543:
	.size	_ZL29rocblas_internal_gemmt_kernelIlLi16ELi32ELi8ELc84ELc78ELc85ELb0ELb0E19rocblas_complex_numIdEPKS1_PKS3_PKPS1_EviT_T9_T10_S9_lSB_S9_lSA_T11_S9_li, .Lfunc_end543-_ZL29rocblas_internal_gemmt_kernelIlLi16ELi32ELi8ELc84ELc78ELc85ELb0ELb0E19rocblas_complex_numIdEPKS1_PKS3_PKPS1_EviT_T9_T10_S9_lSB_S9_lSA_T11_S9_li
                                        ; -- End function
	.set _ZL29rocblas_internal_gemmt_kernelIlLi16ELi32ELi8ELc84ELc78ELc85ELb0ELb0E19rocblas_complex_numIdEPKS1_PKS3_PKPS1_EviT_T9_T10_S9_lSB_S9_lSA_T11_S9_li.num_vgpr, 142
	.set _ZL29rocblas_internal_gemmt_kernelIlLi16ELi32ELi8ELc84ELc78ELc85ELb0ELb0E19rocblas_complex_numIdEPKS1_PKS3_PKPS1_EviT_T9_T10_S9_lSB_S9_lSA_T11_S9_li.num_agpr, 0
	.set _ZL29rocblas_internal_gemmt_kernelIlLi16ELi32ELi8ELc84ELc78ELc85ELb0ELb0E19rocblas_complex_numIdEPKS1_PKS3_PKPS1_EviT_T9_T10_S9_lSB_S9_lSA_T11_S9_li.numbered_sgpr, 48
	.set _ZL29rocblas_internal_gemmt_kernelIlLi16ELi32ELi8ELc84ELc78ELc85ELb0ELb0E19rocblas_complex_numIdEPKS1_PKS3_PKPS1_EviT_T9_T10_S9_lSB_S9_lSA_T11_S9_li.num_named_barrier, 0
	.set _ZL29rocblas_internal_gemmt_kernelIlLi16ELi32ELi8ELc84ELc78ELc85ELb0ELb0E19rocblas_complex_numIdEPKS1_PKS3_PKPS1_EviT_T9_T10_S9_lSB_S9_lSA_T11_S9_li.private_seg_size, 0
	.set _ZL29rocblas_internal_gemmt_kernelIlLi16ELi32ELi8ELc84ELc78ELc85ELb0ELb0E19rocblas_complex_numIdEPKS1_PKS3_PKPS1_EviT_T9_T10_S9_lSB_S9_lSA_T11_S9_li.uses_vcc, 1
	.set _ZL29rocblas_internal_gemmt_kernelIlLi16ELi32ELi8ELc84ELc78ELc85ELb0ELb0E19rocblas_complex_numIdEPKS1_PKS3_PKPS1_EviT_T9_T10_S9_lSB_S9_lSA_T11_S9_li.uses_flat_scratch, 0
	.set _ZL29rocblas_internal_gemmt_kernelIlLi16ELi32ELi8ELc84ELc78ELc85ELb0ELb0E19rocblas_complex_numIdEPKS1_PKS3_PKPS1_EviT_T9_T10_S9_lSB_S9_lSA_T11_S9_li.has_dyn_sized_stack, 0
	.set _ZL29rocblas_internal_gemmt_kernelIlLi16ELi32ELi8ELc84ELc78ELc85ELb0ELb0E19rocblas_complex_numIdEPKS1_PKS3_PKPS1_EviT_T9_T10_S9_lSB_S9_lSA_T11_S9_li.has_recursion, 0
	.set _ZL29rocblas_internal_gemmt_kernelIlLi16ELi32ELi8ELc84ELc78ELc85ELb0ELb0E19rocblas_complex_numIdEPKS1_PKS3_PKPS1_EviT_T9_T10_S9_lSB_S9_lSA_T11_S9_li.has_indirect_call, 0
	.section	.AMDGPU.csdata,"",@progbits
; Kernel info:
; codeLenInByte = 3640
; TotalNumSgprs: 50
; NumVgprs: 142
; ScratchSize: 0
; MemoryBound: 0
; FloatMode: 240
; IeeeMode: 1
; LDSByteSize: 8192 bytes/workgroup (compile time only)
; SGPRBlocks: 0
; VGPRBlocks: 17
; NumSGPRsForWavesPerEU: 50
; NumVGPRsForWavesPerEU: 142
; Occupancy: 7
; WaveLimiterHint : 1
; COMPUTE_PGM_RSRC2:SCRATCH_EN: 0
; COMPUTE_PGM_RSRC2:USER_SGPR: 6
; COMPUTE_PGM_RSRC2:TRAP_HANDLER: 0
; COMPUTE_PGM_RSRC2:TGID_X_EN: 1
; COMPUTE_PGM_RSRC2:TGID_Y_EN: 1
; COMPUTE_PGM_RSRC2:TGID_Z_EN: 1
; COMPUTE_PGM_RSRC2:TIDIG_COMP_CNT: 1
	.section	.text._ZL29rocblas_internal_gemmt_kernelIlLi16ELi32ELi8ELc84ELc84ELc85ELb0ELb0E19rocblas_complex_numIdEPKS1_PKS3_PKPS1_EviT_T9_T10_S9_lSB_S9_lSA_T11_S9_li,"axG",@progbits,_ZL29rocblas_internal_gemmt_kernelIlLi16ELi32ELi8ELc84ELc84ELc85ELb0ELb0E19rocblas_complex_numIdEPKS1_PKS3_PKPS1_EviT_T9_T10_S9_lSB_S9_lSA_T11_S9_li,comdat
	.globl	_ZL29rocblas_internal_gemmt_kernelIlLi16ELi32ELi8ELc84ELc84ELc85ELb0ELb0E19rocblas_complex_numIdEPKS1_PKS3_PKPS1_EviT_T9_T10_S9_lSB_S9_lSA_T11_S9_li ; -- Begin function _ZL29rocblas_internal_gemmt_kernelIlLi16ELi32ELi8ELc84ELc84ELc85ELb0ELb0E19rocblas_complex_numIdEPKS1_PKS3_PKPS1_EviT_T9_T10_S9_lSB_S9_lSA_T11_S9_li
	.p2align	8
	.type	_ZL29rocblas_internal_gemmt_kernelIlLi16ELi32ELi8ELc84ELc84ELc85ELb0ELb0E19rocblas_complex_numIdEPKS1_PKS3_PKPS1_EviT_T9_T10_S9_lSB_S9_lSA_T11_S9_li,@function
_ZL29rocblas_internal_gemmt_kernelIlLi16ELi32ELi8ELc84ELc84ELc85ELb0ELb0E19rocblas_complex_numIdEPKS1_PKS3_PKPS1_EviT_T9_T10_S9_lSB_S9_lSA_T11_S9_li: ; @_ZL29rocblas_internal_gemmt_kernelIlLi16ELi32ELi8ELc84ELc84ELc85ELb0ELb0E19rocblas_complex_numIdEPKS1_PKS3_PKPS1_EviT_T9_T10_S9_lSB_S9_lSA_T11_S9_li
; %bb.0:
	s_load_dwordx8 s[36:43], s[4:5], 0x48
	s_waitcnt lgkmcnt(0)
	s_load_dwordx4 s[28:31], s[36:37], 0x0
	s_load_dwordx16 s[12:27], s[4:5], 0x8
	s_waitcnt lgkmcnt(0)
	v_cmp_eq_f64_e64 s0, s[28:29], 1.0
	v_cmp_eq_f64_e64 s10, s[30:31], 0
	s_load_dwordx4 s[44:47], s[14:15], 0x0
	s_and_b32 s0, s0, s10
	s_andn2_b32 vcc_lo, exec_lo, s0
	s_mov_b32 s0, -1
	s_cbranch_vccnz .LBB544_3
; %bb.1:
	s_cmp_lg_u64 s[12:13], 0
	s_cbranch_scc0 .LBB544_33
; %bb.2:
	s_waitcnt lgkmcnt(0)
	v_cmp_neq_f64_e64 s0, s[44:45], 0
	v_cmp_neq_f64_e64 s1, s[46:47], 0
	s_or_b32 s0, s0, s1
.LBB544_3:
	s_and_b32 vcc_lo, exec_lo, s0
	s_cbranch_vccz .LBB544_34
; %bb.4:
	s_waitcnt lgkmcnt(0)
	v_cmp_eq_f64_e64 s11, s[44:45], 0
	v_cmp_eq_f64_e64 s14, s[46:47], 0
	s_mov_b32 s9, 0
	v_mov_b32_e32 v20, 0
	s_lshl_b64 s[0:1], s[8:9], 3
	v_mov_b32_e32 v22, 0
	s_add_u32 s2, s38, s0
	s_addc_u32 s3, s39, s1
	s_load_dword s8, s[4:5], 0x0
	s_load_dwordx2 s[2:3], s[2:3], 0x0
	v_cmp_lt_i64_e64 s4, s[12:13], 1
	v_mov_b32_e32 v16, 0
	v_mov_b32_e32 v18, 0
	;; [unrolled: 1-line block ×13, first 2 shown]
	s_and_b32 s5, s11, s14
	v_mov_b32_e32 v7, 0
	s_or_b32 s4, s5, s4
	s_lshl_b32 s6, s6, 5
	s_and_b32 vcc_lo, exec_lo, s4
	s_lshl_b32 s7, s7, 5
	s_cbranch_vccnz .LBB544_17
; %bb.5:
	s_add_u32 s4, s22, s0
	s_addc_u32 s5, s23, s1
	s_lshl_b64 s[14:15], s[26:27], 4
	s_load_dwordx2 s[4:5], s[4:5], 0x0
	v_lshl_add_u32 v2, v1, 4, v0
	v_and_b32_e32 v24, 7, v0
	v_mov_b32_e32 v6, 0
	v_mov_b32_e32 v8, 0
	;; [unrolled: 1-line block ×3, first 2 shown]
	v_and_b32_e32 v3, 31, v2
	v_lshrrev_b32_e32 v4, 3, v2
	v_lshlrev_b32_e32 v5, 4, v24
	v_lshrrev_b32_e32 v27, 5, v2
	v_mov_b32_e32 v14, 0
	v_or_b32_e32 v10, s6, v3
	v_add_nc_u32_e32 v2, s7, v4
	v_lshl_or_b32 v29, v4, 7, v5
	v_lshlrev_b32_e32 v28, 4, v3
	v_mov_b32_e32 v18, 0
	v_mul_lo_u32 v11, s19, v10
	v_mad_u64_u32 v[4:5], null, s18, v10, 0
	v_ashrrev_i32_e32 v3, 31, v2
	s_waitcnt lgkmcnt(0)
	s_add_u32 s11, s4, s14
	s_addc_u32 s14, s5, s15
	s_add_u32 s0, s16, s0
	s_addc_u32 s1, s17, s1
	s_lshl_b64 s[4:5], s[20:21], 4
	s_load_dwordx2 s[0:1], s[0:1], 0x0
	v_cmp_le_i32_e64 s9, s8, v10
	v_cmp_gt_i32_e32 vcc_lo, s8, v2
	v_mov_b32_e32 v16, 0
	v_mov_b32_e32 v22, 0
	;; [unrolled: 1-line block ×3, first 2 shown]
	v_lshlrev_b32_e32 v25, 4, v0
	v_lshl_add_u32 v26, v1, 7, 0x1000
	v_mov_b32_e32 v7, 0
	v_mov_b32_e32 v9, 0
	v_mov_b32_e32 v13, 0
	v_mov_b32_e32 v15, 0
	v_mov_b32_e32 v19, 0
	v_mov_b32_e32 v17, 0
	v_mov_b32_e32 v23, 0
	v_mov_b32_e32 v21, 0
	v_lshl_or_b32 v28, v27, 9, v28
	v_add_nc_u32_e32 v29, 0x1000, v29
	s_waitcnt lgkmcnt(0)
	s_add_u32 s4, s0, s4
	s_addc_u32 s5, s1, s5
	s_ashr_i32 s1, s6, 31
	v_cmp_gt_i32_e64 s0, s8, v10
	s_mul_i32 s1, s18, s1
	v_add3_u32 v5, v5, s1, v11
	v_lshlrev_b64 v[10:11], 4, v[2:3]
	v_lshlrev_b64 v[2:3], 4, v[4:5]
	v_add_co_u32 v30, s1, s11, v10
	v_add_co_ci_u32_e64 v31, null, s14, v11, s1
	v_add_co_u32 v32, s1, s4, v2
	v_add_co_ci_u32_e64 v33, null, s5, v3, s1
	v_mov_b32_e32 v3, 0
	s_mov_b64 s[4:5], 0
	s_xor_b32 s1, vcc_lo, -1
                                        ; implicit-def: $vgpr10_vgpr11
	s_branch .LBB544_7
.LBB544_6:                              ;   in Loop: Header=BB544_7 Depth=1
	s_or_b32 exec_lo, exec_lo, s11
	s_waitcnt lgkmcnt(0)
	s_barrier
	buffer_gl0_inv
	ds_read_b128 v[34:37], v26
	ds_read_b128 v[38:41], v25
	ds_read_b128 v[42:45], v25 offset:256
	ds_read_b128 v[46:49], v26 offset:2048
	;; [unrolled: 1-line block ×16, first 2 shown]
	s_add_u32 s4, s4, 8
	s_addc_u32 s5, s5, 0
	v_cmp_gt_i64_e64 s11, s[12:13], s[4:5]
	s_waitcnt lgkmcnt(16)
	v_mul_f64 v[4:5], v[36:37], v[40:41]
	v_mul_f64 v[106:107], v[34:35], v[40:41]
	s_waitcnt lgkmcnt(15)
	v_mul_f64 v[108:109], v[36:37], v[44:45]
	v_mul_f64 v[110:111], v[34:35], v[44:45]
	;; [unrolled: 3-line block ×3, first 2 shown]
	v_mul_f64 v[114:115], v[48:49], v[44:45]
	v_mul_f64 v[44:45], v[46:47], v[44:45]
	s_waitcnt lgkmcnt(12)
	v_mul_f64 v[116:117], v[52:53], v[56:57]
	v_mul_f64 v[118:119], v[50:51], v[56:57]
	s_waitcnt lgkmcnt(11)
	;; [unrolled: 3-line block ×3, first 2 shown]
	v_mul_f64 v[124:125], v[64:65], v[56:57]
	v_mul_f64 v[56:57], v[62:63], v[56:57]
	;; [unrolled: 1-line block ×4, first 2 shown]
	s_waitcnt lgkmcnt(7)
	v_mul_f64 v[132:133], v[76:77], v[68:69]
	v_mul_f64 v[134:135], v[74:75], v[68:69]
	;; [unrolled: 1-line block ×4, first 2 shown]
	s_and_b32 vcc_lo, exec_lo, s11
	v_fma_f64 v[4:5], v[34:35], v[38:39], -v[4:5]
	v_fma_f64 v[106:107], v[36:37], v[38:39], v[106:107]
	v_fma_f64 v[108:109], v[34:35], v[42:43], -v[108:109]
	v_fma_f64 v[110:111], v[36:37], v[42:43], v[110:111]
	;; [unrolled: 2-line block ×8, first 2 shown]
	s_waitcnt lgkmcnt(5)
	v_mul_f64 v[60:61], v[84:85], v[68:69]
	v_mul_f64 v[64:65], v[84:85], v[72:73]
	s_waitcnt lgkmcnt(3)
	v_mul_f64 v[126:127], v[88:89], v[92:93]
	ds_read_b128 v[34:37], v26 offset:64
	ds_read_b128 v[38:41], v26 offset:80
	;; [unrolled: 1-line block ×6, first 2 shown]
	v_add_f64 v[4:5], v[20:21], v[4:5]
	v_add_f64 v[20:21], v[106:107], v[22:23]
	;; [unrolled: 1-line block ×3, first 2 shown]
	v_mul_f64 v[22:23], v[82:83], v[68:69]
	v_add_f64 v[18:19], v[110:111], v[18:19]
	v_add_f64 v[14:15], v[14:15], v[112:113]
	v_mul_f64 v[68:69], v[82:83], v[72:73]
	v_add_f64 v[12:13], v[128:129], v[12:13]
	v_add_f64 v[8:9], v[8:9], v[114:115]
	;; [unrolled: 1-line block ×3, first 2 shown]
	v_mul_f64 v[72:73], v[80:81], v[92:93]
	v_mul_f64 v[106:107], v[78:79], v[92:93]
	s_waitcnt lgkmcnt(8)
	v_mul_f64 v[108:109], v[80:81], v[96:97]
	v_mul_f64 v[110:111], v[78:79], v[96:97]
	v_fma_f64 v[112:113], v[74:75], v[66:67], -v[132:133]
	v_fma_f64 v[114:115], v[76:77], v[66:67], v[134:135]
	v_fma_f64 v[74:75], v[74:75], v[70:71], -v[136:137]
	v_fma_f64 v[76:77], v[76:77], v[70:71], v[140:141]
	v_mul_f64 v[92:93], v[86:87], v[92:93]
	v_mul_f64 v[128:129], v[88:89], v[96:97]
	v_fma_f64 v[60:61], v[82:83], v[66:67], -v[60:61]
	v_mul_f64 v[96:97], v[86:87], v[96:97]
	v_add_f64 v[4:5], v[4:5], v[116:117]
	v_add_f64 v[20:21], v[118:119], v[20:21]
	;; [unrolled: 1-line block ×3, first 2 shown]
	v_fma_f64 v[22:23], v[84:85], v[66:67], v[22:23]
	v_add_f64 v[18:19], v[122:123], v[18:19]
	v_add_f64 v[14:15], v[14:15], v[124:125]
	v_fma_f64 v[64:65], v[82:83], v[70:71], -v[64:65]
	v_add_f64 v[12:13], v[138:139], v[12:13]
	v_add_f64 v[8:9], v[8:9], v[62:63]
	v_fma_f64 v[66:67], v[84:85], v[70:71], v[68:69]
	v_add_f64 v[6:7], v[58:59], v[6:7]
	s_waitcnt lgkmcnt(5)
	v_mul_f64 v[116:117], v[36:37], v[100:101]
	v_mul_f64 v[118:119], v[34:35], v[100:101]
	;; [unrolled: 1-line block ×4, first 2 shown]
	s_waitcnt lgkmcnt(1)
	v_mul_f64 v[62:63], v[52:53], v[100:101]
	v_fma_f64 v[68:69], v[78:79], v[90:91], -v[72:73]
	v_fma_f64 v[70:71], v[80:81], v[90:91], v[106:107]
	v_fma_f64 v[72:73], v[78:79], v[94:95], -v[108:109]
	v_fma_f64 v[78:79], v[80:81], v[94:95], v[110:111]
	;; [unrolled: 2-line block ×3, first 2 shown]
	v_add_f64 v[4:5], v[4:5], v[112:113]
	v_add_f64 v[20:21], v[114:115], v[20:21]
	;; [unrolled: 1-line block ×3, first 2 shown]
	v_mul_f64 v[74:75], v[52:53], v[104:105]
	v_add_f64 v[18:19], v[76:77], v[18:19]
	v_add_f64 v[14:15], v[14:15], v[60:61]
	v_mul_f64 v[60:61], v[50:51], v[100:101]
	v_mul_f64 v[76:77], v[50:51], v[104:105]
	v_fma_f64 v[86:87], v[86:87], v[94:95], -v[128:129]
	v_add_f64 v[12:13], v[22:23], v[12:13]
	v_add_f64 v[8:9], v[8:9], v[64:65]
	v_fma_f64 v[88:89], v[88:89], v[94:95], v[96:97]
	v_add_f64 v[66:67], v[66:67], v[6:7]
	v_mul_f64 v[80:81], v[40:41], v[44:45]
	v_mul_f64 v[82:83], v[38:39], v[44:45]
	;; [unrolled: 1-line block ×3, first 2 shown]
	v_fma_f64 v[90:91], v[34:35], v[98:99], -v[116:117]
	v_fma_f64 v[92:93], v[36:37], v[98:99], v[118:119]
	v_fma_f64 v[34:35], v[34:35], v[102:103], -v[120:121]
	v_fma_f64 v[36:37], v[36:37], v[102:103], v[122:123]
	v_fma_f64 v[62:63], v[50:51], v[98:99], -v[62:63]
	v_mul_f64 v[94:95], v[38:39], v[48:49]
	v_add_f64 v[68:69], v[4:5], v[68:69]
	v_add_f64 v[70:71], v[70:71], v[20:21]
	;; [unrolled: 1-line block ×3, first 2 shown]
	s_waitcnt lgkmcnt(0)
	v_mul_f64 v[96:97], v[56:57], v[44:45]
	v_add_f64 v[78:79], v[78:79], v[18:19]
	v_add_f64 v[58:59], v[14:15], v[58:59]
	v_mul_f64 v[44:45], v[54:55], v[44:45]
	v_mul_f64 v[100:101], v[56:57], v[48:49]
	;; [unrolled: 1-line block ×3, first 2 shown]
	v_fma_f64 v[60:61], v[52:53], v[98:99], v[60:61]
	v_fma_f64 v[50:51], v[50:51], v[102:103], -v[74:75]
	v_add_f64 v[74:75], v[84:85], v[12:13]
	v_add_f64 v[8:9], v[8:9], v[86:87]
	v_fma_f64 v[52:53], v[52:53], v[102:103], v[76:77]
	v_add_f64 v[66:67], v[88:89], v[66:67]
	ds_read_b128 v[4:7], v26 offset:96
	ds_read_b128 v[12:15], v25 offset:3072
	ds_read_b128 v[16:19], v25 offset:3328
	ds_read_b128 v[20:23], v26 offset:2144
	v_fma_f64 v[76:77], v[38:39], v[42:43], -v[80:81]
	v_fma_f64 v[64:65], v[38:39], v[46:47], -v[64:65]
	v_fma_f64 v[80:81], v[40:41], v[46:47], v[94:95]
	v_add_f64 v[68:69], v[68:69], v[90:91]
	v_add_f64 v[70:71], v[92:93], v[70:71]
	;; [unrolled: 1-line block ×5, first 2 shown]
	v_fma_f64 v[62:63], v[40:41], v[42:43], v[82:83]
	v_fma_f64 v[82:83], v[54:55], v[42:43], -v[96:97]
	v_fma_f64 v[84:85], v[56:57], v[42:43], v[44:45]
	v_fma_f64 v[54:55], v[54:55], v[46:47], -v[100:101]
	v_fma_f64 v[56:57], v[56:57], v[46:47], v[48:49]
	v_add_f64 v[60:61], v[60:61], v[74:75]
	v_add_f64 v[8:9], v[8:9], v[50:51]
	s_waitcnt lgkmcnt(2)
	v_mul_f64 v[50:51], v[6:7], v[14:15]
	v_mul_f64 v[74:75], v[4:5], v[14:15]
	s_waitcnt lgkmcnt(1)
	v_mul_f64 v[86:87], v[6:7], v[18:19]
	v_mul_f64 v[88:89], v[4:5], v[18:19]
	;; [unrolled: 3-line block ×3, first 2 shown]
	v_mul_f64 v[92:93], v[22:23], v[18:19]
	v_add_f64 v[52:53], v[52:53], v[66:67]
	v_mul_f64 v[18:19], v[20:21], v[18:19]
	ds_read_b128 v[34:37], v26 offset:112
	ds_read_b128 v[38:41], v26 offset:2160
	;; [unrolled: 1-line block ×4, first 2 shown]
	v_add_f64 v[66:67], v[68:69], v[76:77]
	v_add_f64 v[64:65], v[72:73], v[64:65]
	;; [unrolled: 1-line block ×5, first 2 shown]
	s_waitcnt lgkmcnt(0)
	s_barrier
	buffer_gl0_inv
	v_add_f64 v[60:61], v[84:85], v[60:61]
	v_add_f64 v[8:9], v[8:9], v[54:55]
	v_fma_f64 v[50:51], v[4:5], v[12:13], -v[50:51]
	v_fma_f64 v[54:55], v[6:7], v[12:13], v[74:75]
	v_fma_f64 v[4:5], v[4:5], v[16:17], -v[86:87]
	v_fma_f64 v[6:7], v[6:7], v[16:17], v[88:89]
	;; [unrolled: 2-line block ×3, first 2 shown]
	v_fma_f64 v[14:15], v[20:21], v[16:17], -v[92:93]
	v_add_f64 v[20:21], v[56:57], v[52:53]
	v_fma_f64 v[16:17], v[22:23], v[16:17], v[18:19]
	v_mul_f64 v[18:19], v[36:37], v[44:45]
	v_mul_f64 v[22:23], v[34:35], v[44:45]
	;; [unrolled: 1-line block ×8, first 2 shown]
	v_add_f64 v[50:51], v[66:67], v[50:51]
	v_add_f64 v[54:55], v[54:55], v[62:63]
	v_add_f64 v[4:5], v[64:65], v[4:5]
	v_add_f64 v[6:7], v[6:7], v[68:69]
	v_add_f64 v[58:59], v[58:59], v[70:71]
	v_add_f64 v[12:13], v[12:13], v[60:61]
	v_add_f64 v[8:9], v[8:9], v[14:15]
	v_add_f64 v[60:61], v[16:17], v[20:21]
	v_fma_f64 v[14:15], v[34:35], v[42:43], -v[18:19]
	v_fma_f64 v[16:17], v[36:37], v[42:43], v[22:23]
	v_fma_f64 v[18:19], v[34:35], v[46:47], -v[52:53]
	v_fma_f64 v[34:35], v[36:37], v[46:47], v[56:57]
	;; [unrolled: 2-line block ×4, first 2 shown]
	v_add_f64 v[20:21], v[50:51], v[14:15]
	v_add_f64 v[22:23], v[16:17], v[54:55]
	;; [unrolled: 1-line block ×8, first 2 shown]
	s_cbranch_vccz .LBB544_17
.LBB544_7:                              ; =>This Inner Loop Header: Depth=1
	s_mov_b32 s15, s9
	s_mov_b32 s11, 0
	s_and_saveexec_b32 s14, s0
	s_cbranch_execnz .LBB544_15
; %bb.8:                                ;   in Loop: Header=BB544_7 Depth=1
	s_or_b32 exec_lo, exec_lo, s14
	s_and_saveexec_b32 s14, s15
	s_xor_b32 s14, exec_lo, s14
	s_cbranch_execnz .LBB544_16
.LBB544_9:                              ;   in Loop: Header=BB544_7 Depth=1
	s_or_b32 exec_lo, exec_lo, s14
	s_and_saveexec_b32 s14, s11
	s_cbranch_execz .LBB544_11
.LBB544_10:                             ;   in Loop: Header=BB544_7 Depth=1
	v_lshlrev_b64 v[4:5], 4, v[10:11]
	v_add_co_u32 v4, vcc_lo, v32, v4
	v_add_co_ci_u32_e64 v5, null, v33, v5, vcc_lo
	flat_load_dwordx4 v[34:37], v[4:5]
	s_waitcnt vmcnt(0) lgkmcnt(0)
	ds_write2_b64 v28, v[34:35], v[36:37] offset1:1
.LBB544_11:                             ;   in Loop: Header=BB544_7 Depth=1
	s_or_b32 exec_lo, exec_lo, s14
	v_add_nc_u32_e32 v2, s4, v24
	v_cmp_le_u64_e32 vcc_lo, s[12:13], v[2:3]
	s_or_b32 s11, vcc_lo, s1
	s_and_saveexec_b32 s14, s11
	s_xor_b32 s11, exec_lo, s14
	s_cbranch_execz .LBB544_13
; %bb.12:                               ;   in Loop: Header=BB544_7 Depth=1
	v_mov_b32_e32 v2, v3
	v_mov_b32_e32 v4, v3
	v_mov_b32_e32 v5, v3
	ds_write_b128 v29, v[2:5]
.LBB544_13:                             ;   in Loop: Header=BB544_7 Depth=1
	s_andn2_saveexec_b32 s11, s11
	s_cbranch_execz .LBB544_6
; %bb.14:                               ;   in Loop: Header=BB544_7 Depth=1
	v_mad_u64_u32 v[4:5], null, s24, v2, 0
	v_mad_u64_u32 v[34:35], null, s25, v2, v[5:6]
	v_mov_b32_e32 v5, v34
	v_lshlrev_b64 v[4:5], 4, v[4:5]
	v_add_co_u32 v4, vcc_lo, v30, v4
	v_add_co_ci_u32_e64 v5, null, v31, v5, vcc_lo
	flat_load_dwordx4 v[34:37], v[4:5]
	s_waitcnt vmcnt(0) lgkmcnt(0)
	ds_write2_b64 v29, v[34:35], v[36:37] offset1:1
	s_branch .LBB544_6
.LBB544_15:                             ;   in Loop: Header=BB544_7 Depth=1
	v_add_nc_u32_e32 v2, s4, v27
	v_mov_b32_e32 v11, v3
	s_andn2_b32 s15, s9, exec_lo
	s_mov_b32 s11, exec_lo
	v_cmp_le_u64_e32 vcc_lo, s[12:13], v[2:3]
	v_mov_b32_e32 v10, v2
	s_and_b32 s16, vcc_lo, exec_lo
	s_or_b32 s15, s15, s16
	s_or_b32 exec_lo, exec_lo, s14
	s_and_saveexec_b32 s14, s15
	s_xor_b32 s14, exec_lo, s14
	s_cbranch_execz .LBB544_9
.LBB544_16:                             ;   in Loop: Header=BB544_7 Depth=1
	v_mov_b32_e32 v2, v3
	v_mov_b32_e32 v4, v3
	;; [unrolled: 1-line block ×3, first 2 shown]
	s_andn2_b32 s11, s11, exec_lo
	ds_write_b128 v28, v[2:5]
	s_or_b32 exec_lo, exec_lo, s14
	s_and_saveexec_b32 s14, s11
	s_cbranch_execnz .LBB544_10
	s_branch .LBB544_11
.LBB544_17:
	v_add_nc_u32_e32 v25, s7, v1
	v_cmp_neq_f64_e64 s4, s[28:29], 0
	s_lshl_b64 s[0:1], s[42:43], 4
	s_waitcnt lgkmcnt(0)
	s_add_u32 s2, s2, s0
	v_ashrrev_i32_e32 v3, 31, v25
	v_mul_lo_u32 v4, s41, v25
	v_mad_u64_u32 v[1:2], null, s40, v25, 0
	s_addc_u32 s3, s3, s1
	v_mul_lo_u32 v3, s40, v3
	s_xor_b32 s5, s10, -1
	v_cmp_gt_i32_e64 s0, s8, v25
	v_add3_u32 v2, v2, v3, v4
	v_add_nc_u32_e32 v4, s6, v0
	s_or_b32 s4, s4, s5
	v_lshlrev_b64 v[0:1], 4, v[1:2]
	v_cmp_le_i32_e32 vcc_lo, v4, v25
	v_ashrrev_i32_e32 v5, 31, v4
	v_cndmask_b32_e64 v24, 0, 1, s4
	s_and_b32 s5, s0, vcc_lo
	v_add_co_u32 v26, s1, s2, v0
	v_add_co_ci_u32_e64 v27, null, s3, v1, s1
	s_and_saveexec_b32 s1, s5
	s_cbranch_execz .LBB544_21
; %bb.18:
	v_mul_f64 v[0:1], s[46:47], v[22:23]
	v_mul_f64 v[2:3], s[44:45], v[22:23]
	v_lshlrev_b64 v[10:11], 4, v[4:5]
	v_add_co_u32 v10, vcc_lo, v26, v10
	v_add_co_ci_u32_e64 v11, null, v27, v11, vcc_lo
	s_andn2_b32 vcc_lo, exec_lo, s4
	v_fma_f64 v[0:1], s[44:45], v[20:21], -v[0:1]
	v_fma_f64 v[2:3], s[46:47], v[20:21], v[2:3]
	s_cbranch_vccnz .LBB544_20
; %bb.19:
	flat_load_dwordx4 v[20:23], v[10:11]
	s_waitcnt vmcnt(0) lgkmcnt(0)
	v_mul_f64 v[28:29], s[30:31], v[22:23]
	v_mul_f64 v[22:23], s[28:29], v[22:23]
	v_fma_f64 v[28:29], s[28:29], v[20:21], -v[28:29]
	v_fma_f64 v[20:21], s[30:31], v[20:21], v[22:23]
	v_add_f64 v[0:1], v[0:1], v[28:29]
	v_add_f64 v[2:3], v[2:3], v[20:21]
.LBB544_20:
	flat_store_dwordx4 v[10:11], v[0:3]
.LBB544_21:
	s_or_b32 exec_lo, exec_lo, s1
	v_add_nc_u32_e32 v10, 16, v4
	v_cmp_le_i32_e32 vcc_lo, v10, v25
	v_ashrrev_i32_e32 v11, 31, v10
	s_and_b32 s0, s0, vcc_lo
	s_and_saveexec_b32 s1, s0
	s_cbranch_execz .LBB544_25
; %bb.22:
	v_mul_f64 v[0:1], s[46:47], v[18:19]
	v_mul_f64 v[2:3], s[44:45], v[18:19]
	v_cmp_ne_u32_e32 vcc_lo, 1, v24
	s_and_b32 vcc_lo, exec_lo, vcc_lo
	v_fma_f64 v[0:1], s[44:45], v[16:17], -v[0:1]
	v_fma_f64 v[2:3], s[46:47], v[16:17], v[2:3]
	v_lshlrev_b64 v[16:17], 4, v[10:11]
	v_add_co_u32 v16, s0, v26, v16
	v_add_co_ci_u32_e64 v17, null, v27, v17, s0
	s_cbranch_vccnz .LBB544_24
; %bb.23:
	flat_load_dwordx4 v[18:21], v[16:17]
	s_waitcnt vmcnt(0) lgkmcnt(0)
	v_mul_f64 v[22:23], s[30:31], v[20:21]
	v_mul_f64 v[20:21], s[28:29], v[20:21]
	v_fma_f64 v[22:23], s[28:29], v[18:19], -v[22:23]
	v_fma_f64 v[18:19], s[30:31], v[18:19], v[20:21]
	v_add_f64 v[0:1], v[0:1], v[22:23]
	v_add_f64 v[2:3], v[2:3], v[18:19]
.LBB544_24:
	flat_store_dwordx4 v[16:17], v[0:3]
.LBB544_25:
	s_or_b32 exec_lo, exec_lo, s1
	v_add_nc_u32_e32 v18, 16, v25
	v_ashrrev_i32_e32 v2, 31, v18
	v_mul_lo_u32 v3, s41, v18
	v_mad_u64_u32 v[0:1], null, s40, v18, 0
	v_cmp_gt_i32_e64 s0, s8, v18
	v_mul_lo_u32 v2, s40, v2
	v_cmp_le_i32_e32 vcc_lo, v4, v18
	v_add3_u32 v1, v1, v2, v3
	v_lshlrev_b64 v[0:1], 4, v[0:1]
	v_add_co_u32 v16, s1, s2, v0
	v_add_co_ci_u32_e64 v17, null, s3, v1, s1
	s_and_b32 s1, s0, vcc_lo
	s_and_saveexec_b32 s2, s1
	s_cbranch_execz .LBB544_29
; %bb.26:
	v_mul_f64 v[0:1], s[46:47], v[12:13]
	v_mul_f64 v[2:3], s[44:45], v[12:13]
	v_lshlrev_b64 v[4:5], 4, v[4:5]
	v_cmp_ne_u32_e32 vcc_lo, 1, v24
	s_and_b32 vcc_lo, exec_lo, vcc_lo
	v_add_co_u32 v4, s1, v16, v4
	v_add_co_ci_u32_e64 v5, null, v17, v5, s1
	v_fma_f64 v[0:1], s[44:45], v[14:15], -v[0:1]
	v_fma_f64 v[2:3], s[46:47], v[14:15], v[2:3]
	s_cbranch_vccnz .LBB544_28
; %bb.27:
	flat_load_dwordx4 v[12:15], v[4:5]
	s_waitcnt vmcnt(0) lgkmcnt(0)
	v_mul_f64 v[19:20], s[30:31], v[14:15]
	v_mul_f64 v[14:15], s[28:29], v[14:15]
	v_fma_f64 v[19:20], s[28:29], v[12:13], -v[19:20]
	v_fma_f64 v[12:13], s[30:31], v[12:13], v[14:15]
	v_add_f64 v[0:1], v[0:1], v[19:20]
	v_add_f64 v[2:3], v[2:3], v[12:13]
.LBB544_28:
	flat_store_dwordx4 v[4:5], v[0:3]
.LBB544_29:
	s_or_b32 exec_lo, exec_lo, s2
	v_cmp_le_i32_e32 vcc_lo, v10, v18
	s_and_b32 s0, s0, vcc_lo
	s_and_saveexec_b32 s1, s0
	s_cbranch_execz .LBB544_34
; %bb.30:
	v_mul_f64 v[0:1], s[46:47], v[6:7]
	v_mul_f64 v[2:3], s[44:45], v[6:7]
	v_lshlrev_b64 v[4:5], 4, v[10:11]
	v_cmp_ne_u32_e32 vcc_lo, 1, v24
	s_and_b32 vcc_lo, exec_lo, vcc_lo
	v_add_co_u32 v4, s0, v16, v4
	v_add_co_ci_u32_e64 v5, null, v17, v5, s0
	v_fma_f64 v[0:1], s[44:45], v[8:9], -v[0:1]
	v_fma_f64 v[2:3], s[46:47], v[8:9], v[2:3]
	s_cbranch_vccnz .LBB544_32
; %bb.31:
	flat_load_dwordx4 v[6:9], v[4:5]
	s_waitcnt vmcnt(0) lgkmcnt(0)
	v_mul_f64 v[10:11], s[30:31], v[8:9]
	v_mul_f64 v[8:9], s[28:29], v[8:9]
	v_fma_f64 v[10:11], s[28:29], v[6:7], -v[10:11]
	v_fma_f64 v[6:7], s[30:31], v[6:7], v[8:9]
	v_add_f64 v[0:1], v[0:1], v[10:11]
	v_add_f64 v[2:3], v[2:3], v[6:7]
.LBB544_32:
	flat_store_dwordx4 v[4:5], v[0:3]
	s_endpgm
.LBB544_33:
.LBB544_34:
	s_endpgm
	.section	.rodata,"a",@progbits
	.p2align	6, 0x0
	.amdhsa_kernel _ZL29rocblas_internal_gemmt_kernelIlLi16ELi32ELi8ELc84ELc84ELc85ELb0ELb0E19rocblas_complex_numIdEPKS1_PKS3_PKPS1_EviT_T9_T10_S9_lSB_S9_lSA_T11_S9_li
		.amdhsa_group_segment_fixed_size 8192
		.amdhsa_private_segment_fixed_size 0
		.amdhsa_kernarg_size 108
		.amdhsa_user_sgpr_count 6
		.amdhsa_user_sgpr_private_segment_buffer 1
		.amdhsa_user_sgpr_dispatch_ptr 0
		.amdhsa_user_sgpr_queue_ptr 0
		.amdhsa_user_sgpr_kernarg_segment_ptr 1
		.amdhsa_user_sgpr_dispatch_id 0
		.amdhsa_user_sgpr_flat_scratch_init 0
		.amdhsa_user_sgpr_private_segment_size 0
		.amdhsa_wavefront_size32 1
		.amdhsa_uses_dynamic_stack 0
		.amdhsa_system_sgpr_private_segment_wavefront_offset 0
		.amdhsa_system_sgpr_workgroup_id_x 1
		.amdhsa_system_sgpr_workgroup_id_y 1
		.amdhsa_system_sgpr_workgroup_id_z 1
		.amdhsa_system_sgpr_workgroup_info 0
		.amdhsa_system_vgpr_workitem_id 1
		.amdhsa_next_free_vgpr 142
		.amdhsa_next_free_sgpr 48
		.amdhsa_reserve_vcc 1
		.amdhsa_reserve_flat_scratch 0
		.amdhsa_float_round_mode_32 0
		.amdhsa_float_round_mode_16_64 0
		.amdhsa_float_denorm_mode_32 3
		.amdhsa_float_denorm_mode_16_64 3
		.amdhsa_dx10_clamp 1
		.amdhsa_ieee_mode 1
		.amdhsa_fp16_overflow 0
		.amdhsa_workgroup_processor_mode 1
		.amdhsa_memory_ordered 1
		.amdhsa_forward_progress 1
		.amdhsa_shared_vgpr_count 0
		.amdhsa_exception_fp_ieee_invalid_op 0
		.amdhsa_exception_fp_denorm_src 0
		.amdhsa_exception_fp_ieee_div_zero 0
		.amdhsa_exception_fp_ieee_overflow 0
		.amdhsa_exception_fp_ieee_underflow 0
		.amdhsa_exception_fp_ieee_inexact 0
		.amdhsa_exception_int_div_zero 0
	.end_amdhsa_kernel
	.section	.text._ZL29rocblas_internal_gemmt_kernelIlLi16ELi32ELi8ELc84ELc84ELc85ELb0ELb0E19rocblas_complex_numIdEPKS1_PKS3_PKPS1_EviT_T9_T10_S9_lSB_S9_lSA_T11_S9_li,"axG",@progbits,_ZL29rocblas_internal_gemmt_kernelIlLi16ELi32ELi8ELc84ELc84ELc85ELb0ELb0E19rocblas_complex_numIdEPKS1_PKS3_PKPS1_EviT_T9_T10_S9_lSB_S9_lSA_T11_S9_li,comdat
.Lfunc_end544:
	.size	_ZL29rocblas_internal_gemmt_kernelIlLi16ELi32ELi8ELc84ELc84ELc85ELb0ELb0E19rocblas_complex_numIdEPKS1_PKS3_PKPS1_EviT_T9_T10_S9_lSB_S9_lSA_T11_S9_li, .Lfunc_end544-_ZL29rocblas_internal_gemmt_kernelIlLi16ELi32ELi8ELc84ELc84ELc85ELb0ELb0E19rocblas_complex_numIdEPKS1_PKS3_PKPS1_EviT_T9_T10_S9_lSB_S9_lSA_T11_S9_li
                                        ; -- End function
	.set _ZL29rocblas_internal_gemmt_kernelIlLi16ELi32ELi8ELc84ELc84ELc85ELb0ELb0E19rocblas_complex_numIdEPKS1_PKS3_PKPS1_EviT_T9_T10_S9_lSB_S9_lSA_T11_S9_li.num_vgpr, 142
	.set _ZL29rocblas_internal_gemmt_kernelIlLi16ELi32ELi8ELc84ELc84ELc85ELb0ELb0E19rocblas_complex_numIdEPKS1_PKS3_PKPS1_EviT_T9_T10_S9_lSB_S9_lSA_T11_S9_li.num_agpr, 0
	.set _ZL29rocblas_internal_gemmt_kernelIlLi16ELi32ELi8ELc84ELc84ELc85ELb0ELb0E19rocblas_complex_numIdEPKS1_PKS3_PKPS1_EviT_T9_T10_S9_lSB_S9_lSA_T11_S9_li.numbered_sgpr, 48
	.set _ZL29rocblas_internal_gemmt_kernelIlLi16ELi32ELi8ELc84ELc84ELc85ELb0ELb0E19rocblas_complex_numIdEPKS1_PKS3_PKPS1_EviT_T9_T10_S9_lSB_S9_lSA_T11_S9_li.num_named_barrier, 0
	.set _ZL29rocblas_internal_gemmt_kernelIlLi16ELi32ELi8ELc84ELc84ELc85ELb0ELb0E19rocblas_complex_numIdEPKS1_PKS3_PKPS1_EviT_T9_T10_S9_lSB_S9_lSA_T11_S9_li.private_seg_size, 0
	.set _ZL29rocblas_internal_gemmt_kernelIlLi16ELi32ELi8ELc84ELc84ELc85ELb0ELb0E19rocblas_complex_numIdEPKS1_PKS3_PKPS1_EviT_T9_T10_S9_lSB_S9_lSA_T11_S9_li.uses_vcc, 1
	.set _ZL29rocblas_internal_gemmt_kernelIlLi16ELi32ELi8ELc84ELc84ELc85ELb0ELb0E19rocblas_complex_numIdEPKS1_PKS3_PKPS1_EviT_T9_T10_S9_lSB_S9_lSA_T11_S9_li.uses_flat_scratch, 0
	.set _ZL29rocblas_internal_gemmt_kernelIlLi16ELi32ELi8ELc84ELc84ELc85ELb0ELb0E19rocblas_complex_numIdEPKS1_PKS3_PKPS1_EviT_T9_T10_S9_lSB_S9_lSA_T11_S9_li.has_dyn_sized_stack, 0
	.set _ZL29rocblas_internal_gemmt_kernelIlLi16ELi32ELi8ELc84ELc84ELc85ELb0ELb0E19rocblas_complex_numIdEPKS1_PKS3_PKPS1_EviT_T9_T10_S9_lSB_S9_lSA_T11_S9_li.has_recursion, 0
	.set _ZL29rocblas_internal_gemmt_kernelIlLi16ELi32ELi8ELc84ELc84ELc85ELb0ELb0E19rocblas_complex_numIdEPKS1_PKS3_PKPS1_EviT_T9_T10_S9_lSB_S9_lSA_T11_S9_li.has_indirect_call, 0
	.section	.AMDGPU.csdata,"",@progbits
; Kernel info:
; codeLenInByte = 3628
; TotalNumSgprs: 50
; NumVgprs: 142
; ScratchSize: 0
; MemoryBound: 0
; FloatMode: 240
; IeeeMode: 1
; LDSByteSize: 8192 bytes/workgroup (compile time only)
; SGPRBlocks: 0
; VGPRBlocks: 17
; NumSGPRsForWavesPerEU: 50
; NumVGPRsForWavesPerEU: 142
; Occupancy: 7
; WaveLimiterHint : 1
; COMPUTE_PGM_RSRC2:SCRATCH_EN: 0
; COMPUTE_PGM_RSRC2:USER_SGPR: 6
; COMPUTE_PGM_RSRC2:TRAP_HANDLER: 0
; COMPUTE_PGM_RSRC2:TGID_X_EN: 1
; COMPUTE_PGM_RSRC2:TGID_Y_EN: 1
; COMPUTE_PGM_RSRC2:TGID_Z_EN: 1
; COMPUTE_PGM_RSRC2:TIDIG_COMP_CNT: 1
	.section	.text._ZL29rocblas_internal_gemmt_kernelIlLi16ELi32ELi8ELc84ELc67ELc85ELb0ELb1E19rocblas_complex_numIdEPKS1_PKS3_PKPS1_EviT_T9_T10_S9_lSB_S9_lSA_T11_S9_li,"axG",@progbits,_ZL29rocblas_internal_gemmt_kernelIlLi16ELi32ELi8ELc84ELc67ELc85ELb0ELb1E19rocblas_complex_numIdEPKS1_PKS3_PKPS1_EviT_T9_T10_S9_lSB_S9_lSA_T11_S9_li,comdat
	.globl	_ZL29rocblas_internal_gemmt_kernelIlLi16ELi32ELi8ELc84ELc67ELc85ELb0ELb1E19rocblas_complex_numIdEPKS1_PKS3_PKPS1_EviT_T9_T10_S9_lSB_S9_lSA_T11_S9_li ; -- Begin function _ZL29rocblas_internal_gemmt_kernelIlLi16ELi32ELi8ELc84ELc67ELc85ELb0ELb1E19rocblas_complex_numIdEPKS1_PKS3_PKPS1_EviT_T9_T10_S9_lSB_S9_lSA_T11_S9_li
	.p2align	8
	.type	_ZL29rocblas_internal_gemmt_kernelIlLi16ELi32ELi8ELc84ELc67ELc85ELb0ELb1E19rocblas_complex_numIdEPKS1_PKS3_PKPS1_EviT_T9_T10_S9_lSB_S9_lSA_T11_S9_li,@function
_ZL29rocblas_internal_gemmt_kernelIlLi16ELi32ELi8ELc84ELc67ELc85ELb0ELb1E19rocblas_complex_numIdEPKS1_PKS3_PKPS1_EviT_T9_T10_S9_lSB_S9_lSA_T11_S9_li: ; @_ZL29rocblas_internal_gemmt_kernelIlLi16ELi32ELi8ELc84ELc67ELc85ELb0ELb1E19rocblas_complex_numIdEPKS1_PKS3_PKPS1_EviT_T9_T10_S9_lSB_S9_lSA_T11_S9_li
; %bb.0:
	s_load_dwordx8 s[36:43], s[4:5], 0x48
	s_waitcnt lgkmcnt(0)
	s_load_dwordx4 s[28:31], s[36:37], 0x0
	s_load_dwordx16 s[12:27], s[4:5], 0x8
	s_waitcnt lgkmcnt(0)
	v_cmp_eq_f64_e64 s0, s[28:29], 1.0
	v_cmp_eq_f64_e64 s10, s[30:31], 0
	s_load_dwordx4 s[44:47], s[14:15], 0x0
	s_and_b32 s0, s0, s10
	s_andn2_b32 vcc_lo, exec_lo, s0
	s_mov_b32 s0, -1
	s_cbranch_vccnz .LBB545_3
; %bb.1:
	s_cmp_lg_u64 s[12:13], 0
	s_cbranch_scc0 .LBB545_31
; %bb.2:
	s_waitcnt lgkmcnt(0)
	v_cmp_neq_f64_e64 s0, s[44:45], 0
	v_cmp_neq_f64_e64 s1, s[46:47], 0
	s_or_b32 s0, s0, s1
.LBB545_3:
	s_and_b32 vcc_lo, exec_lo, s0
	s_cbranch_vccz .LBB545_32
; %bb.4:
	s_waitcnt lgkmcnt(0)
	v_cmp_eq_f64_e64 s11, s[44:45], 0
	v_cmp_eq_f64_e64 s14, s[46:47], 0
	s_mov_b32 s9, 0
	v_mov_b32_e32 v22, 0
	s_lshl_b64 s[0:1], s[8:9], 3
	v_mov_b32_e32 v24, 0
	s_add_u32 s2, s38, s0
	s_addc_u32 s3, s39, s1
	s_load_dword s8, s[4:5], 0x0
	s_load_dwordx2 s[2:3], s[2:3], 0x0
	v_cmp_lt_i64_e64 s4, s[12:13], 1
	v_mov_b32_e32 v18, 0
	v_mov_b32_e32 v20, 0
	;; [unrolled: 1-line block ×13, first 2 shown]
	s_and_b32 s5, s11, s14
	v_mov_b32_e32 v11, 0
	s_or_b32 s4, s5, s4
	s_lshl_b32 s6, s6, 5
	s_and_b32 vcc_lo, exec_lo, s4
	s_lshl_b32 s7, s7, 5
	s_cbranch_vccnz .LBB545_15
; %bb.5:
	s_add_u32 s4, s22, s0
	s_addc_u32 s5, s23, s1
	s_lshl_b64 s[14:15], s[26:27], 4
	s_load_dwordx2 s[4:5], s[4:5], 0x0
	v_lshl_add_u32 v2, v1, 4, v0
	v_and_b32_e32 v26, 7, v0
	v_mov_b32_e32 v10, 0
	v_mov_b32_e32 v12, 0
	;; [unrolled: 1-line block ×3, first 2 shown]
	v_and_b32_e32 v3, 31, v2
	v_lshrrev_b32_e32 v4, 3, v2
	v_lshlrev_b32_e32 v5, 4, v26
	v_lshrrev_b32_e32 v29, 5, v2
	v_mov_b32_e32 v14, 0
	v_or_b32_e32 v6, s6, v3
	v_add_nc_u32_e32 v2, s7, v4
	v_lshl_or_b32 v9, v4, 7, v5
	v_lshlrev_b32_e32 v8, 4, v3
	v_mov_b32_e32 v20, 0
	v_mul_lo_u32 v7, s19, v6
	v_mad_u64_u32 v[4:5], null, s18, v6, 0
	v_ashrrev_i32_e32 v3, 31, v2
	s_waitcnt lgkmcnt(0)
	s_add_u32 s11, s4, s14
	s_addc_u32 s14, s5, s15
	s_add_u32 s0, s16, s0
	s_addc_u32 s1, s17, s1
	s_lshl_b64 s[4:5], s[20:21], 4
	s_load_dwordx2 s[0:1], s[0:1], 0x0
	v_cmp_le_i32_e64 s9, s8, v6
	v_mov_b32_e32 v18, 0
	v_mov_b32_e32 v24, 0
	;; [unrolled: 1-line block ×3, first 2 shown]
	v_lshlrev_b32_e32 v27, 4, v0
	v_lshl_add_u32 v28, v1, 7, 0x1000
	v_mov_b32_e32 v11, 0
	v_mov_b32_e32 v13, 0
	;; [unrolled: 1-line block ×8, first 2 shown]
	v_lshl_or_b32 v30, v29, 9, v8
	v_add_nc_u32_e32 v31, 0x1000, v9
                                        ; implicit-def: $vgpr8_vgpr9
	s_waitcnt lgkmcnt(0)
	s_add_u32 s4, s0, s4
	s_addc_u32 s5, s1, s5
	s_ashr_i32 s1, s6, 31
	v_cmp_gt_i32_e64 s0, s8, v6
	s_mul_i32 s1, s18, s1
	v_add3_u32 v5, v5, s1, v7
	v_lshlrev_b64 v[6:7], 4, v[2:3]
	v_cmp_gt_i32_e64 s1, s8, v2
	v_lshlrev_b64 v[2:3], 4, v[4:5]
	v_add_co_u32 v32, vcc_lo, s11, v6
	v_add_co_ci_u32_e64 v33, null, s14, v7, vcc_lo
	v_add_co_u32 v34, vcc_lo, s4, v2
	v_add_co_ci_u32_e64 v35, null, s5, v3, vcc_lo
	v_mov_b32_e32 v3, 0
	s_mov_b64 s[4:5], 0
	s_branch .LBB545_7
.LBB545_6:                              ;   in Loop: Header=BB545_7 Depth=1
	s_or_b32 exec_lo, exec_lo, s11
	ds_write_b128 v31, v[4:7]
	s_waitcnt lgkmcnt(0)
	s_barrier
	buffer_gl0_inv
	ds_read_b128 v[4:7], v28
	ds_read_b128 v[36:39], v27
	ds_read_b128 v[40:43], v27 offset:256
	ds_read_b128 v[44:47], v28 offset:2048
	;; [unrolled: 1-line block ×11, first 2 shown]
	s_add_u32 s4, s4, 8
	s_addc_u32 s5, s5, 0
	v_cmp_gt_i64_e64 s11, s[12:13], s[4:5]
	s_waitcnt lgkmcnt(11)
	v_mul_f64 v[84:85], v[6:7], v[38:39]
	v_mul_f64 v[86:87], v[4:5], v[38:39]
	s_waitcnt lgkmcnt(10)
	v_mul_f64 v[88:89], v[6:7], v[42:43]
	v_mul_f64 v[90:91], v[4:5], v[42:43]
	;; [unrolled: 3-line block ×3, first 2 shown]
	v_mul_f64 v[94:95], v[46:47], v[42:43]
	v_mul_f64 v[42:43], v[44:45], v[42:43]
	s_waitcnt lgkmcnt(7)
	v_mul_f64 v[96:97], v[50:51], v[54:55]
	v_mul_f64 v[98:99], v[48:49], v[54:55]
	s_waitcnt lgkmcnt(6)
	v_mul_f64 v[100:101], v[50:51], v[58:59]
	s_waitcnt lgkmcnt(5)
	v_mul_f64 v[104:105], v[62:63], v[54:55]
	v_mul_f64 v[54:55], v[60:61], v[54:55]
	;; [unrolled: 1-line block ×5, first 2 shown]
	s_waitcnt lgkmcnt(3)
	v_mul_f64 v[108:109], v[70:71], v[66:67]
	v_mul_f64 v[110:111], v[68:69], v[66:67]
	s_and_b32 vcc_lo, exec_lo, s11
	v_fma_f64 v[84:85], v[4:5], v[36:37], -v[84:85]
	v_fma_f64 v[86:87], v[6:7], v[36:37], v[86:87]
	v_fma_f64 v[88:89], v[4:5], v[40:41], -v[88:89]
	v_fma_f64 v[90:91], v[6:7], v[40:41], v[90:91]
	;; [unrolled: 2-line block ×3, first 2 shown]
	v_fma_f64 v[94:95], v[44:45], v[40:41], -v[94:95]
	ds_read_b128 v[4:7], v27 offset:1536
	s_waitcnt lgkmcnt(3)
	v_mul_f64 v[112:113], v[70:71], v[74:75]
	v_mul_f64 v[114:115], v[68:69], v[74:75]
	v_fma_f64 v[118:119], v[46:47], v[40:41], v[42:43]
	v_fma_f64 v[96:97], v[48:49], v[52:53], -v[96:97]
	v_fma_f64 v[98:99], v[50:51], v[52:53], v[98:99]
	v_fma_f64 v[48:49], v[48:49], v[56:57], -v[100:101]
	s_waitcnt lgkmcnt(2)
	v_mul_f64 v[44:45], v[78:79], v[66:67]
	v_fma_f64 v[100:101], v[60:61], v[52:53], -v[104:105]
	v_fma_f64 v[52:53], v[62:63], v[52:53], v[54:55]
	v_mul_f64 v[46:47], v[76:77], v[66:67]
	v_mul_f64 v[54:55], v[78:79], v[74:75]
	v_mul_f64 v[66:67], v[76:77], v[74:75]
	v_fma_f64 v[50:51], v[50:51], v[56:57], v[102:103]
	v_fma_f64 v[60:61], v[60:61], v[56:57], -v[106:107]
	v_fma_f64 v[56:57], v[62:63], v[56:57], v[58:59]
	v_fma_f64 v[58:59], v[68:69], v[64:65], -v[108:109]
	v_fma_f64 v[62:63], v[70:71], v[64:65], v[110:111]
	v_add_f64 v[84:85], v[22:23], v[84:85]
	v_add_f64 v[86:87], v[86:87], v[24:25]
	;; [unrolled: 1-line block ×5, first 2 shown]
	v_fma_f64 v[68:69], v[68:69], v[72:73], -v[112:113]
	v_fma_f64 v[70:71], v[70:71], v[72:73], v[114:115]
	v_add_f64 v[106:107], v[116:117], v[16:17]
	ds_read_b128 v[36:39], v27 offset:1792
	ds_read_b128 v[40:43], v28 offset:2096
	s_waitcnt lgkmcnt(2)
	v_mul_f64 v[74:75], v[82:83], v[6:7]
	v_mul_f64 v[102:103], v[80:81], v[6:7]
	v_fma_f64 v[110:111], v[76:77], v[64:65], -v[44:45]
	ds_read_b128 v[14:17], v28 offset:64
	v_fma_f64 v[64:65], v[78:79], v[64:65], v[46:47]
	v_fma_f64 v[76:77], v[76:77], v[72:73], -v[54:55]
	v_fma_f64 v[66:67], v[78:79], v[72:73], v[66:67]
	v_add_f64 v[54:55], v[12:13], v[94:95]
	v_add_f64 v[72:73], v[118:119], v[10:11]
	ds_read_b128 v[18:21], v27 offset:2048
	ds_read_b128 v[22:25], v27 offset:2304
	ds_read_b128 v[44:47], v28 offset:2112
	ds_read_b128 v[10:13], v27 offset:2560
	v_add_f64 v[84:85], v[84:85], v[96:97]
	v_add_f64 v[86:87], v[98:99], v[86:87]
	;; [unrolled: 1-line block ×5, first 2 shown]
	s_waitcnt lgkmcnt(6)
	v_mul_f64 v[104:105], v[82:83], v[38:39]
	v_mul_f64 v[108:109], v[80:81], v[38:39]
	s_waitcnt lgkmcnt(5)
	v_mul_f64 v[112:113], v[42:43], v[6:7]
	v_mul_f64 v[6:7], v[40:41], v[6:7]
	v_add_f64 v[52:53], v[52:53], v[106:107]
	v_mul_f64 v[94:95], v[42:43], v[38:39]
	v_mul_f64 v[38:39], v[40:41], v[38:39]
	v_fma_f64 v[74:75], v[80:81], v[4:5], -v[74:75]
	v_fma_f64 v[78:79], v[82:83], v[4:5], v[102:103]
	ds_read_b128 v[48:51], v28 offset:2128
	s_waitcnt lgkmcnt(4)
	v_mul_f64 v[100:101], v[16:17], v[20:21]
	v_mul_f64 v[102:103], v[14:15], v[20:21]
	v_add_f64 v[60:61], v[54:55], v[60:61]
	v_add_f64 v[56:57], v[56:57], v[72:73]
	s_waitcnt lgkmcnt(3)
	v_mul_f64 v[106:107], v[14:15], v[24:25]
	s_waitcnt lgkmcnt(2)
	v_mul_f64 v[72:73], v[46:47], v[20:21]
	v_mul_f64 v[20:21], v[44:45], v[20:21]
	v_add_f64 v[58:59], v[84:85], v[58:59]
	v_add_f64 v[62:63], v[62:63], v[86:87]
	;; [unrolled: 1-line block ×5, first 2 shown]
	v_fma_f64 v[80:81], v[80:81], v[36:37], -v[104:105]
	v_fma_f64 v[82:83], v[82:83], v[36:37], v[108:109]
	v_fma_f64 v[96:97], v[40:41], v[4:5], -v[112:113]
	v_fma_f64 v[98:99], v[42:43], v[4:5], v[6:7]
	v_mul_f64 v[104:105], v[16:17], v[24:25]
	v_add_f64 v[64:65], v[64:65], v[52:53]
	v_mul_f64 v[86:87], v[46:47], v[24:25]
	v_mul_f64 v[24:25], v[44:45], v[24:25]
	v_fma_f64 v[40:41], v[40:41], v[36:37], -v[94:95]
	v_fma_f64 v[42:43], v[42:43], v[36:37], v[38:39]
	ds_read_b128 v[4:7], v28 offset:80
	ds_read_b128 v[52:55], v27 offset:2816
	v_add_f64 v[60:61], v[60:61], v[76:77]
	v_add_f64 v[56:57], v[66:67], v[56:57]
	v_fma_f64 v[90:91], v[14:15], v[18:19], -v[100:101]
	v_fma_f64 v[92:93], v[16:17], v[18:19], v[102:103]
	v_fma_f64 v[100:101], v[16:17], v[22:23], v[106:107]
	v_fma_f64 v[66:67], v[44:45], v[18:19], -v[72:73]
	v_add_f64 v[58:59], v[58:59], v[74:75]
	v_add_f64 v[62:63], v[78:79], v[62:63]
	v_fma_f64 v[72:73], v[46:47], v[18:19], v[20:21]
	v_add_f64 v[68:69], v[68:69], v[80:81]
	v_add_f64 v[70:71], v[82:83], v[70:71]
	;; [unrolled: 1-line block ×3, first 2 shown]
	s_waitcnt lgkmcnt(2)
	v_mul_f64 v[82:83], v[50:51], v[12:13]
	v_fma_f64 v[94:95], v[14:15], v[22:23], -v[104:105]
	v_add_f64 v[64:65], v[98:99], v[64:65]
	v_fma_f64 v[44:45], v[44:45], v[22:23], -v[86:87]
	v_fma_f64 v[46:47], v[46:47], v[22:23], v[24:25]
	s_waitcnt lgkmcnt(1)
	v_mul_f64 v[88:89], v[6:7], v[12:13]
	v_mul_f64 v[76:77], v[4:5], v[12:13]
	s_waitcnt lgkmcnt(0)
	v_mul_f64 v[78:79], v[6:7], v[54:55]
	v_mul_f64 v[80:81], v[4:5], v[54:55]
	;; [unrolled: 1-line block ×5, first 2 shown]
	v_add_f64 v[40:41], v[60:61], v[40:41]
	v_add_f64 v[42:43], v[42:43], v[56:57]
	ds_read_b128 v[14:17], v28 offset:96
	ds_read_b128 v[18:21], v27 offset:3072
	;; [unrolled: 1-line block ×4, first 2 shown]
	v_add_f64 v[56:57], v[58:59], v[90:91]
	v_add_f64 v[58:59], v[92:93], v[62:63]
	;; [unrolled: 1-line block ×3, first 2 shown]
	v_fma_f64 v[82:83], v[48:49], v[10:11], -v[82:83]
	v_add_f64 v[62:63], v[68:69], v[94:95]
	v_add_f64 v[68:69], v[100:101], v[70:71]
	;; [unrolled: 1-line block ×3, first 2 shown]
	v_fma_f64 v[60:61], v[4:5], v[10:11], -v[88:89]
	v_fma_f64 v[70:71], v[6:7], v[10:11], v[76:77]
	v_fma_f64 v[72:73], v[4:5], v[52:53], -v[78:79]
	v_fma_f64 v[74:75], v[6:7], v[52:53], v[80:81]
	ds_read_b128 v[4:7], v28 offset:112
	v_fma_f64 v[88:89], v[50:51], v[10:11], v[12:13]
	s_waitcnt lgkmcnt(3)
	v_mul_f64 v[76:77], v[16:17], v[20:21]
	v_mul_f64 v[78:79], v[14:15], v[20:21]
	s_waitcnt lgkmcnt(2)
	v_mul_f64 v[80:81], v[16:17], v[38:39]
	v_mul_f64 v[86:87], v[14:15], v[38:39]
	v_fma_f64 v[48:49], v[48:49], v[52:53], -v[84:85]
	v_fma_f64 v[50:51], v[50:51], v[52:53], v[54:55]
	v_add_f64 v[52:53], v[40:41], v[44:45]
	v_add_f64 v[46:47], v[46:47], v[42:43]
	s_waitcnt lgkmcnt(1)
	v_mul_f64 v[54:55], v[24:25], v[20:21]
	v_mul_f64 v[20:21], v[22:23], v[20:21]
	;; [unrolled: 1-line block ×4, first 2 shown]
	ds_read_b128 v[10:13], v28 offset:2160
	ds_read_b128 v[38:41], v27 offset:3584
	;; [unrolled: 1-line block ×3, first 2 shown]
	v_add_f64 v[66:67], v[66:67], v[82:83]
	s_waitcnt lgkmcnt(0)
	v_add_f64 v[56:57], v[56:57], v[60:61]
	v_add_f64 v[58:59], v[70:71], v[58:59]
	;; [unrolled: 1-line block ×4, first 2 shown]
	s_barrier
	v_add_f64 v[64:65], v[88:89], v[64:65]
	v_fma_f64 v[60:61], v[14:15], v[18:19], -v[76:77]
	v_fma_f64 v[70:71], v[16:17], v[18:19], v[78:79]
	v_fma_f64 v[14:15], v[14:15], v[36:37], -v[80:81]
	v_fma_f64 v[16:17], v[16:17], v[36:37], v[86:87]
	buffer_gl0_inv
	v_add_f64 v[48:49], v[52:53], v[48:49]
	v_add_f64 v[46:47], v[50:51], v[46:47]
	v_fma_f64 v[50:51], v[22:23], v[18:19], -v[54:55]
	v_fma_f64 v[18:19], v[24:25], v[18:19], v[20:21]
	v_fma_f64 v[20:21], v[22:23], v[36:37], -v[84:85]
	v_fma_f64 v[22:23], v[24:25], v[36:37], v[90:91]
	v_mul_f64 v[24:25], v[6:7], v[40:41]
	v_mul_f64 v[36:37], v[4:5], v[40:41]
	v_mul_f64 v[52:53], v[6:7], v[44:45]
	v_mul_f64 v[54:55], v[4:5], v[44:45]
	v_mul_f64 v[72:73], v[12:13], v[40:41]
	v_mul_f64 v[40:41], v[10:11], v[40:41]
	v_mul_f64 v[74:75], v[12:13], v[44:45]
	v_mul_f64 v[44:45], v[10:11], v[44:45]
	v_add_f64 v[56:57], v[56:57], v[60:61]
	v_add_f64 v[58:59], v[70:71], v[58:59]
	;; [unrolled: 1-line block ×8, first 2 shown]
	v_fma_f64 v[18:19], v[4:5], v[38:39], -v[24:25]
	v_fma_f64 v[20:21], v[6:7], v[38:39], v[36:37]
	v_fma_f64 v[4:5], v[4:5], v[42:43], -v[52:53]
	v_fma_f64 v[6:7], v[6:7], v[42:43], v[54:55]
	;; [unrolled: 2-line block ×4, first 2 shown]
	v_add_f64 v[22:23], v[56:57], v[18:19]
	v_add_f64 v[24:25], v[20:21], v[58:59]
	;; [unrolled: 1-line block ×8, first 2 shown]
	s_cbranch_vccz .LBB545_15
.LBB545_7:                              ; =>This Inner Loop Header: Depth=1
	s_mov_b32 s15, s9
	s_mov_b32 s11, 0
	s_and_saveexec_b32 s14, s0
	s_cbranch_execnz .LBB545_13
; %bb.8:                                ;   in Loop: Header=BB545_7 Depth=1
	s_or_b32 exec_lo, exec_lo, s14
	s_and_saveexec_b32 s14, s15
	s_xor_b32 s14, exec_lo, s14
	s_cbranch_execnz .LBB545_14
.LBB545_9:                              ;   in Loop: Header=BB545_7 Depth=1
	s_or_b32 exec_lo, exec_lo, s14
	s_and_saveexec_b32 s14, s11
	s_cbranch_execz .LBB545_11
.LBB545_10:                             ;   in Loop: Header=BB545_7 Depth=1
	v_lshlrev_b64 v[4:5], 4, v[8:9]
	v_add_co_u32 v4, vcc_lo, v34, v4
	v_add_co_ci_u32_e64 v5, null, v35, v5, vcc_lo
	flat_load_dwordx4 v[4:7], v[4:5]
	s_waitcnt vmcnt(0) lgkmcnt(0)
	ds_write2_b64 v30, v[4:5], v[6:7] offset1:1
.LBB545_11:                             ;   in Loop: Header=BB545_7 Depth=1
	s_or_b32 exec_lo, exec_lo, s14
	v_add_nc_u32_e32 v2, s4, v26
	v_mov_b32_e32 v4, 0
	v_mov_b32_e32 v6, 0
	v_mov_b32_e32 v5, 0
	v_mov_b32_e32 v7, 0
	v_cmp_gt_u64_e32 vcc_lo, s[12:13], v[2:3]
	s_and_b32 s14, vcc_lo, s1
	s_and_saveexec_b32 s11, s14
	s_cbranch_execz .LBB545_6
; %bb.12:                               ;   in Loop: Header=BB545_7 Depth=1
	v_mad_u64_u32 v[4:5], null, s24, v2, 0
	v_mad_u64_u32 v[5:6], null, s25, v2, v[5:6]
	v_lshlrev_b64 v[4:5], 4, v[4:5]
	v_add_co_u32 v4, vcc_lo, v32, v4
	v_add_co_ci_u32_e64 v5, null, v33, v5, vcc_lo
	flat_load_dwordx4 v[4:7], v[4:5]
	s_waitcnt vmcnt(0) lgkmcnt(0)
	v_xor_b32_e32 v7, 0x80000000, v7
	s_branch .LBB545_6
.LBB545_13:                             ;   in Loop: Header=BB545_7 Depth=1
	v_add_nc_u32_e32 v2, s4, v29
	v_mov_b32_e32 v9, v3
	s_andn2_b32 s15, s9, exec_lo
	s_mov_b32 s11, exec_lo
	v_cmp_le_u64_e32 vcc_lo, s[12:13], v[2:3]
	v_mov_b32_e32 v8, v2
	s_and_b32 s16, vcc_lo, exec_lo
	s_or_b32 s15, s15, s16
	s_or_b32 exec_lo, exec_lo, s14
	s_and_saveexec_b32 s14, s15
	s_xor_b32 s14, exec_lo, s14
	s_cbranch_execz .LBB545_9
.LBB545_14:                             ;   in Loop: Header=BB545_7 Depth=1
	v_mov_b32_e32 v2, v3
	v_mov_b32_e32 v4, v3
	;; [unrolled: 1-line block ×3, first 2 shown]
	s_andn2_b32 s11, s11, exec_lo
	ds_write_b128 v30, v[2:5]
	s_or_b32 exec_lo, exec_lo, s14
	s_and_saveexec_b32 s14, s11
	s_cbranch_execnz .LBB545_10
	s_branch .LBB545_11
.LBB545_15:
	v_add_nc_u32_e32 v27, s7, v1
	v_cmp_neq_f64_e64 s4, s[28:29], 0
	s_lshl_b64 s[0:1], s[42:43], 4
	s_waitcnt lgkmcnt(0)
	s_add_u32 s2, s2, s0
	v_ashrrev_i32_e32 v3, 31, v27
	v_mul_lo_u32 v4, s41, v27
	v_mad_u64_u32 v[1:2], null, s40, v27, 0
	s_addc_u32 s3, s3, s1
	v_mul_lo_u32 v3, s40, v3
	s_xor_b32 s5, s10, -1
	v_cmp_gt_i32_e64 s0, s8, v27
	v_add3_u32 v2, v2, v3, v4
	v_add_nc_u32_e32 v4, s6, v0
	s_or_b32 s4, s4, s5
	v_lshlrev_b64 v[0:1], 4, v[1:2]
	v_cmp_le_i32_e32 vcc_lo, v4, v27
	v_ashrrev_i32_e32 v5, 31, v4
	v_cndmask_b32_e64 v26, 0, 1, s4
	s_and_b32 s5, s0, vcc_lo
	v_add_co_u32 v8, s1, s2, v0
	v_add_co_ci_u32_e64 v9, null, s3, v1, s1
	s_and_saveexec_b32 s1, s5
	s_cbranch_execz .LBB545_19
; %bb.16:
	v_mul_f64 v[0:1], s[46:47], v[24:25]
	v_mul_f64 v[2:3], s[44:45], v[24:25]
	v_lshlrev_b64 v[6:7], 4, v[4:5]
	v_add_co_u32 v6, vcc_lo, v8, v6
	v_add_co_ci_u32_e64 v7, null, v9, v7, vcc_lo
	s_andn2_b32 vcc_lo, exec_lo, s4
	v_fma_f64 v[0:1], s[44:45], v[22:23], -v[0:1]
	v_fma_f64 v[2:3], s[46:47], v[22:23], v[2:3]
	s_cbranch_vccnz .LBB545_18
; %bb.17:
	flat_load_dwordx4 v[22:25], v[6:7]
	s_waitcnt vmcnt(0) lgkmcnt(0)
	v_mul_f64 v[28:29], s[30:31], v[24:25]
	v_mul_f64 v[24:25], s[28:29], v[24:25]
	v_fma_f64 v[28:29], s[28:29], v[22:23], -v[28:29]
	v_fma_f64 v[22:23], s[30:31], v[22:23], v[24:25]
	v_add_f64 v[0:1], v[0:1], v[28:29]
	v_add_f64 v[2:3], v[2:3], v[22:23]
.LBB545_18:
	flat_store_dwordx4 v[6:7], v[0:3]
.LBB545_19:
	s_or_b32 exec_lo, exec_lo, s1
	v_add_nc_u32_e32 v6, 16, v4
	v_cmp_le_i32_e32 vcc_lo, v6, v27
	v_ashrrev_i32_e32 v7, 31, v6
	s_and_b32 s0, s0, vcc_lo
	s_and_saveexec_b32 s1, s0
	s_cbranch_execz .LBB545_23
; %bb.20:
	v_mul_f64 v[0:1], s[46:47], v[20:21]
	v_mul_f64 v[2:3], s[44:45], v[20:21]
	v_cmp_ne_u32_e32 vcc_lo, 1, v26
	s_and_b32 vcc_lo, exec_lo, vcc_lo
	v_fma_f64 v[0:1], s[44:45], v[18:19], -v[0:1]
	v_fma_f64 v[2:3], s[46:47], v[18:19], v[2:3]
	v_lshlrev_b64 v[18:19], 4, v[6:7]
	v_add_co_u32 v8, s0, v8, v18
	v_add_co_ci_u32_e64 v9, null, v9, v19, s0
	s_cbranch_vccnz .LBB545_22
; %bb.21:
	flat_load_dwordx4 v[18:21], v[8:9]
	s_waitcnt vmcnt(0) lgkmcnt(0)
	v_mul_f64 v[22:23], s[30:31], v[20:21]
	v_mul_f64 v[20:21], s[28:29], v[20:21]
	v_fma_f64 v[22:23], s[28:29], v[18:19], -v[22:23]
	v_fma_f64 v[18:19], s[30:31], v[18:19], v[20:21]
	v_add_f64 v[0:1], v[0:1], v[22:23]
	v_add_f64 v[2:3], v[2:3], v[18:19]
.LBB545_22:
	flat_store_dwordx4 v[8:9], v[0:3]
.LBB545_23:
	s_or_b32 exec_lo, exec_lo, s1
	v_add_nc_u32_e32 v18, 16, v27
	v_ashrrev_i32_e32 v2, 31, v18
	v_mul_lo_u32 v3, s41, v18
	v_mad_u64_u32 v[0:1], null, s40, v18, 0
	v_cmp_gt_i32_e64 s0, s8, v18
	v_mul_lo_u32 v2, s40, v2
	v_cmp_le_i32_e32 vcc_lo, v4, v18
	v_add3_u32 v1, v1, v2, v3
	v_lshlrev_b64 v[0:1], 4, v[0:1]
	v_add_co_u32 v8, s1, s2, v0
	v_add_co_ci_u32_e64 v9, null, s3, v1, s1
	s_and_b32 s1, s0, vcc_lo
	s_and_saveexec_b32 s2, s1
	s_cbranch_execz .LBB545_27
; %bb.24:
	v_mul_f64 v[0:1], s[46:47], v[16:17]
	v_mul_f64 v[2:3], s[44:45], v[16:17]
	v_lshlrev_b64 v[4:5], 4, v[4:5]
	v_cmp_ne_u32_e32 vcc_lo, 1, v26
	s_and_b32 vcc_lo, exec_lo, vcc_lo
	v_add_co_u32 v4, s1, v8, v4
	v_add_co_ci_u32_e64 v5, null, v9, v5, s1
	v_fma_f64 v[0:1], s[44:45], v[14:15], -v[0:1]
	v_fma_f64 v[2:3], s[46:47], v[14:15], v[2:3]
	s_cbranch_vccnz .LBB545_26
; %bb.25:
	flat_load_dwordx4 v[14:17], v[4:5]
	s_waitcnt vmcnt(0) lgkmcnt(0)
	v_mul_f64 v[19:20], s[30:31], v[16:17]
	v_mul_f64 v[16:17], s[28:29], v[16:17]
	v_fma_f64 v[19:20], s[28:29], v[14:15], -v[19:20]
	v_fma_f64 v[14:15], s[30:31], v[14:15], v[16:17]
	v_add_f64 v[0:1], v[0:1], v[19:20]
	v_add_f64 v[2:3], v[2:3], v[14:15]
.LBB545_26:
	flat_store_dwordx4 v[4:5], v[0:3]
.LBB545_27:
	s_or_b32 exec_lo, exec_lo, s2
	v_cmp_le_i32_e32 vcc_lo, v6, v18
	s_and_b32 s0, s0, vcc_lo
	s_and_saveexec_b32 s1, s0
	s_cbranch_execz .LBB545_32
; %bb.28:
	v_mul_f64 v[0:1], s[46:47], v[10:11]
	v_mul_f64 v[2:3], s[44:45], v[10:11]
	v_lshlrev_b64 v[4:5], 4, v[6:7]
	v_cmp_ne_u32_e32 vcc_lo, 1, v26
	s_and_b32 vcc_lo, exec_lo, vcc_lo
	v_add_co_u32 v4, s0, v8, v4
	v_add_co_ci_u32_e64 v5, null, v9, v5, s0
	v_fma_f64 v[0:1], s[44:45], v[12:13], -v[0:1]
	v_fma_f64 v[2:3], s[46:47], v[12:13], v[2:3]
	s_cbranch_vccnz .LBB545_30
; %bb.29:
	flat_load_dwordx4 v[6:9], v[4:5]
	s_waitcnt vmcnt(0) lgkmcnt(0)
	v_mul_f64 v[10:11], s[30:31], v[8:9]
	v_mul_f64 v[8:9], s[28:29], v[8:9]
	v_fma_f64 v[10:11], s[28:29], v[6:7], -v[10:11]
	v_fma_f64 v[6:7], s[30:31], v[6:7], v[8:9]
	v_add_f64 v[0:1], v[0:1], v[10:11]
	v_add_f64 v[2:3], v[2:3], v[6:7]
.LBB545_30:
	flat_store_dwordx4 v[4:5], v[0:3]
	s_endpgm
.LBB545_31:
.LBB545_32:
	s_endpgm
	.section	.rodata,"a",@progbits
	.p2align	6, 0x0
	.amdhsa_kernel _ZL29rocblas_internal_gemmt_kernelIlLi16ELi32ELi8ELc84ELc67ELc85ELb0ELb1E19rocblas_complex_numIdEPKS1_PKS3_PKPS1_EviT_T9_T10_S9_lSB_S9_lSA_T11_S9_li
		.amdhsa_group_segment_fixed_size 8192
		.amdhsa_private_segment_fixed_size 0
		.amdhsa_kernarg_size 108
		.amdhsa_user_sgpr_count 6
		.amdhsa_user_sgpr_private_segment_buffer 1
		.amdhsa_user_sgpr_dispatch_ptr 0
		.amdhsa_user_sgpr_queue_ptr 0
		.amdhsa_user_sgpr_kernarg_segment_ptr 1
		.amdhsa_user_sgpr_dispatch_id 0
		.amdhsa_user_sgpr_flat_scratch_init 0
		.amdhsa_user_sgpr_private_segment_size 0
		.amdhsa_wavefront_size32 1
		.amdhsa_uses_dynamic_stack 0
		.amdhsa_system_sgpr_private_segment_wavefront_offset 0
		.amdhsa_system_sgpr_workgroup_id_x 1
		.amdhsa_system_sgpr_workgroup_id_y 1
		.amdhsa_system_sgpr_workgroup_id_z 1
		.amdhsa_system_sgpr_workgroup_info 0
		.amdhsa_system_vgpr_workitem_id 1
		.amdhsa_next_free_vgpr 120
		.amdhsa_next_free_sgpr 48
		.amdhsa_reserve_vcc 1
		.amdhsa_reserve_flat_scratch 0
		.amdhsa_float_round_mode_32 0
		.amdhsa_float_round_mode_16_64 0
		.amdhsa_float_denorm_mode_32 3
		.amdhsa_float_denorm_mode_16_64 3
		.amdhsa_dx10_clamp 1
		.amdhsa_ieee_mode 1
		.amdhsa_fp16_overflow 0
		.amdhsa_workgroup_processor_mode 1
		.amdhsa_memory_ordered 1
		.amdhsa_forward_progress 1
		.amdhsa_shared_vgpr_count 0
		.amdhsa_exception_fp_ieee_invalid_op 0
		.amdhsa_exception_fp_denorm_src 0
		.amdhsa_exception_fp_ieee_div_zero 0
		.amdhsa_exception_fp_ieee_overflow 0
		.amdhsa_exception_fp_ieee_underflow 0
		.amdhsa_exception_fp_ieee_inexact 0
		.amdhsa_exception_int_div_zero 0
	.end_amdhsa_kernel
	.section	.text._ZL29rocblas_internal_gemmt_kernelIlLi16ELi32ELi8ELc84ELc67ELc85ELb0ELb1E19rocblas_complex_numIdEPKS1_PKS3_PKPS1_EviT_T9_T10_S9_lSB_S9_lSA_T11_S9_li,"axG",@progbits,_ZL29rocblas_internal_gemmt_kernelIlLi16ELi32ELi8ELc84ELc67ELc85ELb0ELb1E19rocblas_complex_numIdEPKS1_PKS3_PKPS1_EviT_T9_T10_S9_lSB_S9_lSA_T11_S9_li,comdat
.Lfunc_end545:
	.size	_ZL29rocblas_internal_gemmt_kernelIlLi16ELi32ELi8ELc84ELc67ELc85ELb0ELb1E19rocblas_complex_numIdEPKS1_PKS3_PKPS1_EviT_T9_T10_S9_lSB_S9_lSA_T11_S9_li, .Lfunc_end545-_ZL29rocblas_internal_gemmt_kernelIlLi16ELi32ELi8ELc84ELc67ELc85ELb0ELb1E19rocblas_complex_numIdEPKS1_PKS3_PKPS1_EviT_T9_T10_S9_lSB_S9_lSA_T11_S9_li
                                        ; -- End function
	.set _ZL29rocblas_internal_gemmt_kernelIlLi16ELi32ELi8ELc84ELc67ELc85ELb0ELb1E19rocblas_complex_numIdEPKS1_PKS3_PKPS1_EviT_T9_T10_S9_lSB_S9_lSA_T11_S9_li.num_vgpr, 120
	.set _ZL29rocblas_internal_gemmt_kernelIlLi16ELi32ELi8ELc84ELc67ELc85ELb0ELb1E19rocblas_complex_numIdEPKS1_PKS3_PKPS1_EviT_T9_T10_S9_lSB_S9_lSA_T11_S9_li.num_agpr, 0
	.set _ZL29rocblas_internal_gemmt_kernelIlLi16ELi32ELi8ELc84ELc67ELc85ELb0ELb1E19rocblas_complex_numIdEPKS1_PKS3_PKPS1_EviT_T9_T10_S9_lSB_S9_lSA_T11_S9_li.numbered_sgpr, 48
	.set _ZL29rocblas_internal_gemmt_kernelIlLi16ELi32ELi8ELc84ELc67ELc85ELb0ELb1E19rocblas_complex_numIdEPKS1_PKS3_PKPS1_EviT_T9_T10_S9_lSB_S9_lSA_T11_S9_li.num_named_barrier, 0
	.set _ZL29rocblas_internal_gemmt_kernelIlLi16ELi32ELi8ELc84ELc67ELc85ELb0ELb1E19rocblas_complex_numIdEPKS1_PKS3_PKPS1_EviT_T9_T10_S9_lSB_S9_lSA_T11_S9_li.private_seg_size, 0
	.set _ZL29rocblas_internal_gemmt_kernelIlLi16ELi32ELi8ELc84ELc67ELc85ELb0ELb1E19rocblas_complex_numIdEPKS1_PKS3_PKPS1_EviT_T9_T10_S9_lSB_S9_lSA_T11_S9_li.uses_vcc, 1
	.set _ZL29rocblas_internal_gemmt_kernelIlLi16ELi32ELi8ELc84ELc67ELc85ELb0ELb1E19rocblas_complex_numIdEPKS1_PKS3_PKPS1_EviT_T9_T10_S9_lSB_S9_lSA_T11_S9_li.uses_flat_scratch, 0
	.set _ZL29rocblas_internal_gemmt_kernelIlLi16ELi32ELi8ELc84ELc67ELc85ELb0ELb1E19rocblas_complex_numIdEPKS1_PKS3_PKPS1_EviT_T9_T10_S9_lSB_S9_lSA_T11_S9_li.has_dyn_sized_stack, 0
	.set _ZL29rocblas_internal_gemmt_kernelIlLi16ELi32ELi8ELc84ELc67ELc85ELb0ELb1E19rocblas_complex_numIdEPKS1_PKS3_PKPS1_EviT_T9_T10_S9_lSB_S9_lSA_T11_S9_li.has_recursion, 0
	.set _ZL29rocblas_internal_gemmt_kernelIlLi16ELi32ELi8ELc84ELc67ELc85ELb0ELb1E19rocblas_complex_numIdEPKS1_PKS3_PKPS1_EviT_T9_T10_S9_lSB_S9_lSA_T11_S9_li.has_indirect_call, 0
	.section	.AMDGPU.csdata,"",@progbits
; Kernel info:
; codeLenInByte = 3636
; TotalNumSgprs: 50
; NumVgprs: 120
; ScratchSize: 0
; MemoryBound: 1
; FloatMode: 240
; IeeeMode: 1
; LDSByteSize: 8192 bytes/workgroup (compile time only)
; SGPRBlocks: 0
; VGPRBlocks: 14
; NumSGPRsForWavesPerEU: 50
; NumVGPRsForWavesPerEU: 120
; Occupancy: 8
; WaveLimiterHint : 1
; COMPUTE_PGM_RSRC2:SCRATCH_EN: 0
; COMPUTE_PGM_RSRC2:USER_SGPR: 6
; COMPUTE_PGM_RSRC2:TRAP_HANDLER: 0
; COMPUTE_PGM_RSRC2:TGID_X_EN: 1
; COMPUTE_PGM_RSRC2:TGID_Y_EN: 1
; COMPUTE_PGM_RSRC2:TGID_Z_EN: 1
; COMPUTE_PGM_RSRC2:TIDIG_COMP_CNT: 1
	.section	.text._ZL29rocblas_internal_gemmt_kernelIlLi16ELi32ELi8ELc67ELc78ELc85ELb1ELb0E19rocblas_complex_numIdEPKS1_PKS3_PKPS1_EviT_T9_T10_S9_lSB_S9_lSA_T11_S9_li,"axG",@progbits,_ZL29rocblas_internal_gemmt_kernelIlLi16ELi32ELi8ELc67ELc78ELc85ELb1ELb0E19rocblas_complex_numIdEPKS1_PKS3_PKPS1_EviT_T9_T10_S9_lSB_S9_lSA_T11_S9_li,comdat
	.globl	_ZL29rocblas_internal_gemmt_kernelIlLi16ELi32ELi8ELc67ELc78ELc85ELb1ELb0E19rocblas_complex_numIdEPKS1_PKS3_PKPS1_EviT_T9_T10_S9_lSB_S9_lSA_T11_S9_li ; -- Begin function _ZL29rocblas_internal_gemmt_kernelIlLi16ELi32ELi8ELc67ELc78ELc85ELb1ELb0E19rocblas_complex_numIdEPKS1_PKS3_PKPS1_EviT_T9_T10_S9_lSB_S9_lSA_T11_S9_li
	.p2align	8
	.type	_ZL29rocblas_internal_gemmt_kernelIlLi16ELi32ELi8ELc67ELc78ELc85ELb1ELb0E19rocblas_complex_numIdEPKS1_PKS3_PKPS1_EviT_T9_T10_S9_lSB_S9_lSA_T11_S9_li,@function
_ZL29rocblas_internal_gemmt_kernelIlLi16ELi32ELi8ELc67ELc78ELc85ELb1ELb0E19rocblas_complex_numIdEPKS1_PKS3_PKPS1_EviT_T9_T10_S9_lSB_S9_lSA_T11_S9_li: ; @_ZL29rocblas_internal_gemmt_kernelIlLi16ELi32ELi8ELc67ELc78ELc85ELb1ELb0E19rocblas_complex_numIdEPKS1_PKS3_PKPS1_EviT_T9_T10_S9_lSB_S9_lSA_T11_S9_li
; %bb.0:
	s_load_dwordx8 s[36:43], s[4:5], 0x48
	s_waitcnt lgkmcnt(0)
	s_load_dwordx4 s[28:31], s[36:37], 0x0
	s_load_dwordx16 s[12:27], s[4:5], 0x8
	s_waitcnt lgkmcnt(0)
	v_cmp_eq_f64_e64 s0, s[28:29], 1.0
	v_cmp_eq_f64_e64 s10, s[30:31], 0
	s_load_dwordx4 s[44:47], s[14:15], 0x0
	s_and_b32 s0, s0, s10
	s_andn2_b32 vcc_lo, exec_lo, s0
	s_mov_b32 s0, -1
	s_cbranch_vccnz .LBB546_3
; %bb.1:
	s_cmp_lg_u64 s[12:13], 0
	s_cbranch_scc0 .LBB546_31
; %bb.2:
	s_waitcnt lgkmcnt(0)
	v_cmp_neq_f64_e64 s0, s[44:45], 0
	v_cmp_neq_f64_e64 s1, s[46:47], 0
	s_or_b32 s0, s0, s1
.LBB546_3:
	s_and_b32 vcc_lo, exec_lo, s0
	s_cbranch_vccz .LBB546_32
; %bb.4:
	s_waitcnt lgkmcnt(0)
	v_cmp_eq_f64_e64 s11, s[44:45], 0
	v_cmp_eq_f64_e64 s14, s[46:47], 0
	s_mov_b32 s9, 0
	v_mov_b32_e32 v20, 0
	s_lshl_b64 s[0:1], s[8:9], 3
	v_mov_b32_e32 v22, 0
	s_add_u32 s2, s38, s0
	s_addc_u32 s3, s39, s1
	s_load_dword s8, s[4:5], 0x0
	s_load_dwordx2 s[2:3], s[2:3], 0x0
	v_cmp_lt_i64_e64 s4, s[12:13], 1
	v_mov_b32_e32 v18, 0
	v_mov_b32_e32 v16, 0
	;; [unrolled: 1-line block ×13, first 2 shown]
	s_and_b32 s5, s11, s14
	v_mov_b32_e32 v9, 0
	s_or_b32 s4, s5, s4
	s_lshl_b32 s6, s6, 5
	s_and_b32 vcc_lo, exec_lo, s4
	s_lshl_b32 s7, s7, 5
	s_cbranch_vccnz .LBB546_15
; %bb.5:
	s_add_u32 s4, s22, s0
	s_addc_u32 s5, s23, s1
	s_lshl_b64 s[14:15], s[26:27], 4
	s_load_dwordx2 s[4:5], s[4:5], 0x0
	v_lshl_add_u32 v4, v1, 4, v0
	v_and_b32_e32 v24, 7, v0
	v_mov_b32_e32 v8, 0
	v_mov_b32_e32 v10, 0
	v_mov_b32_e32 v12, 0
	v_lshrrev_b32_e32 v6, 3, v4
	v_and_b32_e32 v5, 31, v4
	v_lshlrev_b32_e32 v31, 4, v24
	v_mov_b32_e32 v14, 0
	v_mov_b32_e32 v16, 0
	v_add_nc_u32_e32 v7, s7, v6
	v_or_b32_e32 v28, s6, v5
	v_lshlrev_b32_e32 v32, 4, v5
	v_lshl_or_b32 v6, v6, 7, v31
	v_mov_b32_e32 v18, 0
	v_ashrrev_i32_e32 v27, 31, v7
	v_mul_lo_u32 v29, s25, v7
	v_mad_u64_u32 v[2:3], null, s24, v7, 0
	s_waitcnt lgkmcnt(0)
	s_add_u32 s9, s4, s14
	s_addc_u32 s11, s5, s15
	s_add_u32 s0, s16, s0
	s_addc_u32 s1, s17, s1
	v_mul_lo_u32 v30, s24, v27
	s_load_dwordx2 s[0:1], s[0:1], 0x0
	v_lshrrev_b32_e32 v27, 5, v4
	v_mul_lo_u32 v33, s19, v28
	v_mad_u64_u32 v[4:5], null, s18, v28, 0
	s_lshl_b64 s[4:5], s[20:21], 4
	v_cmp_gt_i32_e32 vcc_lo, s8, v7
	v_add3_u32 v3, v3, v30, v29
	v_mov_b32_e32 v22, 0
	v_mov_b32_e32 v20, 0
	v_lshlrev_b32_e32 v25, 4, v0
	v_lshl_add_u32 v26, v1, 7, 0x1000
	v_lshlrev_b64 v[2:3], 4, v[2:3]
	v_mov_b32_e32 v9, 0
	v_mov_b32_e32 v11, 0
	v_mov_b32_e32 v13, 0
	v_mov_b32_e32 v15, 0
	v_mov_b32_e32 v17, 0
	v_mov_b32_e32 v19, 0
	v_mov_b32_e32 v23, 0
	s_waitcnt lgkmcnt(0)
	s_add_u32 s4, s0, s4
	s_addc_u32 s5, s1, s5
	s_ashr_i32 s0, s6, 31
	v_mov_b32_e32 v21, 0
	s_mul_i32 s1, s18, s0
	v_cmp_gt_i32_e64 s0, s8, v28
	v_add3_u32 v5, v5, s1, v33
	v_add_co_u32 v30, s1, s9, v2
	v_lshl_or_b32 v28, v27, 9, v32
	v_add_co_ci_u32_e64 v31, null, s11, v3, s1
	v_lshlrev_b64 v[4:5], 4, v[4:5]
	v_add_nc_u32_e32 v29, 0x1000, v6
	v_mov_b32_e32 v3, 0
	v_add_co_u32 v32, s1, s4, v4
	v_add_co_ci_u32_e64 v33, null, s5, v5, s1
	s_mov_b64 s[4:5], 0
	s_xor_b32 s1, vcc_lo, -1
	s_branch .LBB546_7
.LBB546_6:                              ;   in Loop: Header=BB546_7 Depth=1
	s_or_b32 exec_lo, exec_lo, s9
	s_waitcnt lgkmcnt(0)
	s_barrier
	buffer_gl0_inv
	ds_read_b128 v[4:7], v26
	ds_read_b128 v[34:37], v25
	ds_read_b128 v[38:41], v25 offset:256
	ds_read_b128 v[42:45], v26 offset:2048
	;; [unrolled: 1-line block ×12, first 2 shown]
	s_add_u32 s4, s4, 8
	s_addc_u32 s5, s5, 0
	v_cmp_gt_i64_e64 s9, s[12:13], s[4:5]
	s_and_b32 vcc_lo, exec_lo, s9
	s_waitcnt lgkmcnt(12)
	v_mul_f64 v[86:87], v[6:7], v[36:37]
	v_mul_f64 v[88:89], v[4:5], v[36:37]
	s_waitcnt lgkmcnt(11)
	v_mul_f64 v[90:91], v[6:7], v[40:41]
	v_mul_f64 v[92:93], v[4:5], v[40:41]
	;; [unrolled: 3-line block ×3, first 2 shown]
	v_mul_f64 v[96:97], v[44:45], v[40:41]
	v_mul_f64 v[40:41], v[42:43], v[40:41]
	s_waitcnt lgkmcnt(8)
	v_mul_f64 v[98:99], v[48:49], v[52:53]
	v_mul_f64 v[100:101], v[46:47], v[52:53]
	s_waitcnt lgkmcnt(7)
	;; [unrolled: 3-line block ×3, first 2 shown]
	v_mul_f64 v[106:107], v[60:61], v[52:53]
	v_mul_f64 v[52:53], v[58:59], v[52:53]
	;; [unrolled: 1-line block ×4, first 2 shown]
	s_waitcnt lgkmcnt(3)
	v_mul_f64 v[112:113], v[72:73], v[64:65]
	v_mul_f64 v[116:117], v[70:71], v[64:65]
	;; [unrolled: 1-line block ×4, first 2 shown]
	s_waitcnt lgkmcnt(1)
	v_mul_f64 v[122:123], v[80:81], v[64:65]
	v_mul_f64 v[64:65], v[78:79], v[64:65]
	v_fma_f64 v[86:87], v[4:5], v[34:35], -v[86:87]
	v_fma_f64 v[88:89], v[6:7], v[34:35], v[88:89]
	v_fma_f64 v[90:91], v[4:5], v[38:39], -v[90:91]
	v_fma_f64 v[92:93], v[6:7], v[38:39], v[92:93]
	;; [unrolled: 2-line block ×8, first 2 shown]
	ds_read_b128 v[4:7], v25 offset:1536
	ds_read_b128 v[34:37], v25 offset:1792
	;; [unrolled: 1-line block ×6, first 2 shown]
	v_add_f64 v[54:55], v[20:21], v[86:87]
	v_add_f64 v[22:23], v[88:89], v[22:23]
	;; [unrolled: 1-line block ×3, first 2 shown]
	v_mul_f64 v[86:87], v[80:81], v[68:69]
	v_mul_f64 v[68:69], v[78:79], v[68:69]
	v_add_f64 v[88:89], v[92:93], v[16:17]
	v_add_f64 v[92:93], v[14:15], v[94:95]
	;; [unrolled: 1-line block ×5, first 2 shown]
	v_fma_f64 v[90:91], v[70:71], v[62:63], -v[112:113]
	v_fma_f64 v[94:95], v[72:73], v[62:63], v[116:117]
	v_fma_f64 v[70:71], v[70:71], v[66:67], -v[118:119]
	v_fma_f64 v[72:73], v[72:73], v[66:67], v[120:121]
	s_waitcnt lgkmcnt(5)
	v_mul_f64 v[108:109], v[76:77], v[6:7]
	v_mul_f64 v[110:111], v[74:75], v[6:7]
	v_fma_f64 v[112:113], v[78:79], v[62:63], -v[122:123]
	v_fma_f64 v[62:63], v[80:81], v[62:63], v[64:65]
	s_waitcnt lgkmcnt(4)
	v_mul_f64 v[64:65], v[76:77], v[36:37]
	v_mul_f64 v[116:117], v[74:75], v[36:37]
	ds_read_b128 v[14:17], v25 offset:2560
	ds_read_b128 v[18:21], v25 offset:2816
	v_add_f64 v[98:99], v[54:55], v[98:99]
	v_add_f64 v[22:23], v[100:101], v[22:23]
	;; [unrolled: 1-line block ×3, first 2 shown]
	v_mul_f64 v[102:103], v[84:85], v[6:7]
	v_mul_f64 v[6:7], v[82:83], v[6:7]
	v_add_f64 v[88:89], v[104:105], v[88:89]
	v_add_f64 v[92:93], v[92:93], v[106:107]
	v_fma_f64 v[78:79], v[78:79], v[66:67], -v[86:87]
	v_fma_f64 v[66:67], v[80:81], v[66:67], v[68:69]
	v_mul_f64 v[68:69], v[84:85], v[36:37]
	v_mul_f64 v[36:37], v[82:83], v[36:37]
	v_add_f64 v[12:13], v[124:125], v[12:13]
	v_add_f64 v[58:59], v[96:97], v[58:59]
	v_add_f64 v[60:61], v[60:61], v[114:115]
	ds_read_b128 v[8:11], v26 offset:2112
	ds_read_b128 v[54:57], v26 offset:2128
	s_waitcnt lgkmcnt(5)
	v_mul_f64 v[80:81], v[48:49], v[40:41]
	v_mul_f64 v[86:87], v[46:47], v[40:41]
	;; [unrolled: 1-line block ×4, first 2 shown]
	v_fma_f64 v[106:107], v[74:75], v[4:5], -v[108:109]
	v_fma_f64 v[108:109], v[76:77], v[4:5], v[110:111]
	v_fma_f64 v[64:65], v[74:75], v[34:35], -v[64:65]
	v_fma_f64 v[74:75], v[76:77], v[34:35], v[116:117]
	v_add_f64 v[90:91], v[98:99], v[90:91]
	v_add_f64 v[22:23], v[94:95], v[22:23]
	;; [unrolled: 1-line block ×3, first 2 shown]
	v_fma_f64 v[94:95], v[82:83], v[4:5], -v[102:103]
	v_add_f64 v[72:73], v[72:73], v[88:89]
	v_add_f64 v[88:89], v[92:93], v[112:113]
	v_fma_f64 v[4:5], v[84:85], v[4:5], v[6:7]
	s_waitcnt lgkmcnt(3)
	v_mul_f64 v[98:99], v[52:53], v[16:17]
	v_fma_f64 v[6:7], v[82:83], v[34:35], -v[68:69]
	v_fma_f64 v[68:69], v[84:85], v[34:35], v[36:37]
	s_waitcnt lgkmcnt(1)
	v_mul_f64 v[76:77], v[10:11], v[40:41]
	v_mul_f64 v[40:41], v[8:9], v[40:41]
	;; [unrolled: 1-line block ×4, first 2 shown]
	v_add_f64 v[12:13], v[62:63], v[12:13]
	v_add_f64 v[58:59], v[58:59], v[78:79]
	;; [unrolled: 1-line block ×3, first 2 shown]
	v_mul_f64 v[100:101], v[50:51], v[16:17]
	v_mul_f64 v[62:63], v[52:53], v[20:21]
	v_fma_f64 v[78:79], v[46:47], v[38:39], -v[80:81]
	v_fma_f64 v[80:81], v[48:49], v[38:39], v[86:87]
	v_fma_f64 v[46:47], v[46:47], v[42:43], -v[104:105]
	v_fma_f64 v[48:49], v[48:49], v[42:43], v[96:97]
	v_add_f64 v[66:67], v[90:91], v[106:107]
	v_add_f64 v[82:83], v[108:109], v[22:23]
	;; [unrolled: 1-line block ×5, first 2 shown]
	s_waitcnt lgkmcnt(0)
	v_mul_f64 v[84:85], v[56:57], v[16:17]
	v_mul_f64 v[16:17], v[54:55], v[16:17]
	v_mul_f64 v[86:87], v[56:57], v[20:21]
	v_mul_f64 v[88:89], v[54:55], v[20:21]
	v_fma_f64 v[70:71], v[8:9], v[38:39], -v[76:77]
	v_mul_f64 v[76:77], v[50:51], v[20:21]
	v_fma_f64 v[90:91], v[10:11], v[38:39], v[40:41]
	v_fma_f64 v[8:9], v[8:9], v[42:43], -v[92:93]
	v_add_f64 v[12:13], v[4:5], v[12:13]
	v_add_f64 v[58:59], v[58:59], v[6:7]
	v_fma_f64 v[42:43], v[10:11], v[42:43], v[44:45]
	v_add_f64 v[44:45], v[68:69], v[60:61]
	ds_read_b128 v[4:7], v26 offset:96
	ds_read_b128 v[20:23], v25 offset:3072
	;; [unrolled: 1-line block ×4, first 2 shown]
	v_add_f64 v[60:61], v[66:67], v[78:79]
	v_add_f64 v[66:67], v[80:81], v[82:83]
	v_add_f64 v[46:47], v[64:65], v[46:47]
	v_fma_f64 v[64:65], v[50:51], v[14:15], -v[98:99]
	v_add_f64 v[48:49], v[48:49], v[72:73]
	v_fma_f64 v[50:51], v[50:51], v[18:19], -v[62:63]
	v_fma_f64 v[62:63], v[54:55], v[14:15], -v[84:85]
	v_fma_f64 v[72:73], v[56:57], v[14:15], v[16:17]
	v_fma_f64 v[54:55], v[54:55], v[18:19], -v[86:87]
	v_add_f64 v[68:69], v[74:75], v[70:71]
	v_fma_f64 v[70:71], v[52:53], v[14:15], v[100:101]
	v_fma_f64 v[52:53], v[52:53], v[18:19], v[76:77]
	;; [unrolled: 1-line block ×3, first 2 shown]
	v_add_f64 v[74:75], v[90:91], v[12:13]
	v_add_f64 v[58:59], v[58:59], v[8:9]
	s_waitcnt lgkmcnt(2)
	v_mul_f64 v[76:77], v[6:7], v[22:23]
	v_mul_f64 v[78:79], v[4:5], v[22:23]
	s_waitcnt lgkmcnt(1)
	v_mul_f64 v[80:81], v[6:7], v[36:37]
	v_mul_f64 v[82:83], v[4:5], v[36:37]
	s_waitcnt lgkmcnt(0)
	v_mul_f64 v[84:85], v[40:41], v[22:23]
	v_mul_f64 v[22:23], v[38:39], v[22:23]
	v_mul_f64 v[86:87], v[40:41], v[36:37]
	v_add_f64 v[88:89], v[42:43], v[44:45]
	v_mul_f64 v[36:37], v[38:39], v[36:37]
	ds_read_b128 v[8:11], v26 offset:112
	ds_read_b128 v[12:15], v26 offset:2160
	;; [unrolled: 1-line block ×4, first 2 shown]
	v_add_f64 v[60:61], v[60:61], v[64:65]
	v_add_f64 v[46:47], v[46:47], v[50:51]
	s_waitcnt lgkmcnt(0)
	s_barrier
	v_add_f64 v[50:51], v[68:69], v[62:63]
	v_add_f64 v[64:65], v[70:71], v[66:67]
	;; [unrolled: 1-line block ×3, first 2 shown]
	buffer_gl0_inv
	v_add_f64 v[52:53], v[72:73], v[74:75]
	v_add_f64 v[54:55], v[58:59], v[54:55]
	v_fma_f64 v[58:59], v[4:5], v[20:21], -v[76:77]
	v_fma_f64 v[62:63], v[6:7], v[20:21], v[78:79]
	v_fma_f64 v[4:5], v[4:5], v[34:35], -v[80:81]
	v_fma_f64 v[6:7], v[6:7], v[34:35], v[82:83]
	;; [unrolled: 2-line block ×3, first 2 shown]
	v_fma_f64 v[22:23], v[38:39], v[34:35], -v[86:87]
	v_add_f64 v[38:39], v[56:57], v[88:89]
	v_fma_f64 v[34:35], v[40:41], v[34:35], v[36:37]
	v_mul_f64 v[36:37], v[10:11], v[18:19]
	v_mul_f64 v[40:41], v[8:9], v[18:19]
	;; [unrolled: 1-line block ×8, first 2 shown]
	v_add_f64 v[58:59], v[60:61], v[58:59]
	v_add_f64 v[60:61], v[62:63], v[64:65]
	;; [unrolled: 1-line block ×8, first 2 shown]
	v_fma_f64 v[20:21], v[8:9], v[16:17], -v[36:37]
	v_fma_f64 v[22:23], v[10:11], v[16:17], v[40:41]
	v_fma_f64 v[8:9], v[8:9], v[42:43], -v[56:57]
	v_fma_f64 v[10:11], v[10:11], v[42:43], v[68:69]
	;; [unrolled: 2-line block ×4, first 2 shown]
	v_add_f64 v[20:21], v[58:59], v[20:21]
	v_add_f64 v[22:23], v[22:23], v[60:61]
	;; [unrolled: 1-line block ×8, first 2 shown]
	s_cbranch_vccz .LBB546_15
.LBB546_7:                              ; =>This Inner Loop Header: Depth=1
	v_mov_b32_e32 v4, 0
	v_mov_b32_e32 v6, 0
	;; [unrolled: 1-line block ×4, first 2 shown]
	s_and_saveexec_b32 s9, s0
	s_cbranch_execz .LBB546_11
; %bb.8:                                ;   in Loop: Header=BB546_7 Depth=1
	v_mov_b32_e32 v6, 0
	v_mov_b32_e32 v4, 0
	v_add_nc_u32_e32 v2, s4, v27
	v_mov_b32_e32 v7, 0
	v_mov_b32_e32 v5, 0
	s_mov_b32 s11, exec_lo
	v_cmpx_gt_u64_e64 s[12:13], v[2:3]
	s_cbranch_execz .LBB546_10
; %bb.9:                                ;   in Loop: Header=BB546_7 Depth=1
	v_lshlrev_b64 v[4:5], 4, v[2:3]
	v_add_co_u32 v4, vcc_lo, v32, v4
	v_add_co_ci_u32_e64 v5, null, v33, v5, vcc_lo
	flat_load_dwordx4 v[4:7], v[4:5]
	s_waitcnt vmcnt(0) lgkmcnt(0)
	v_xor_b32_e32 v7, 0x80000000, v7
.LBB546_10:                             ;   in Loop: Header=BB546_7 Depth=1
	s_or_b32 exec_lo, exec_lo, s11
.LBB546_11:                             ;   in Loop: Header=BB546_7 Depth=1
	s_or_b32 exec_lo, exec_lo, s9
	v_add_nc_u32_e32 v2, s4, v24
	ds_write_b128 v28, v[4:7]
	v_cmp_le_u64_e32 vcc_lo, s[12:13], v[2:3]
	s_or_b32 s9, vcc_lo, s1
	s_and_saveexec_b32 s11, s9
	s_xor_b32 s9, exec_lo, s11
	s_cbranch_execz .LBB546_13
; %bb.12:                               ;   in Loop: Header=BB546_7 Depth=1
	v_mov_b32_e32 v2, v3
	v_mov_b32_e32 v4, v3
	;; [unrolled: 1-line block ×3, first 2 shown]
	ds_write_b128 v29, v[2:5]
.LBB546_13:                             ;   in Loop: Header=BB546_7 Depth=1
	s_andn2_saveexec_b32 s9, s9
	s_cbranch_execz .LBB546_6
; %bb.14:                               ;   in Loop: Header=BB546_7 Depth=1
	v_lshlrev_b64 v[4:5], 4, v[2:3]
	v_add_co_u32 v4, vcc_lo, v30, v4
	v_add_co_ci_u32_e64 v5, null, v31, v5, vcc_lo
	flat_load_dwordx4 v[4:7], v[4:5]
	s_waitcnt vmcnt(0) lgkmcnt(0)
	ds_write2_b64 v29, v[4:5], v[6:7] offset1:1
	s_branch .LBB546_6
.LBB546_15:
	v_add_nc_u32_e32 v25, s7, v1
	v_cmp_neq_f64_e64 s4, s[28:29], 0
	s_lshl_b64 s[0:1], s[42:43], 4
	s_waitcnt lgkmcnt(0)
	s_add_u32 s2, s2, s0
	v_ashrrev_i32_e32 v3, 31, v25
	v_mul_lo_u32 v4, s41, v25
	v_mad_u64_u32 v[1:2], null, s40, v25, 0
	s_addc_u32 s3, s3, s1
	v_mul_lo_u32 v3, s40, v3
	s_xor_b32 s5, s10, -1
	v_cmp_gt_i32_e64 s0, s8, v25
	v_add3_u32 v2, v2, v3, v4
	v_add_nc_u32_e32 v4, s6, v0
	s_or_b32 s4, s4, s5
	v_lshlrev_b64 v[0:1], 4, v[1:2]
	v_cmp_le_i32_e32 vcc_lo, v4, v25
	v_ashrrev_i32_e32 v5, 31, v4
	v_cndmask_b32_e64 v24, 0, 1, s4
	s_and_b32 s5, s0, vcc_lo
	v_add_co_u32 v26, s1, s2, v0
	v_add_co_ci_u32_e64 v27, null, s3, v1, s1
	s_and_saveexec_b32 s1, s5
	s_cbranch_execz .LBB546_19
; %bb.16:
	v_mul_f64 v[0:1], s[46:47], v[22:23]
	v_mul_f64 v[2:3], s[44:45], v[22:23]
	v_lshlrev_b64 v[6:7], 4, v[4:5]
	v_add_co_u32 v6, vcc_lo, v26, v6
	v_add_co_ci_u32_e64 v7, null, v27, v7, vcc_lo
	s_andn2_b32 vcc_lo, exec_lo, s4
	v_fma_f64 v[0:1], s[44:45], v[20:21], -v[0:1]
	v_fma_f64 v[2:3], s[46:47], v[20:21], v[2:3]
	s_cbranch_vccnz .LBB546_18
; %bb.17:
	flat_load_dwordx4 v[20:23], v[6:7]
	s_waitcnt vmcnt(0) lgkmcnt(0)
	v_mul_f64 v[28:29], s[30:31], v[22:23]
	v_mul_f64 v[22:23], s[28:29], v[22:23]
	v_fma_f64 v[28:29], s[28:29], v[20:21], -v[28:29]
	v_fma_f64 v[20:21], s[30:31], v[20:21], v[22:23]
	v_add_f64 v[0:1], v[0:1], v[28:29]
	v_add_f64 v[2:3], v[2:3], v[20:21]
.LBB546_18:
	flat_store_dwordx4 v[6:7], v[0:3]
.LBB546_19:
	s_or_b32 exec_lo, exec_lo, s1
	v_add_nc_u32_e32 v6, 16, v4
	v_cmp_le_i32_e32 vcc_lo, v6, v25
	v_ashrrev_i32_e32 v7, 31, v6
	s_and_b32 s0, s0, vcc_lo
	s_and_saveexec_b32 s1, s0
	s_cbranch_execz .LBB546_23
; %bb.20:
	v_mul_f64 v[0:1], s[46:47], v[16:17]
	v_mul_f64 v[2:3], s[44:45], v[16:17]
	v_lshlrev_b64 v[16:17], 4, v[6:7]
	v_cmp_ne_u32_e32 vcc_lo, 1, v24
	s_and_b32 vcc_lo, exec_lo, vcc_lo
	v_add_co_u32 v16, s0, v26, v16
	v_add_co_ci_u32_e64 v17, null, v27, v17, s0
	v_fma_f64 v[0:1], s[44:45], v[18:19], -v[0:1]
	v_fma_f64 v[2:3], s[46:47], v[18:19], v[2:3]
	s_cbranch_vccnz .LBB546_22
; %bb.21:
	flat_load_dwordx4 v[18:21], v[16:17]
	s_waitcnt vmcnt(0) lgkmcnt(0)
	v_mul_f64 v[22:23], s[30:31], v[20:21]
	v_mul_f64 v[20:21], s[28:29], v[20:21]
	v_fma_f64 v[22:23], s[28:29], v[18:19], -v[22:23]
	v_fma_f64 v[18:19], s[30:31], v[18:19], v[20:21]
	v_add_f64 v[0:1], v[0:1], v[22:23]
	v_add_f64 v[2:3], v[2:3], v[18:19]
.LBB546_22:
	flat_store_dwordx4 v[16:17], v[0:3]
.LBB546_23:
	s_or_b32 exec_lo, exec_lo, s1
	v_add_nc_u32_e32 v18, 16, v25
	v_ashrrev_i32_e32 v2, 31, v18
	v_mul_lo_u32 v3, s41, v18
	v_mad_u64_u32 v[0:1], null, s40, v18, 0
	v_cmp_gt_i32_e64 s0, s8, v18
	v_mul_lo_u32 v2, s40, v2
	v_cmp_le_i32_e32 vcc_lo, v4, v18
	v_add3_u32 v1, v1, v2, v3
	v_lshlrev_b64 v[0:1], 4, v[0:1]
	v_add_co_u32 v16, s1, s2, v0
	v_add_co_ci_u32_e64 v17, null, s3, v1, s1
	s_and_b32 s1, s0, vcc_lo
	s_and_saveexec_b32 s2, s1
	s_cbranch_execz .LBB546_27
; %bb.24:
	v_mul_f64 v[0:1], s[46:47], v[12:13]
	v_mul_f64 v[2:3], s[44:45], v[12:13]
	v_lshlrev_b64 v[4:5], 4, v[4:5]
	v_cmp_ne_u32_e32 vcc_lo, 1, v24
	s_and_b32 vcc_lo, exec_lo, vcc_lo
	v_add_co_u32 v4, s1, v16, v4
	v_add_co_ci_u32_e64 v5, null, v17, v5, s1
	v_fma_f64 v[0:1], s[44:45], v[14:15], -v[0:1]
	v_fma_f64 v[2:3], s[46:47], v[14:15], v[2:3]
	s_cbranch_vccnz .LBB546_26
; %bb.25:
	flat_load_dwordx4 v[12:15], v[4:5]
	s_waitcnt vmcnt(0) lgkmcnt(0)
	v_mul_f64 v[19:20], s[30:31], v[14:15]
	v_mul_f64 v[14:15], s[28:29], v[14:15]
	v_fma_f64 v[19:20], s[28:29], v[12:13], -v[19:20]
	v_fma_f64 v[12:13], s[30:31], v[12:13], v[14:15]
	v_add_f64 v[0:1], v[0:1], v[19:20]
	v_add_f64 v[2:3], v[2:3], v[12:13]
.LBB546_26:
	flat_store_dwordx4 v[4:5], v[0:3]
.LBB546_27:
	s_or_b32 exec_lo, exec_lo, s2
	v_cmp_le_i32_e32 vcc_lo, v6, v18
	s_and_b32 s0, s0, vcc_lo
	s_and_saveexec_b32 s1, s0
	s_cbranch_execz .LBB546_32
; %bb.28:
	v_mul_f64 v[0:1], s[46:47], v[8:9]
	v_mul_f64 v[2:3], s[44:45], v[8:9]
	v_lshlrev_b64 v[4:5], 4, v[6:7]
	v_cmp_ne_u32_e32 vcc_lo, 1, v24
	s_and_b32 vcc_lo, exec_lo, vcc_lo
	v_add_co_u32 v4, s0, v16, v4
	v_add_co_ci_u32_e64 v5, null, v17, v5, s0
	v_fma_f64 v[0:1], s[44:45], v[10:11], -v[0:1]
	v_fma_f64 v[2:3], s[46:47], v[10:11], v[2:3]
	s_cbranch_vccnz .LBB546_30
; %bb.29:
	flat_load_dwordx4 v[6:9], v[4:5]
	s_waitcnt vmcnt(0) lgkmcnt(0)
	v_mul_f64 v[10:11], s[30:31], v[8:9]
	v_mul_f64 v[8:9], s[28:29], v[8:9]
	v_fma_f64 v[10:11], s[28:29], v[6:7], -v[10:11]
	v_fma_f64 v[6:7], s[30:31], v[6:7], v[8:9]
	v_add_f64 v[0:1], v[0:1], v[10:11]
	v_add_f64 v[2:3], v[2:3], v[6:7]
.LBB546_30:
	flat_store_dwordx4 v[4:5], v[0:3]
	s_endpgm
.LBB546_31:
.LBB546_32:
	s_endpgm
	.section	.rodata,"a",@progbits
	.p2align	6, 0x0
	.amdhsa_kernel _ZL29rocblas_internal_gemmt_kernelIlLi16ELi32ELi8ELc67ELc78ELc85ELb1ELb0E19rocblas_complex_numIdEPKS1_PKS3_PKPS1_EviT_T9_T10_S9_lSB_S9_lSA_T11_S9_li
		.amdhsa_group_segment_fixed_size 8192
		.amdhsa_private_segment_fixed_size 0
		.amdhsa_kernarg_size 108
		.amdhsa_user_sgpr_count 6
		.amdhsa_user_sgpr_private_segment_buffer 1
		.amdhsa_user_sgpr_dispatch_ptr 0
		.amdhsa_user_sgpr_queue_ptr 0
		.amdhsa_user_sgpr_kernarg_segment_ptr 1
		.amdhsa_user_sgpr_dispatch_id 0
		.amdhsa_user_sgpr_flat_scratch_init 0
		.amdhsa_user_sgpr_private_segment_size 0
		.amdhsa_wavefront_size32 1
		.amdhsa_uses_dynamic_stack 0
		.amdhsa_system_sgpr_private_segment_wavefront_offset 0
		.amdhsa_system_sgpr_workgroup_id_x 1
		.amdhsa_system_sgpr_workgroup_id_y 1
		.amdhsa_system_sgpr_workgroup_id_z 1
		.amdhsa_system_sgpr_workgroup_info 0
		.amdhsa_system_vgpr_workitem_id 1
		.amdhsa_next_free_vgpr 126
		.amdhsa_next_free_sgpr 48
		.amdhsa_reserve_vcc 1
		.amdhsa_reserve_flat_scratch 0
		.amdhsa_float_round_mode_32 0
		.amdhsa_float_round_mode_16_64 0
		.amdhsa_float_denorm_mode_32 3
		.amdhsa_float_denorm_mode_16_64 3
		.amdhsa_dx10_clamp 1
		.amdhsa_ieee_mode 1
		.amdhsa_fp16_overflow 0
		.amdhsa_workgroup_processor_mode 1
		.amdhsa_memory_ordered 1
		.amdhsa_forward_progress 1
		.amdhsa_shared_vgpr_count 0
		.amdhsa_exception_fp_ieee_invalid_op 0
		.amdhsa_exception_fp_denorm_src 0
		.amdhsa_exception_fp_ieee_div_zero 0
		.amdhsa_exception_fp_ieee_overflow 0
		.amdhsa_exception_fp_ieee_underflow 0
		.amdhsa_exception_fp_ieee_inexact 0
		.amdhsa_exception_int_div_zero 0
	.end_amdhsa_kernel
	.section	.text._ZL29rocblas_internal_gemmt_kernelIlLi16ELi32ELi8ELc67ELc78ELc85ELb1ELb0E19rocblas_complex_numIdEPKS1_PKS3_PKPS1_EviT_T9_T10_S9_lSB_S9_lSA_T11_S9_li,"axG",@progbits,_ZL29rocblas_internal_gemmt_kernelIlLi16ELi32ELi8ELc67ELc78ELc85ELb1ELb0E19rocblas_complex_numIdEPKS1_PKS3_PKPS1_EviT_T9_T10_S9_lSB_S9_lSA_T11_S9_li,comdat
.Lfunc_end546:
	.size	_ZL29rocblas_internal_gemmt_kernelIlLi16ELi32ELi8ELc67ELc78ELc85ELb1ELb0E19rocblas_complex_numIdEPKS1_PKS3_PKPS1_EviT_T9_T10_S9_lSB_S9_lSA_T11_S9_li, .Lfunc_end546-_ZL29rocblas_internal_gemmt_kernelIlLi16ELi32ELi8ELc67ELc78ELc85ELb1ELb0E19rocblas_complex_numIdEPKS1_PKS3_PKPS1_EviT_T9_T10_S9_lSB_S9_lSA_T11_S9_li
                                        ; -- End function
	.set _ZL29rocblas_internal_gemmt_kernelIlLi16ELi32ELi8ELc67ELc78ELc85ELb1ELb0E19rocblas_complex_numIdEPKS1_PKS3_PKPS1_EviT_T9_T10_S9_lSB_S9_lSA_T11_S9_li.num_vgpr, 126
	.set _ZL29rocblas_internal_gemmt_kernelIlLi16ELi32ELi8ELc67ELc78ELc85ELb1ELb0E19rocblas_complex_numIdEPKS1_PKS3_PKPS1_EviT_T9_T10_S9_lSB_S9_lSA_T11_S9_li.num_agpr, 0
	.set _ZL29rocblas_internal_gemmt_kernelIlLi16ELi32ELi8ELc67ELc78ELc85ELb1ELb0E19rocblas_complex_numIdEPKS1_PKS3_PKPS1_EviT_T9_T10_S9_lSB_S9_lSA_T11_S9_li.numbered_sgpr, 48
	.set _ZL29rocblas_internal_gemmt_kernelIlLi16ELi32ELi8ELc67ELc78ELc85ELb1ELb0E19rocblas_complex_numIdEPKS1_PKS3_PKPS1_EviT_T9_T10_S9_lSB_S9_lSA_T11_S9_li.num_named_barrier, 0
	.set _ZL29rocblas_internal_gemmt_kernelIlLi16ELi32ELi8ELc67ELc78ELc85ELb1ELb0E19rocblas_complex_numIdEPKS1_PKS3_PKPS1_EviT_T9_T10_S9_lSB_S9_lSA_T11_S9_li.private_seg_size, 0
	.set _ZL29rocblas_internal_gemmt_kernelIlLi16ELi32ELi8ELc67ELc78ELc85ELb1ELb0E19rocblas_complex_numIdEPKS1_PKS3_PKPS1_EviT_T9_T10_S9_lSB_S9_lSA_T11_S9_li.uses_vcc, 1
	.set _ZL29rocblas_internal_gemmt_kernelIlLi16ELi32ELi8ELc67ELc78ELc85ELb1ELb0E19rocblas_complex_numIdEPKS1_PKS3_PKPS1_EviT_T9_T10_S9_lSB_S9_lSA_T11_S9_li.uses_flat_scratch, 0
	.set _ZL29rocblas_internal_gemmt_kernelIlLi16ELi32ELi8ELc67ELc78ELc85ELb1ELb0E19rocblas_complex_numIdEPKS1_PKS3_PKPS1_EviT_T9_T10_S9_lSB_S9_lSA_T11_S9_li.has_dyn_sized_stack, 0
	.set _ZL29rocblas_internal_gemmt_kernelIlLi16ELi32ELi8ELc67ELc78ELc85ELb1ELb0E19rocblas_complex_numIdEPKS1_PKS3_PKPS1_EviT_T9_T10_S9_lSB_S9_lSA_T11_S9_li.has_recursion, 0
	.set _ZL29rocblas_internal_gemmt_kernelIlLi16ELi32ELi8ELc67ELc78ELc85ELb1ELb0E19rocblas_complex_numIdEPKS1_PKS3_PKPS1_EviT_T9_T10_S9_lSB_S9_lSA_T11_S9_li.has_indirect_call, 0
	.section	.AMDGPU.csdata,"",@progbits
; Kernel info:
; codeLenInByte = 3576
; TotalNumSgprs: 50
; NumVgprs: 126
; ScratchSize: 0
; MemoryBound: 1
; FloatMode: 240
; IeeeMode: 1
; LDSByteSize: 8192 bytes/workgroup (compile time only)
; SGPRBlocks: 0
; VGPRBlocks: 15
; NumSGPRsForWavesPerEU: 50
; NumVGPRsForWavesPerEU: 126
; Occupancy: 8
; WaveLimiterHint : 1
; COMPUTE_PGM_RSRC2:SCRATCH_EN: 0
; COMPUTE_PGM_RSRC2:USER_SGPR: 6
; COMPUTE_PGM_RSRC2:TRAP_HANDLER: 0
; COMPUTE_PGM_RSRC2:TGID_X_EN: 1
; COMPUTE_PGM_RSRC2:TGID_Y_EN: 1
; COMPUTE_PGM_RSRC2:TGID_Z_EN: 1
; COMPUTE_PGM_RSRC2:TIDIG_COMP_CNT: 1
	.section	.text._ZL29rocblas_internal_gemmt_kernelIlLi16ELi32ELi8ELc67ELc84ELc85ELb1ELb0E19rocblas_complex_numIdEPKS1_PKS3_PKPS1_EviT_T9_T10_S9_lSB_S9_lSA_T11_S9_li,"axG",@progbits,_ZL29rocblas_internal_gemmt_kernelIlLi16ELi32ELi8ELc67ELc84ELc85ELb1ELb0E19rocblas_complex_numIdEPKS1_PKS3_PKPS1_EviT_T9_T10_S9_lSB_S9_lSA_T11_S9_li,comdat
	.globl	_ZL29rocblas_internal_gemmt_kernelIlLi16ELi32ELi8ELc67ELc84ELc85ELb1ELb0E19rocblas_complex_numIdEPKS1_PKS3_PKPS1_EviT_T9_T10_S9_lSB_S9_lSA_T11_S9_li ; -- Begin function _ZL29rocblas_internal_gemmt_kernelIlLi16ELi32ELi8ELc67ELc84ELc85ELb1ELb0E19rocblas_complex_numIdEPKS1_PKS3_PKPS1_EviT_T9_T10_S9_lSB_S9_lSA_T11_S9_li
	.p2align	8
	.type	_ZL29rocblas_internal_gemmt_kernelIlLi16ELi32ELi8ELc67ELc84ELc85ELb1ELb0E19rocblas_complex_numIdEPKS1_PKS3_PKPS1_EviT_T9_T10_S9_lSB_S9_lSA_T11_S9_li,@function
_ZL29rocblas_internal_gemmt_kernelIlLi16ELi32ELi8ELc67ELc84ELc85ELb1ELb0E19rocblas_complex_numIdEPKS1_PKS3_PKPS1_EviT_T9_T10_S9_lSB_S9_lSA_T11_S9_li: ; @_ZL29rocblas_internal_gemmt_kernelIlLi16ELi32ELi8ELc67ELc84ELc85ELb1ELb0E19rocblas_complex_numIdEPKS1_PKS3_PKPS1_EviT_T9_T10_S9_lSB_S9_lSA_T11_S9_li
; %bb.0:
	s_load_dwordx8 s[36:43], s[4:5], 0x48
	s_waitcnt lgkmcnt(0)
	s_load_dwordx4 s[28:31], s[36:37], 0x0
	s_load_dwordx16 s[12:27], s[4:5], 0x8
	s_waitcnt lgkmcnt(0)
	v_cmp_eq_f64_e64 s0, s[28:29], 1.0
	v_cmp_eq_f64_e64 s10, s[30:31], 0
	s_load_dwordx4 s[44:47], s[14:15], 0x0
	s_and_b32 s0, s0, s10
	s_andn2_b32 vcc_lo, exec_lo, s0
	s_mov_b32 s0, -1
	s_cbranch_vccnz .LBB547_3
; %bb.1:
	s_cmp_lg_u64 s[12:13], 0
	s_cbranch_scc0 .LBB547_31
; %bb.2:
	s_waitcnt lgkmcnt(0)
	v_cmp_neq_f64_e64 s0, s[44:45], 0
	v_cmp_neq_f64_e64 s1, s[46:47], 0
	s_or_b32 s0, s0, s1
.LBB547_3:
	s_and_b32 vcc_lo, exec_lo, s0
	s_cbranch_vccz .LBB547_32
; %bb.4:
	s_waitcnt lgkmcnt(0)
	v_cmp_eq_f64_e64 s11, s[44:45], 0
	v_cmp_eq_f64_e64 s14, s[46:47], 0
	s_mov_b32 s9, 0
	v_mov_b32_e32 v20, 0
	s_lshl_b64 s[0:1], s[8:9], 3
	v_mov_b32_e32 v22, 0
	s_add_u32 s2, s38, s0
	s_addc_u32 s3, s39, s1
	s_load_dword s8, s[4:5], 0x0
	s_load_dwordx2 s[2:3], s[2:3], 0x0
	v_cmp_lt_i64_e64 s4, s[12:13], 1
	v_mov_b32_e32 v18, 0
	v_mov_b32_e32 v16, 0
	;; [unrolled: 1-line block ×13, first 2 shown]
	s_and_b32 s5, s11, s14
	v_mov_b32_e32 v9, 0
	s_or_b32 s4, s5, s4
	s_lshl_b32 s6, s6, 5
	s_and_b32 vcc_lo, exec_lo, s4
	s_lshl_b32 s7, s7, 5
	s_cbranch_vccnz .LBB547_15
; %bb.5:
	s_add_u32 s4, s22, s0
	s_addc_u32 s5, s23, s1
	s_lshl_b64 s[14:15], s[26:27], 4
	s_load_dwordx2 s[4:5], s[4:5], 0x0
	v_lshl_add_u32 v2, v1, 4, v0
	v_and_b32_e32 v24, 7, v0
	v_mov_b32_e32 v8, 0
	v_mov_b32_e32 v10, 0
	;; [unrolled: 1-line block ×3, first 2 shown]
	v_and_b32_e32 v3, 31, v2
	v_lshrrev_b32_e32 v6, 3, v2
	v_lshrrev_b32_e32 v27, 5, v2
	v_lshlrev_b32_e32 v28, 4, v24
	v_mov_b32_e32 v14, 0
	v_or_b32_e32 v7, s6, v3
	v_add_nc_u32_e32 v2, s7, v6
	v_lshlrev_b32_e32 v29, 4, v3
	v_lshl_or_b32 v31, v6, 7, v28
	v_mov_b32_e32 v16, 0
	v_mul_lo_u32 v30, s19, v7
	v_mad_u64_u32 v[4:5], null, s18, v7, 0
	v_ashrrev_i32_e32 v3, 31, v2
	s_waitcnt lgkmcnt(0)
	s_add_u32 s9, s4, s14
	s_addc_u32 s11, s5, s15
	s_add_u32 s0, s16, s0
	s_addc_u32 s1, s17, s1
	s_lshl_b64 s[4:5], s[20:21], 4
	s_load_dwordx2 s[0:1], s[0:1], 0x0
	v_cmp_gt_i32_e32 vcc_lo, s8, v2
	v_lshl_or_b32 v28, v27, 9, v29
	v_add_nc_u32_e32 v29, 0x1000, v31
	v_mov_b32_e32 v18, 0
	v_mov_b32_e32 v22, 0
	;; [unrolled: 1-line block ×3, first 2 shown]
	v_lshlrev_b32_e32 v25, 4, v0
	v_lshl_add_u32 v26, v1, 7, 0x1000
	v_mov_b32_e32 v9, 0
	v_mov_b32_e32 v11, 0
	;; [unrolled: 1-line block ×8, first 2 shown]
	s_waitcnt lgkmcnt(0)
	s_add_u32 s4, s0, s4
	s_addc_u32 s5, s1, s5
	s_ashr_i32 s0, s6, 31
	s_mul_i32 s1, s18, s0
	v_cmp_gt_i32_e64 s0, s8, v7
	v_add3_u32 v5, v5, s1, v30
	v_lshlrev_b64 v[6:7], 4, v[2:3]
	v_lshlrev_b64 v[2:3], 4, v[4:5]
	v_add_co_u32 v30, s1, s9, v6
	v_add_co_ci_u32_e64 v31, null, s11, v7, s1
	v_add_co_u32 v32, s1, s4, v2
	v_add_co_ci_u32_e64 v33, null, s5, v3, s1
	v_mov_b32_e32 v3, 0
	s_mov_b64 s[4:5], 0
	s_xor_b32 s1, vcc_lo, -1
	s_branch .LBB547_7
.LBB547_6:                              ;   in Loop: Header=BB547_7 Depth=1
	s_or_b32 exec_lo, exec_lo, s9
	s_waitcnt lgkmcnt(0)
	s_barrier
	buffer_gl0_inv
	ds_read_b128 v[4:7], v26
	ds_read_b128 v[34:37], v25
	ds_read_b128 v[38:41], v25 offset:256
	ds_read_b128 v[42:45], v26 offset:2048
	;; [unrolled: 1-line block ×12, first 2 shown]
	s_add_u32 s4, s4, 8
	s_addc_u32 s5, s5, 0
	v_cmp_gt_i64_e64 s9, s[12:13], s[4:5]
	s_and_b32 vcc_lo, exec_lo, s9
	s_waitcnt lgkmcnt(12)
	v_mul_f64 v[86:87], v[6:7], v[36:37]
	v_mul_f64 v[88:89], v[4:5], v[36:37]
	s_waitcnt lgkmcnt(11)
	v_mul_f64 v[90:91], v[6:7], v[40:41]
	v_mul_f64 v[92:93], v[4:5], v[40:41]
	;; [unrolled: 3-line block ×3, first 2 shown]
	v_mul_f64 v[96:97], v[44:45], v[40:41]
	v_mul_f64 v[40:41], v[42:43], v[40:41]
	s_waitcnt lgkmcnt(8)
	v_mul_f64 v[98:99], v[48:49], v[52:53]
	v_mul_f64 v[100:101], v[46:47], v[52:53]
	s_waitcnt lgkmcnt(7)
	v_mul_f64 v[102:103], v[48:49], v[56:57]
	v_mul_f64 v[104:105], v[46:47], v[56:57]
	s_waitcnt lgkmcnt(6)
	v_mul_f64 v[106:107], v[60:61], v[52:53]
	v_mul_f64 v[52:53], v[58:59], v[52:53]
	;; [unrolled: 1-line block ×4, first 2 shown]
	s_waitcnt lgkmcnt(3)
	v_mul_f64 v[112:113], v[72:73], v[64:65]
	v_mul_f64 v[116:117], v[70:71], v[64:65]
	;; [unrolled: 1-line block ×4, first 2 shown]
	s_waitcnt lgkmcnt(1)
	v_mul_f64 v[122:123], v[80:81], v[64:65]
	v_mul_f64 v[64:65], v[78:79], v[64:65]
	v_fma_f64 v[86:87], v[4:5], v[34:35], -v[86:87]
	v_fma_f64 v[88:89], v[6:7], v[34:35], v[88:89]
	v_fma_f64 v[90:91], v[4:5], v[38:39], -v[90:91]
	v_fma_f64 v[92:93], v[6:7], v[38:39], v[92:93]
	;; [unrolled: 2-line block ×8, first 2 shown]
	ds_read_b128 v[4:7], v25 offset:1536
	ds_read_b128 v[34:37], v25 offset:1792
	ds_read_b128 v[38:41], v25 offset:2048
	ds_read_b128 v[42:45], v25 offset:2304
	ds_read_b128 v[46:49], v26 offset:64
	ds_read_b128 v[50:53], v26 offset:80
	v_add_f64 v[54:55], v[20:21], v[86:87]
	v_add_f64 v[22:23], v[88:89], v[22:23]
	;; [unrolled: 1-line block ×3, first 2 shown]
	v_mul_f64 v[86:87], v[80:81], v[68:69]
	v_mul_f64 v[68:69], v[78:79], v[68:69]
	v_add_f64 v[88:89], v[92:93], v[16:17]
	v_add_f64 v[92:93], v[14:15], v[94:95]
	;; [unrolled: 1-line block ×5, first 2 shown]
	v_fma_f64 v[90:91], v[70:71], v[62:63], -v[112:113]
	v_fma_f64 v[94:95], v[72:73], v[62:63], v[116:117]
	v_fma_f64 v[70:71], v[70:71], v[66:67], -v[118:119]
	v_fma_f64 v[72:73], v[72:73], v[66:67], v[120:121]
	s_waitcnt lgkmcnt(5)
	v_mul_f64 v[108:109], v[76:77], v[6:7]
	v_mul_f64 v[110:111], v[74:75], v[6:7]
	v_fma_f64 v[112:113], v[78:79], v[62:63], -v[122:123]
	v_fma_f64 v[62:63], v[80:81], v[62:63], v[64:65]
	s_waitcnt lgkmcnt(4)
	v_mul_f64 v[64:65], v[76:77], v[36:37]
	v_mul_f64 v[116:117], v[74:75], v[36:37]
	ds_read_b128 v[14:17], v25 offset:2560
	ds_read_b128 v[18:21], v25 offset:2816
	v_add_f64 v[98:99], v[54:55], v[98:99]
	v_add_f64 v[22:23], v[100:101], v[22:23]
	;; [unrolled: 1-line block ×3, first 2 shown]
	v_mul_f64 v[102:103], v[84:85], v[6:7]
	v_mul_f64 v[6:7], v[82:83], v[6:7]
	v_add_f64 v[88:89], v[104:105], v[88:89]
	v_add_f64 v[92:93], v[92:93], v[106:107]
	v_fma_f64 v[78:79], v[78:79], v[66:67], -v[86:87]
	v_fma_f64 v[66:67], v[80:81], v[66:67], v[68:69]
	v_mul_f64 v[68:69], v[84:85], v[36:37]
	v_mul_f64 v[36:37], v[82:83], v[36:37]
	v_add_f64 v[12:13], v[124:125], v[12:13]
	v_add_f64 v[58:59], v[96:97], v[58:59]
	;; [unrolled: 1-line block ×3, first 2 shown]
	ds_read_b128 v[8:11], v26 offset:2112
	ds_read_b128 v[54:57], v26 offset:2128
	s_waitcnt lgkmcnt(5)
	v_mul_f64 v[80:81], v[48:49], v[40:41]
	v_mul_f64 v[86:87], v[46:47], v[40:41]
	;; [unrolled: 1-line block ×4, first 2 shown]
	v_fma_f64 v[106:107], v[74:75], v[4:5], -v[108:109]
	v_fma_f64 v[108:109], v[76:77], v[4:5], v[110:111]
	v_fma_f64 v[64:65], v[74:75], v[34:35], -v[64:65]
	v_fma_f64 v[74:75], v[76:77], v[34:35], v[116:117]
	v_add_f64 v[90:91], v[98:99], v[90:91]
	v_add_f64 v[22:23], v[94:95], v[22:23]
	;; [unrolled: 1-line block ×3, first 2 shown]
	v_fma_f64 v[94:95], v[82:83], v[4:5], -v[102:103]
	v_add_f64 v[72:73], v[72:73], v[88:89]
	v_add_f64 v[88:89], v[92:93], v[112:113]
	v_fma_f64 v[4:5], v[84:85], v[4:5], v[6:7]
	s_waitcnt lgkmcnt(3)
	v_mul_f64 v[98:99], v[52:53], v[16:17]
	v_fma_f64 v[6:7], v[82:83], v[34:35], -v[68:69]
	v_fma_f64 v[68:69], v[84:85], v[34:35], v[36:37]
	s_waitcnt lgkmcnt(1)
	v_mul_f64 v[76:77], v[10:11], v[40:41]
	v_mul_f64 v[40:41], v[8:9], v[40:41]
	;; [unrolled: 1-line block ×4, first 2 shown]
	v_add_f64 v[12:13], v[62:63], v[12:13]
	v_add_f64 v[58:59], v[58:59], v[78:79]
	;; [unrolled: 1-line block ×3, first 2 shown]
	v_mul_f64 v[100:101], v[50:51], v[16:17]
	v_mul_f64 v[62:63], v[52:53], v[20:21]
	v_fma_f64 v[78:79], v[46:47], v[38:39], -v[80:81]
	v_fma_f64 v[80:81], v[48:49], v[38:39], v[86:87]
	v_fma_f64 v[46:47], v[46:47], v[42:43], -v[104:105]
	v_fma_f64 v[48:49], v[48:49], v[42:43], v[96:97]
	v_add_f64 v[66:67], v[90:91], v[106:107]
	v_add_f64 v[82:83], v[108:109], v[22:23]
	;; [unrolled: 1-line block ×5, first 2 shown]
	s_waitcnt lgkmcnt(0)
	v_mul_f64 v[84:85], v[56:57], v[16:17]
	v_mul_f64 v[16:17], v[54:55], v[16:17]
	;; [unrolled: 1-line block ×4, first 2 shown]
	v_fma_f64 v[70:71], v[8:9], v[38:39], -v[76:77]
	v_mul_f64 v[76:77], v[50:51], v[20:21]
	v_fma_f64 v[90:91], v[10:11], v[38:39], v[40:41]
	v_fma_f64 v[8:9], v[8:9], v[42:43], -v[92:93]
	v_add_f64 v[12:13], v[4:5], v[12:13]
	v_add_f64 v[58:59], v[58:59], v[6:7]
	v_fma_f64 v[42:43], v[10:11], v[42:43], v[44:45]
	v_add_f64 v[44:45], v[68:69], v[60:61]
	ds_read_b128 v[4:7], v26 offset:96
	ds_read_b128 v[20:23], v25 offset:3072
	;; [unrolled: 1-line block ×4, first 2 shown]
	v_add_f64 v[60:61], v[66:67], v[78:79]
	v_add_f64 v[66:67], v[80:81], v[82:83]
	;; [unrolled: 1-line block ×3, first 2 shown]
	v_fma_f64 v[64:65], v[50:51], v[14:15], -v[98:99]
	v_add_f64 v[48:49], v[48:49], v[72:73]
	v_fma_f64 v[50:51], v[50:51], v[18:19], -v[62:63]
	v_fma_f64 v[62:63], v[54:55], v[14:15], -v[84:85]
	v_fma_f64 v[72:73], v[56:57], v[14:15], v[16:17]
	v_fma_f64 v[54:55], v[54:55], v[18:19], -v[86:87]
	v_add_f64 v[68:69], v[74:75], v[70:71]
	v_fma_f64 v[70:71], v[52:53], v[14:15], v[100:101]
	v_fma_f64 v[52:53], v[52:53], v[18:19], v[76:77]
	;; [unrolled: 1-line block ×3, first 2 shown]
	v_add_f64 v[74:75], v[90:91], v[12:13]
	v_add_f64 v[58:59], v[58:59], v[8:9]
	s_waitcnt lgkmcnt(2)
	v_mul_f64 v[76:77], v[6:7], v[22:23]
	v_mul_f64 v[78:79], v[4:5], v[22:23]
	s_waitcnt lgkmcnt(1)
	v_mul_f64 v[80:81], v[6:7], v[36:37]
	v_mul_f64 v[82:83], v[4:5], v[36:37]
	;; [unrolled: 3-line block ×3, first 2 shown]
	v_mul_f64 v[86:87], v[40:41], v[36:37]
	v_add_f64 v[88:89], v[42:43], v[44:45]
	v_mul_f64 v[36:37], v[38:39], v[36:37]
	ds_read_b128 v[8:11], v26 offset:112
	ds_read_b128 v[12:15], v26 offset:2160
	;; [unrolled: 1-line block ×4, first 2 shown]
	v_add_f64 v[60:61], v[60:61], v[64:65]
	v_add_f64 v[46:47], v[46:47], v[50:51]
	s_waitcnt lgkmcnt(0)
	s_barrier
	v_add_f64 v[50:51], v[68:69], v[62:63]
	v_add_f64 v[64:65], v[70:71], v[66:67]
	;; [unrolled: 1-line block ×3, first 2 shown]
	buffer_gl0_inv
	v_add_f64 v[52:53], v[72:73], v[74:75]
	v_add_f64 v[54:55], v[58:59], v[54:55]
	v_fma_f64 v[58:59], v[4:5], v[20:21], -v[76:77]
	v_fma_f64 v[62:63], v[6:7], v[20:21], v[78:79]
	v_fma_f64 v[4:5], v[4:5], v[34:35], -v[80:81]
	v_fma_f64 v[6:7], v[6:7], v[34:35], v[82:83]
	;; [unrolled: 2-line block ×3, first 2 shown]
	v_fma_f64 v[22:23], v[38:39], v[34:35], -v[86:87]
	v_add_f64 v[38:39], v[56:57], v[88:89]
	v_fma_f64 v[34:35], v[40:41], v[34:35], v[36:37]
	v_mul_f64 v[36:37], v[10:11], v[18:19]
	v_mul_f64 v[40:41], v[8:9], v[18:19]
	;; [unrolled: 1-line block ×8, first 2 shown]
	v_add_f64 v[58:59], v[60:61], v[58:59]
	v_add_f64 v[60:61], v[62:63], v[64:65]
	;; [unrolled: 1-line block ×8, first 2 shown]
	v_fma_f64 v[20:21], v[8:9], v[16:17], -v[36:37]
	v_fma_f64 v[22:23], v[10:11], v[16:17], v[40:41]
	v_fma_f64 v[8:9], v[8:9], v[42:43], -v[56:57]
	v_fma_f64 v[10:11], v[10:11], v[42:43], v[68:69]
	;; [unrolled: 2-line block ×4, first 2 shown]
	v_add_f64 v[20:21], v[58:59], v[20:21]
	v_add_f64 v[22:23], v[22:23], v[60:61]
	;; [unrolled: 1-line block ×8, first 2 shown]
	s_cbranch_vccz .LBB547_15
.LBB547_7:                              ; =>This Inner Loop Header: Depth=1
	v_mov_b32_e32 v4, 0
	v_mov_b32_e32 v6, 0
	;; [unrolled: 1-line block ×4, first 2 shown]
	s_and_saveexec_b32 s9, s0
	s_cbranch_execz .LBB547_11
; %bb.8:                                ;   in Loop: Header=BB547_7 Depth=1
	v_mov_b32_e32 v6, 0
	v_mov_b32_e32 v4, 0
	v_add_nc_u32_e32 v2, s4, v27
	v_mov_b32_e32 v7, 0
	v_mov_b32_e32 v5, 0
	s_mov_b32 s11, exec_lo
	v_cmpx_gt_u64_e64 s[12:13], v[2:3]
	s_cbranch_execz .LBB547_10
; %bb.9:                                ;   in Loop: Header=BB547_7 Depth=1
	v_lshlrev_b64 v[4:5], 4, v[2:3]
	v_add_co_u32 v4, vcc_lo, v32, v4
	v_add_co_ci_u32_e64 v5, null, v33, v5, vcc_lo
	flat_load_dwordx4 v[4:7], v[4:5]
	s_waitcnt vmcnt(0) lgkmcnt(0)
	v_xor_b32_e32 v7, 0x80000000, v7
.LBB547_10:                             ;   in Loop: Header=BB547_7 Depth=1
	s_or_b32 exec_lo, exec_lo, s11
.LBB547_11:                             ;   in Loop: Header=BB547_7 Depth=1
	s_or_b32 exec_lo, exec_lo, s9
	v_add_nc_u32_e32 v2, s4, v24
	ds_write_b128 v28, v[4:7]
	v_cmp_le_u64_e32 vcc_lo, s[12:13], v[2:3]
	s_or_b32 s9, vcc_lo, s1
	s_and_saveexec_b32 s11, s9
	s_xor_b32 s9, exec_lo, s11
	s_cbranch_execz .LBB547_13
; %bb.12:                               ;   in Loop: Header=BB547_7 Depth=1
	v_mov_b32_e32 v2, v3
	v_mov_b32_e32 v4, v3
	;; [unrolled: 1-line block ×3, first 2 shown]
	ds_write_b128 v29, v[2:5]
.LBB547_13:                             ;   in Loop: Header=BB547_7 Depth=1
	s_andn2_saveexec_b32 s9, s9
	s_cbranch_execz .LBB547_6
; %bb.14:                               ;   in Loop: Header=BB547_7 Depth=1
	v_mad_u64_u32 v[4:5], null, s24, v2, 0
	v_mad_u64_u32 v[5:6], null, s25, v2, v[5:6]
	v_lshlrev_b64 v[4:5], 4, v[4:5]
	v_add_co_u32 v4, vcc_lo, v30, v4
	v_add_co_ci_u32_e64 v5, null, v31, v5, vcc_lo
	flat_load_dwordx4 v[4:7], v[4:5]
	s_waitcnt vmcnt(0) lgkmcnt(0)
	ds_write2_b64 v29, v[4:5], v[6:7] offset1:1
	s_branch .LBB547_6
.LBB547_15:
	v_add_nc_u32_e32 v25, s7, v1
	v_cmp_neq_f64_e64 s4, s[28:29], 0
	s_lshl_b64 s[0:1], s[42:43], 4
	s_waitcnt lgkmcnt(0)
	s_add_u32 s2, s2, s0
	v_ashrrev_i32_e32 v3, 31, v25
	v_mul_lo_u32 v4, s41, v25
	v_mad_u64_u32 v[1:2], null, s40, v25, 0
	s_addc_u32 s3, s3, s1
	v_mul_lo_u32 v3, s40, v3
	s_xor_b32 s5, s10, -1
	v_cmp_gt_i32_e64 s0, s8, v25
	v_add3_u32 v2, v2, v3, v4
	v_add_nc_u32_e32 v4, s6, v0
	s_or_b32 s4, s4, s5
	v_lshlrev_b64 v[0:1], 4, v[1:2]
	v_cmp_le_i32_e32 vcc_lo, v4, v25
	v_ashrrev_i32_e32 v5, 31, v4
	v_cndmask_b32_e64 v24, 0, 1, s4
	s_and_b32 s5, s0, vcc_lo
	v_add_co_u32 v26, s1, s2, v0
	v_add_co_ci_u32_e64 v27, null, s3, v1, s1
	s_and_saveexec_b32 s1, s5
	s_cbranch_execz .LBB547_19
; %bb.16:
	v_mul_f64 v[0:1], s[46:47], v[22:23]
	v_mul_f64 v[2:3], s[44:45], v[22:23]
	v_lshlrev_b64 v[6:7], 4, v[4:5]
	v_add_co_u32 v6, vcc_lo, v26, v6
	v_add_co_ci_u32_e64 v7, null, v27, v7, vcc_lo
	s_andn2_b32 vcc_lo, exec_lo, s4
	v_fma_f64 v[0:1], s[44:45], v[20:21], -v[0:1]
	v_fma_f64 v[2:3], s[46:47], v[20:21], v[2:3]
	s_cbranch_vccnz .LBB547_18
; %bb.17:
	flat_load_dwordx4 v[20:23], v[6:7]
	s_waitcnt vmcnt(0) lgkmcnt(0)
	v_mul_f64 v[28:29], s[30:31], v[22:23]
	v_mul_f64 v[22:23], s[28:29], v[22:23]
	v_fma_f64 v[28:29], s[28:29], v[20:21], -v[28:29]
	v_fma_f64 v[20:21], s[30:31], v[20:21], v[22:23]
	v_add_f64 v[0:1], v[0:1], v[28:29]
	v_add_f64 v[2:3], v[2:3], v[20:21]
.LBB547_18:
	flat_store_dwordx4 v[6:7], v[0:3]
.LBB547_19:
	s_or_b32 exec_lo, exec_lo, s1
	v_add_nc_u32_e32 v6, 16, v4
	v_cmp_le_i32_e32 vcc_lo, v6, v25
	v_ashrrev_i32_e32 v7, 31, v6
	s_and_b32 s0, s0, vcc_lo
	s_and_saveexec_b32 s1, s0
	s_cbranch_execz .LBB547_23
; %bb.20:
	v_mul_f64 v[0:1], s[46:47], v[16:17]
	v_mul_f64 v[2:3], s[44:45], v[16:17]
	v_lshlrev_b64 v[16:17], 4, v[6:7]
	v_cmp_ne_u32_e32 vcc_lo, 1, v24
	s_and_b32 vcc_lo, exec_lo, vcc_lo
	v_add_co_u32 v16, s0, v26, v16
	v_add_co_ci_u32_e64 v17, null, v27, v17, s0
	v_fma_f64 v[0:1], s[44:45], v[18:19], -v[0:1]
	v_fma_f64 v[2:3], s[46:47], v[18:19], v[2:3]
	s_cbranch_vccnz .LBB547_22
; %bb.21:
	flat_load_dwordx4 v[18:21], v[16:17]
	s_waitcnt vmcnt(0) lgkmcnt(0)
	v_mul_f64 v[22:23], s[30:31], v[20:21]
	v_mul_f64 v[20:21], s[28:29], v[20:21]
	v_fma_f64 v[22:23], s[28:29], v[18:19], -v[22:23]
	v_fma_f64 v[18:19], s[30:31], v[18:19], v[20:21]
	v_add_f64 v[0:1], v[0:1], v[22:23]
	v_add_f64 v[2:3], v[2:3], v[18:19]
.LBB547_22:
	flat_store_dwordx4 v[16:17], v[0:3]
.LBB547_23:
	s_or_b32 exec_lo, exec_lo, s1
	v_add_nc_u32_e32 v18, 16, v25
	v_ashrrev_i32_e32 v2, 31, v18
	v_mul_lo_u32 v3, s41, v18
	v_mad_u64_u32 v[0:1], null, s40, v18, 0
	v_cmp_gt_i32_e64 s0, s8, v18
	v_mul_lo_u32 v2, s40, v2
	v_cmp_le_i32_e32 vcc_lo, v4, v18
	v_add3_u32 v1, v1, v2, v3
	v_lshlrev_b64 v[0:1], 4, v[0:1]
	v_add_co_u32 v16, s1, s2, v0
	v_add_co_ci_u32_e64 v17, null, s3, v1, s1
	s_and_b32 s1, s0, vcc_lo
	s_and_saveexec_b32 s2, s1
	s_cbranch_execz .LBB547_27
; %bb.24:
	v_mul_f64 v[0:1], s[46:47], v[12:13]
	v_mul_f64 v[2:3], s[44:45], v[12:13]
	v_lshlrev_b64 v[4:5], 4, v[4:5]
	v_cmp_ne_u32_e32 vcc_lo, 1, v24
	s_and_b32 vcc_lo, exec_lo, vcc_lo
	v_add_co_u32 v4, s1, v16, v4
	v_add_co_ci_u32_e64 v5, null, v17, v5, s1
	v_fma_f64 v[0:1], s[44:45], v[14:15], -v[0:1]
	v_fma_f64 v[2:3], s[46:47], v[14:15], v[2:3]
	s_cbranch_vccnz .LBB547_26
; %bb.25:
	flat_load_dwordx4 v[12:15], v[4:5]
	s_waitcnt vmcnt(0) lgkmcnt(0)
	v_mul_f64 v[19:20], s[30:31], v[14:15]
	v_mul_f64 v[14:15], s[28:29], v[14:15]
	v_fma_f64 v[19:20], s[28:29], v[12:13], -v[19:20]
	v_fma_f64 v[12:13], s[30:31], v[12:13], v[14:15]
	v_add_f64 v[0:1], v[0:1], v[19:20]
	v_add_f64 v[2:3], v[2:3], v[12:13]
.LBB547_26:
	flat_store_dwordx4 v[4:5], v[0:3]
.LBB547_27:
	s_or_b32 exec_lo, exec_lo, s2
	v_cmp_le_i32_e32 vcc_lo, v6, v18
	s_and_b32 s0, s0, vcc_lo
	s_and_saveexec_b32 s1, s0
	s_cbranch_execz .LBB547_32
; %bb.28:
	v_mul_f64 v[0:1], s[46:47], v[8:9]
	v_mul_f64 v[2:3], s[44:45], v[8:9]
	v_lshlrev_b64 v[4:5], 4, v[6:7]
	v_cmp_ne_u32_e32 vcc_lo, 1, v24
	s_and_b32 vcc_lo, exec_lo, vcc_lo
	v_add_co_u32 v4, s0, v16, v4
	v_add_co_ci_u32_e64 v5, null, v17, v5, s0
	v_fma_f64 v[0:1], s[44:45], v[10:11], -v[0:1]
	v_fma_f64 v[2:3], s[46:47], v[10:11], v[2:3]
	s_cbranch_vccnz .LBB547_30
; %bb.29:
	flat_load_dwordx4 v[6:9], v[4:5]
	s_waitcnt vmcnt(0) lgkmcnt(0)
	v_mul_f64 v[10:11], s[30:31], v[8:9]
	v_mul_f64 v[8:9], s[28:29], v[8:9]
	v_fma_f64 v[10:11], s[28:29], v[6:7], -v[10:11]
	v_fma_f64 v[6:7], s[30:31], v[6:7], v[8:9]
	v_add_f64 v[0:1], v[0:1], v[10:11]
	v_add_f64 v[2:3], v[2:3], v[6:7]
.LBB547_30:
	flat_store_dwordx4 v[4:5], v[0:3]
	s_endpgm
.LBB547_31:
.LBB547_32:
	s_endpgm
	.section	.rodata,"a",@progbits
	.p2align	6, 0x0
	.amdhsa_kernel _ZL29rocblas_internal_gemmt_kernelIlLi16ELi32ELi8ELc67ELc84ELc85ELb1ELb0E19rocblas_complex_numIdEPKS1_PKS3_PKPS1_EviT_T9_T10_S9_lSB_S9_lSA_T11_S9_li
		.amdhsa_group_segment_fixed_size 8192
		.amdhsa_private_segment_fixed_size 0
		.amdhsa_kernarg_size 108
		.amdhsa_user_sgpr_count 6
		.amdhsa_user_sgpr_private_segment_buffer 1
		.amdhsa_user_sgpr_dispatch_ptr 0
		.amdhsa_user_sgpr_queue_ptr 0
		.amdhsa_user_sgpr_kernarg_segment_ptr 1
		.amdhsa_user_sgpr_dispatch_id 0
		.amdhsa_user_sgpr_flat_scratch_init 0
		.amdhsa_user_sgpr_private_segment_size 0
		.amdhsa_wavefront_size32 1
		.amdhsa_uses_dynamic_stack 0
		.amdhsa_system_sgpr_private_segment_wavefront_offset 0
		.amdhsa_system_sgpr_workgroup_id_x 1
		.amdhsa_system_sgpr_workgroup_id_y 1
		.amdhsa_system_sgpr_workgroup_id_z 1
		.amdhsa_system_sgpr_workgroup_info 0
		.amdhsa_system_vgpr_workitem_id 1
		.amdhsa_next_free_vgpr 126
		.amdhsa_next_free_sgpr 48
		.amdhsa_reserve_vcc 1
		.amdhsa_reserve_flat_scratch 0
		.amdhsa_float_round_mode_32 0
		.amdhsa_float_round_mode_16_64 0
		.amdhsa_float_denorm_mode_32 3
		.amdhsa_float_denorm_mode_16_64 3
		.amdhsa_dx10_clamp 1
		.amdhsa_ieee_mode 1
		.amdhsa_fp16_overflow 0
		.amdhsa_workgroup_processor_mode 1
		.amdhsa_memory_ordered 1
		.amdhsa_forward_progress 1
		.amdhsa_shared_vgpr_count 0
		.amdhsa_exception_fp_ieee_invalid_op 0
		.amdhsa_exception_fp_denorm_src 0
		.amdhsa_exception_fp_ieee_div_zero 0
		.amdhsa_exception_fp_ieee_overflow 0
		.amdhsa_exception_fp_ieee_underflow 0
		.amdhsa_exception_fp_ieee_inexact 0
		.amdhsa_exception_int_div_zero 0
	.end_amdhsa_kernel
	.section	.text._ZL29rocblas_internal_gemmt_kernelIlLi16ELi32ELi8ELc67ELc84ELc85ELb1ELb0E19rocblas_complex_numIdEPKS1_PKS3_PKPS1_EviT_T9_T10_S9_lSB_S9_lSA_T11_S9_li,"axG",@progbits,_ZL29rocblas_internal_gemmt_kernelIlLi16ELi32ELi8ELc67ELc84ELc85ELb1ELb0E19rocblas_complex_numIdEPKS1_PKS3_PKPS1_EviT_T9_T10_S9_lSB_S9_lSA_T11_S9_li,comdat
.Lfunc_end547:
	.size	_ZL29rocblas_internal_gemmt_kernelIlLi16ELi32ELi8ELc67ELc84ELc85ELb1ELb0E19rocblas_complex_numIdEPKS1_PKS3_PKPS1_EviT_T9_T10_S9_lSB_S9_lSA_T11_S9_li, .Lfunc_end547-_ZL29rocblas_internal_gemmt_kernelIlLi16ELi32ELi8ELc67ELc84ELc85ELb1ELb0E19rocblas_complex_numIdEPKS1_PKS3_PKPS1_EviT_T9_T10_S9_lSB_S9_lSA_T11_S9_li
                                        ; -- End function
	.set _ZL29rocblas_internal_gemmt_kernelIlLi16ELi32ELi8ELc67ELc84ELc85ELb1ELb0E19rocblas_complex_numIdEPKS1_PKS3_PKPS1_EviT_T9_T10_S9_lSB_S9_lSA_T11_S9_li.num_vgpr, 126
	.set _ZL29rocblas_internal_gemmt_kernelIlLi16ELi32ELi8ELc67ELc84ELc85ELb1ELb0E19rocblas_complex_numIdEPKS1_PKS3_PKPS1_EviT_T9_T10_S9_lSB_S9_lSA_T11_S9_li.num_agpr, 0
	.set _ZL29rocblas_internal_gemmt_kernelIlLi16ELi32ELi8ELc67ELc84ELc85ELb1ELb0E19rocblas_complex_numIdEPKS1_PKS3_PKPS1_EviT_T9_T10_S9_lSB_S9_lSA_T11_S9_li.numbered_sgpr, 48
	.set _ZL29rocblas_internal_gemmt_kernelIlLi16ELi32ELi8ELc67ELc84ELc85ELb1ELb0E19rocblas_complex_numIdEPKS1_PKS3_PKPS1_EviT_T9_T10_S9_lSB_S9_lSA_T11_S9_li.num_named_barrier, 0
	.set _ZL29rocblas_internal_gemmt_kernelIlLi16ELi32ELi8ELc67ELc84ELc85ELb1ELb0E19rocblas_complex_numIdEPKS1_PKS3_PKPS1_EviT_T9_T10_S9_lSB_S9_lSA_T11_S9_li.private_seg_size, 0
	.set _ZL29rocblas_internal_gemmt_kernelIlLi16ELi32ELi8ELc67ELc84ELc85ELb1ELb0E19rocblas_complex_numIdEPKS1_PKS3_PKPS1_EviT_T9_T10_S9_lSB_S9_lSA_T11_S9_li.uses_vcc, 1
	.set _ZL29rocblas_internal_gemmt_kernelIlLi16ELi32ELi8ELc67ELc84ELc85ELb1ELb0E19rocblas_complex_numIdEPKS1_PKS3_PKPS1_EviT_T9_T10_S9_lSB_S9_lSA_T11_S9_li.uses_flat_scratch, 0
	.set _ZL29rocblas_internal_gemmt_kernelIlLi16ELi32ELi8ELc67ELc84ELc85ELb1ELb0E19rocblas_complex_numIdEPKS1_PKS3_PKPS1_EviT_T9_T10_S9_lSB_S9_lSA_T11_S9_li.has_dyn_sized_stack, 0
	.set _ZL29rocblas_internal_gemmt_kernelIlLi16ELi32ELi8ELc67ELc84ELc85ELb1ELb0E19rocblas_complex_numIdEPKS1_PKS3_PKPS1_EviT_T9_T10_S9_lSB_S9_lSA_T11_S9_li.has_recursion, 0
	.set _ZL29rocblas_internal_gemmt_kernelIlLi16ELi32ELi8ELc67ELc84ELc85ELb1ELb0E19rocblas_complex_numIdEPKS1_PKS3_PKPS1_EviT_T9_T10_S9_lSB_S9_lSA_T11_S9_li.has_indirect_call, 0
	.section	.AMDGPU.csdata,"",@progbits
; Kernel info:
; codeLenInByte = 3560
; TotalNumSgprs: 50
; NumVgprs: 126
; ScratchSize: 0
; MemoryBound: 1
; FloatMode: 240
; IeeeMode: 1
; LDSByteSize: 8192 bytes/workgroup (compile time only)
; SGPRBlocks: 0
; VGPRBlocks: 15
; NumSGPRsForWavesPerEU: 50
; NumVGPRsForWavesPerEU: 126
; Occupancy: 8
; WaveLimiterHint : 1
; COMPUTE_PGM_RSRC2:SCRATCH_EN: 0
; COMPUTE_PGM_RSRC2:USER_SGPR: 6
; COMPUTE_PGM_RSRC2:TRAP_HANDLER: 0
; COMPUTE_PGM_RSRC2:TGID_X_EN: 1
; COMPUTE_PGM_RSRC2:TGID_Y_EN: 1
; COMPUTE_PGM_RSRC2:TGID_Z_EN: 1
; COMPUTE_PGM_RSRC2:TIDIG_COMP_CNT: 1
	.section	.text._ZL29rocblas_internal_gemmt_kernelIlLi16ELi32ELi8ELc67ELc67ELc85ELb1ELb1E19rocblas_complex_numIdEPKS1_PKS3_PKPS1_EviT_T9_T10_S9_lSB_S9_lSA_T11_S9_li,"axG",@progbits,_ZL29rocblas_internal_gemmt_kernelIlLi16ELi32ELi8ELc67ELc67ELc85ELb1ELb1E19rocblas_complex_numIdEPKS1_PKS3_PKPS1_EviT_T9_T10_S9_lSB_S9_lSA_T11_S9_li,comdat
	.globl	_ZL29rocblas_internal_gemmt_kernelIlLi16ELi32ELi8ELc67ELc67ELc85ELb1ELb1E19rocblas_complex_numIdEPKS1_PKS3_PKPS1_EviT_T9_T10_S9_lSB_S9_lSA_T11_S9_li ; -- Begin function _ZL29rocblas_internal_gemmt_kernelIlLi16ELi32ELi8ELc67ELc67ELc85ELb1ELb1E19rocblas_complex_numIdEPKS1_PKS3_PKPS1_EviT_T9_T10_S9_lSB_S9_lSA_T11_S9_li
	.p2align	8
	.type	_ZL29rocblas_internal_gemmt_kernelIlLi16ELi32ELi8ELc67ELc67ELc85ELb1ELb1E19rocblas_complex_numIdEPKS1_PKS3_PKPS1_EviT_T9_T10_S9_lSB_S9_lSA_T11_S9_li,@function
_ZL29rocblas_internal_gemmt_kernelIlLi16ELi32ELi8ELc67ELc67ELc85ELb1ELb1E19rocblas_complex_numIdEPKS1_PKS3_PKPS1_EviT_T9_T10_S9_lSB_S9_lSA_T11_S9_li: ; @_ZL29rocblas_internal_gemmt_kernelIlLi16ELi32ELi8ELc67ELc67ELc85ELb1ELb1E19rocblas_complex_numIdEPKS1_PKS3_PKPS1_EviT_T9_T10_S9_lSB_S9_lSA_T11_S9_li
; %bb.0:
	s_load_dwordx8 s[36:43], s[4:5], 0x48
	s_waitcnt lgkmcnt(0)
	s_load_dwordx4 s[28:31], s[36:37], 0x0
	s_load_dwordx16 s[12:27], s[4:5], 0x8
	s_waitcnt lgkmcnt(0)
	v_cmp_eq_f64_e64 s0, s[28:29], 1.0
	v_cmp_eq_f64_e64 s10, s[30:31], 0
	s_load_dwordx4 s[44:47], s[14:15], 0x0
	s_and_b32 s0, s0, s10
	s_andn2_b32 vcc_lo, exec_lo, s0
	s_mov_b32 s0, -1
	s_cbranch_vccnz .LBB548_3
; %bb.1:
	s_cmp_lg_u64 s[12:13], 0
	s_cbranch_scc0 .LBB548_29
; %bb.2:
	s_waitcnt lgkmcnt(0)
	v_cmp_neq_f64_e64 s0, s[44:45], 0
	v_cmp_neq_f64_e64 s1, s[46:47], 0
	s_or_b32 s0, s0, s1
.LBB548_3:
	s_and_b32 vcc_lo, exec_lo, s0
	s_cbranch_vccz .LBB548_30
; %bb.4:
	s_waitcnt lgkmcnt(0)
	v_cmp_eq_f64_e64 s11, s[44:45], 0
	v_cmp_eq_f64_e64 s14, s[46:47], 0
	s_mov_b32 s9, 0
	v_mov_b32_e32 v24, 0
	s_lshl_b64 s[0:1], s[8:9], 3
	v_mov_b32_e32 v26, 0
	s_add_u32 s2, s38, s0
	s_addc_u32 s3, s39, s1
	s_load_dword s8, s[4:5], 0x0
	s_load_dwordx2 s[2:3], s[2:3], 0x0
	v_cmp_lt_i64_e64 s4, s[12:13], 1
	v_mov_b32_e32 v20, 0
	v_mov_b32_e32 v22, 0
	;; [unrolled: 1-line block ×13, first 2 shown]
	s_and_b32 s5, s11, s14
	v_mov_b32_e32 v13, 0
	s_or_b32 s4, s5, s4
	s_lshl_b32 s6, s6, 5
	s_and_b32 vcc_lo, exec_lo, s4
	s_lshl_b32 s7, s7, 5
	s_cbranch_vccnz .LBB548_13
; %bb.5:
	s_add_u32 s4, s22, s0
	s_addc_u32 s5, s23, s1
	s_lshl_b64 s[14:15], s[26:27], 4
	s_load_dwordx2 s[4:5], s[4:5], 0x0
	v_lshl_add_u32 v2, v1, 4, v0
	v_and_b32_e32 v28, 7, v0
	v_mov_b32_e32 v12, 0
	v_mov_b32_e32 v14, 0
	;; [unrolled: 1-line block ×3, first 2 shown]
	v_and_b32_e32 v3, 31, v2
	v_lshrrev_b32_e32 v6, 3, v2
	v_lshrrev_b32_e32 v31, 5, v2
	v_lshlrev_b32_e32 v8, 4, v28
	v_mov_b32_e32 v16, 0
	v_or_b32_e32 v7, s6, v3
	v_add_nc_u32_e32 v2, s7, v6
	v_lshlrev_b32_e32 v9, 4, v3
	v_lshl_or_b32 v8, v6, 7, v8
	v_mov_b32_e32 v22, 0
	v_mul_lo_u32 v10, s19, v7
	v_mad_u64_u32 v[4:5], null, s18, v7, 0
	v_ashrrev_i32_e32 v3, 31, v2
	s_waitcnt lgkmcnt(0)
	s_add_u32 s9, s4, s14
	s_addc_u32 s11, s5, s15
	s_add_u32 s0, s16, s0
	s_addc_u32 s1, s17, s1
	s_lshl_b64 s[4:5], s[20:21], 4
	s_load_dwordx2 s[0:1], s[0:1], 0x0
	v_mov_b32_e32 v20, 0
	v_mov_b32_e32 v26, 0
	;; [unrolled: 1-line block ×3, first 2 shown]
	v_lshlrev_b32_e32 v29, 4, v0
	v_lshl_add_u32 v30, v1, 7, 0x1000
	v_mov_b32_e32 v13, 0
	v_mov_b32_e32 v15, 0
	;; [unrolled: 1-line block ×8, first 2 shown]
	v_lshl_or_b32 v32, v31, 9, v9
	v_add_nc_u32_e32 v33, 0x1000, v8
	v_mov_b32_e32 v11, 0
	s_waitcnt lgkmcnt(0)
	s_add_u32 s4, s0, s4
	s_addc_u32 s5, s1, s5
	s_ashr_i32 s0, s6, 31
	s_mul_i32 s1, s18, s0
	v_cmp_gt_i32_e64 s0, s8, v7
	v_add3_u32 v5, v5, s1, v10
	v_lshlrev_b64 v[6:7], 4, v[2:3]
	v_cmp_gt_i32_e64 s1, s8, v2
	v_lshlrev_b64 v[2:3], 4, v[4:5]
	v_add_co_u32 v34, vcc_lo, s9, v6
	v_add_co_ci_u32_e64 v35, null, s11, v7, vcc_lo
	v_add_co_u32 v36, vcc_lo, s4, v2
	v_add_co_ci_u32_e64 v37, null, s5, v3, vcc_lo
	s_mov_b64 s[4:5], 0
	s_branch .LBB548_7
.LBB548_6:                              ;   in Loop: Header=BB548_7 Depth=1
	s_or_b32 exec_lo, exec_lo, s9
	ds_write_b128 v33, v[6:9]
	s_waitcnt lgkmcnt(0)
	s_barrier
	buffer_gl0_inv
	ds_read_b128 v[2:5], v30
	ds_read_b128 v[6:9], v29
	ds_read_b128 v[38:41], v29 offset:256
	ds_read_b128 v[42:45], v30 offset:2048
	;; [unrolled: 1-line block ×11, first 2 shown]
	s_add_u32 s4, s4, 8
	s_addc_u32 s5, s5, 0
	v_cmp_gt_i64_e64 s9, s[12:13], s[4:5]
	s_waitcnt lgkmcnt(11)
	v_mul_f64 v[82:83], v[4:5], v[8:9]
	v_mul_f64 v[84:85], v[2:3], v[8:9]
	s_waitcnt lgkmcnt(10)
	v_mul_f64 v[86:87], v[4:5], v[40:41]
	v_mul_f64 v[88:89], v[2:3], v[40:41]
	;; [unrolled: 3-line block ×3, first 2 shown]
	v_mul_f64 v[92:93], v[44:45], v[40:41]
	v_mul_f64 v[40:41], v[42:43], v[40:41]
	s_waitcnt lgkmcnt(7)
	v_mul_f64 v[94:95], v[48:49], v[52:53]
	v_mul_f64 v[96:97], v[46:47], v[52:53]
	s_waitcnt lgkmcnt(6)
	v_mul_f64 v[98:99], v[48:49], v[56:57]
	s_waitcnt lgkmcnt(5)
	v_mul_f64 v[102:103], v[60:61], v[52:53]
	v_mul_f64 v[52:53], v[58:59], v[52:53]
	;; [unrolled: 1-line block ×5, first 2 shown]
	s_waitcnt lgkmcnt(3)
	v_mul_f64 v[106:107], v[68:69], v[64:65]
	v_mul_f64 v[108:109], v[66:67], v[64:65]
	s_and_b32 vcc_lo, exec_lo, s9
	v_fma_f64 v[82:83], v[2:3], v[6:7], -v[82:83]
	v_fma_f64 v[84:85], v[4:5], v[6:7], v[84:85]
	v_fma_f64 v[86:87], v[2:3], v[38:39], -v[86:87]
	v_fma_f64 v[88:89], v[4:5], v[38:39], v[88:89]
	;; [unrolled: 2-line block ×3, first 2 shown]
	v_fma_f64 v[92:93], v[42:43], v[38:39], -v[92:93]
	ds_read_b128 v[2:5], v29 offset:1536
	s_waitcnt lgkmcnt(3)
	v_mul_f64 v[110:111], v[68:69], v[72:73]
	v_mul_f64 v[112:113], v[66:67], v[72:73]
	v_fma_f64 v[116:117], v[44:45], v[38:39], v[40:41]
	v_fma_f64 v[94:95], v[46:47], v[50:51], -v[94:95]
	v_fma_f64 v[96:97], v[48:49], v[50:51], v[96:97]
	v_fma_f64 v[46:47], v[46:47], v[54:55], -v[98:99]
	s_waitcnt lgkmcnt(2)
	v_mul_f64 v[42:43], v[76:77], v[64:65]
	v_fma_f64 v[98:99], v[58:59], v[50:51], -v[102:103]
	v_fma_f64 v[50:51], v[60:61], v[50:51], v[52:53]
	v_mul_f64 v[44:45], v[74:75], v[64:65]
	v_mul_f64 v[52:53], v[76:77], v[72:73]
	v_mul_f64 v[64:65], v[74:75], v[72:73]
	v_fma_f64 v[48:49], v[48:49], v[54:55], v[100:101]
	v_fma_f64 v[58:59], v[58:59], v[54:55], -v[104:105]
	v_fma_f64 v[54:55], v[60:61], v[54:55], v[56:57]
	v_fma_f64 v[56:57], v[66:67], v[62:63], -v[106:107]
	v_fma_f64 v[60:61], v[68:69], v[62:63], v[108:109]
	v_add_f64 v[82:83], v[24:25], v[82:83]
	v_add_f64 v[84:85], v[84:85], v[26:27]
	;; [unrolled: 1-line block ×5, first 2 shown]
	v_fma_f64 v[66:67], v[66:67], v[70:71], -v[110:111]
	v_fma_f64 v[68:69], v[68:69], v[70:71], v[112:113]
	v_add_f64 v[104:105], v[114:115], v[18:19]
	ds_read_b128 v[6:9], v29 offset:1792
	ds_read_b128 v[38:41], v30 offset:2096
	s_waitcnt lgkmcnt(2)
	v_mul_f64 v[72:73], v[80:81], v[4:5]
	v_mul_f64 v[100:101], v[78:79], v[4:5]
	v_fma_f64 v[108:109], v[74:75], v[62:63], -v[42:43]
	ds_read_b128 v[16:19], v30 offset:64
	v_fma_f64 v[62:63], v[76:77], v[62:63], v[44:45]
	v_fma_f64 v[74:75], v[74:75], v[70:71], -v[52:53]
	v_fma_f64 v[64:65], v[76:77], v[70:71], v[64:65]
	v_add_f64 v[52:53], v[14:15], v[92:93]
	v_add_f64 v[70:71], v[116:117], v[12:13]
	ds_read_b128 v[20:23], v29 offset:2048
	ds_read_b128 v[24:27], v29 offset:2304
	ds_read_b128 v[42:45], v30 offset:2112
	ds_read_b128 v[12:15], v29 offset:2560
	v_add_f64 v[82:83], v[82:83], v[94:95]
	v_add_f64 v[84:85], v[96:97], v[84:85]
	v_add_f64 v[86:87], v[86:87], v[46:47]
	v_add_f64 v[88:89], v[48:49], v[88:89]
	v_add_f64 v[90:91], v[90:91], v[98:99]
	s_waitcnt lgkmcnt(6)
	v_mul_f64 v[102:103], v[80:81], v[8:9]
	v_mul_f64 v[106:107], v[78:79], v[8:9]
	s_waitcnt lgkmcnt(5)
	v_mul_f64 v[110:111], v[40:41], v[4:5]
	v_mul_f64 v[4:5], v[38:39], v[4:5]
	v_add_f64 v[50:51], v[50:51], v[104:105]
	v_mul_f64 v[92:93], v[40:41], v[8:9]
	v_mul_f64 v[8:9], v[38:39], v[8:9]
	v_fma_f64 v[72:73], v[78:79], v[2:3], -v[72:73]
	v_fma_f64 v[76:77], v[80:81], v[2:3], v[100:101]
	ds_read_b128 v[46:49], v30 offset:2128
	s_waitcnt lgkmcnt(4)
	v_mul_f64 v[98:99], v[18:19], v[22:23]
	v_mul_f64 v[100:101], v[16:17], v[22:23]
	v_add_f64 v[58:59], v[52:53], v[58:59]
	v_add_f64 v[54:55], v[54:55], v[70:71]
	s_waitcnt lgkmcnt(3)
	v_mul_f64 v[104:105], v[16:17], v[26:27]
	s_waitcnt lgkmcnt(2)
	v_mul_f64 v[70:71], v[44:45], v[22:23]
	v_mul_f64 v[22:23], v[42:43], v[22:23]
	v_add_f64 v[56:57], v[82:83], v[56:57]
	v_add_f64 v[60:61], v[60:61], v[84:85]
	;; [unrolled: 1-line block ×5, first 2 shown]
	v_fma_f64 v[78:79], v[78:79], v[6:7], -v[102:103]
	v_fma_f64 v[80:81], v[80:81], v[6:7], v[106:107]
	v_fma_f64 v[94:95], v[38:39], v[2:3], -v[110:111]
	v_fma_f64 v[96:97], v[40:41], v[2:3], v[4:5]
	v_mul_f64 v[102:103], v[18:19], v[26:27]
	v_add_f64 v[62:63], v[62:63], v[50:51]
	v_mul_f64 v[84:85], v[44:45], v[26:27]
	v_mul_f64 v[26:27], v[42:43], v[26:27]
	v_fma_f64 v[38:39], v[38:39], v[6:7], -v[92:93]
	v_fma_f64 v[40:41], v[40:41], v[6:7], v[8:9]
	ds_read_b128 v[2:5], v30 offset:80
	ds_read_b128 v[50:53], v29 offset:2816
	v_add_f64 v[58:59], v[58:59], v[74:75]
	v_add_f64 v[54:55], v[64:65], v[54:55]
	v_fma_f64 v[88:89], v[16:17], v[20:21], -v[98:99]
	v_fma_f64 v[90:91], v[18:19], v[20:21], v[100:101]
	v_fma_f64 v[98:99], v[18:19], v[24:25], v[104:105]
	v_fma_f64 v[64:65], v[42:43], v[20:21], -v[70:71]
	v_add_f64 v[56:57], v[56:57], v[72:73]
	v_add_f64 v[60:61], v[76:77], v[60:61]
	v_fma_f64 v[70:71], v[44:45], v[20:21], v[22:23]
	v_add_f64 v[66:67], v[66:67], v[78:79]
	v_add_f64 v[68:69], v[80:81], v[68:69]
	;; [unrolled: 1-line block ×3, first 2 shown]
	s_waitcnt lgkmcnt(2)
	v_mul_f64 v[80:81], v[48:49], v[14:15]
	v_fma_f64 v[92:93], v[16:17], v[24:25], -v[102:103]
	v_add_f64 v[62:63], v[96:97], v[62:63]
	v_fma_f64 v[42:43], v[42:43], v[24:25], -v[84:85]
	v_fma_f64 v[44:45], v[44:45], v[24:25], v[26:27]
	s_waitcnt lgkmcnt(1)
	v_mul_f64 v[86:87], v[4:5], v[14:15]
	v_mul_f64 v[74:75], v[2:3], v[14:15]
	s_waitcnt lgkmcnt(0)
	v_mul_f64 v[76:77], v[4:5], v[52:53]
	v_mul_f64 v[78:79], v[2:3], v[52:53]
	;; [unrolled: 1-line block ×5, first 2 shown]
	v_add_f64 v[38:39], v[58:59], v[38:39]
	v_add_f64 v[40:41], v[40:41], v[54:55]
	ds_read_b128 v[6:9], v30 offset:96
	ds_read_b128 v[16:19], v29 offset:3072
	;; [unrolled: 1-line block ×4, first 2 shown]
	v_add_f64 v[54:55], v[56:57], v[88:89]
	v_add_f64 v[56:57], v[90:91], v[60:61]
	;; [unrolled: 1-line block ×3, first 2 shown]
	v_fma_f64 v[80:81], v[46:47], v[12:13], -v[80:81]
	v_add_f64 v[60:61], v[66:67], v[92:93]
	v_add_f64 v[66:67], v[98:99], v[68:69]
	;; [unrolled: 1-line block ×3, first 2 shown]
	v_fma_f64 v[58:59], v[2:3], v[12:13], -v[86:87]
	v_fma_f64 v[68:69], v[4:5], v[12:13], v[74:75]
	v_fma_f64 v[70:71], v[2:3], v[50:51], -v[76:77]
	v_fma_f64 v[72:73], v[4:5], v[50:51], v[78:79]
	ds_read_b128 v[2:5], v30 offset:112
	v_fma_f64 v[86:87], v[48:49], v[12:13], v[14:15]
	s_waitcnt lgkmcnt(3)
	v_mul_f64 v[74:75], v[8:9], v[18:19]
	v_mul_f64 v[76:77], v[6:7], v[18:19]
	s_waitcnt lgkmcnt(2)
	v_mul_f64 v[78:79], v[8:9], v[22:23]
	v_mul_f64 v[84:85], v[6:7], v[22:23]
	v_fma_f64 v[46:47], v[46:47], v[50:51], -v[82:83]
	v_fma_f64 v[48:49], v[48:49], v[50:51], v[52:53]
	v_add_f64 v[50:51], v[38:39], v[42:43]
	v_add_f64 v[52:53], v[44:45], v[40:41]
	s_waitcnt lgkmcnt(1)
	v_mul_f64 v[82:83], v[26:27], v[18:19]
	v_mul_f64 v[18:19], v[24:25], v[18:19]
	;; [unrolled: 1-line block ×4, first 2 shown]
	ds_read_b128 v[12:15], v30 offset:2160
	ds_read_b128 v[38:41], v29 offset:3584
	;; [unrolled: 1-line block ×3, first 2 shown]
	v_add_f64 v[64:65], v[64:65], v[80:81]
	s_waitcnt lgkmcnt(0)
	v_add_f64 v[54:55], v[54:55], v[58:59]
	v_add_f64 v[56:57], v[68:69], v[56:57]
	;; [unrolled: 1-line block ×4, first 2 shown]
	s_barrier
	v_add_f64 v[62:63], v[86:87], v[62:63]
	v_fma_f64 v[58:59], v[6:7], v[16:17], -v[74:75]
	v_fma_f64 v[68:69], v[8:9], v[16:17], v[76:77]
	v_fma_f64 v[6:7], v[6:7], v[20:21], -v[78:79]
	v_fma_f64 v[8:9], v[8:9], v[20:21], v[84:85]
	buffer_gl0_inv
	v_add_f64 v[46:47], v[50:51], v[46:47]
	v_add_f64 v[48:49], v[48:49], v[52:53]
	v_fma_f64 v[50:51], v[24:25], v[16:17], -v[82:83]
	v_fma_f64 v[16:17], v[26:27], v[16:17], v[18:19]
	v_fma_f64 v[18:19], v[24:25], v[20:21], -v[88:89]
	v_fma_f64 v[20:21], v[26:27], v[20:21], v[22:23]
	v_mul_f64 v[22:23], v[4:5], v[40:41]
	v_mul_f64 v[24:25], v[2:3], v[40:41]
	;; [unrolled: 1-line block ×8, first 2 shown]
	v_add_f64 v[54:55], v[54:55], v[58:59]
	v_add_f64 v[56:57], v[68:69], v[56:57]
	v_add_f64 v[6:7], v[60:61], v[6:7]
	v_add_f64 v[8:9], v[8:9], v[66:67]
	v_add_f64 v[50:51], v[64:65], v[50:51]
	v_add_f64 v[58:59], v[16:17], v[62:63]
	v_add_f64 v[46:47], v[46:47], v[18:19]
	v_add_f64 v[48:49], v[20:21], v[48:49]
	v_fma_f64 v[16:17], v[2:3], v[38:39], -v[22:23]
	v_fma_f64 v[18:19], v[4:5], v[38:39], v[24:25]
	v_fma_f64 v[2:3], v[2:3], v[42:43], -v[26:27]
	v_fma_f64 v[4:5], v[4:5], v[42:43], v[52:53]
	v_fma_f64 v[52:53], v[12:13], v[38:39], -v[70:71]
	v_fma_f64 v[38:39], v[14:15], v[38:39], v[40:41]
	v_fma_f64 v[12:13], v[12:13], v[42:43], -v[72:73]
	v_fma_f64 v[40:41], v[14:15], v[42:43], v[44:45]
	v_add_f64 v[24:25], v[54:55], v[16:17]
	v_add_f64 v[26:27], v[18:19], v[56:57]
	;; [unrolled: 1-line block ×8, first 2 shown]
	s_cbranch_vccz .LBB548_13
.LBB548_7:                              ; =>This Inner Loop Header: Depth=1
	v_mov_b32_e32 v2, 0
	v_mov_b32_e32 v4, 0
	;; [unrolled: 1-line block ×4, first 2 shown]
	s_and_saveexec_b32 s9, s0
	s_cbranch_execz .LBB548_11
; %bb.8:                                ;   in Loop: Header=BB548_7 Depth=1
	v_mov_b32_e32 v4, 0
	v_mov_b32_e32 v2, 0
	v_add_nc_u32_e32 v10, s4, v31
	v_mov_b32_e32 v5, 0
	v_mov_b32_e32 v3, 0
	s_mov_b32 s11, exec_lo
	v_cmpx_gt_u64_e64 s[12:13], v[10:11]
	s_cbranch_execz .LBB548_10
; %bb.9:                                ;   in Loop: Header=BB548_7 Depth=1
	v_lshlrev_b64 v[2:3], 4, v[10:11]
	v_add_co_u32 v2, vcc_lo, v36, v2
	v_add_co_ci_u32_e64 v3, null, v37, v3, vcc_lo
	flat_load_dwordx4 v[2:5], v[2:3]
	s_waitcnt vmcnt(0) lgkmcnt(0)
	v_xor_b32_e32 v5, 0x80000000, v5
.LBB548_10:                             ;   in Loop: Header=BB548_7 Depth=1
	s_or_b32 exec_lo, exec_lo, s11
.LBB548_11:                             ;   in Loop: Header=BB548_7 Depth=1
	s_or_b32 exec_lo, exec_lo, s9
	v_add_nc_u32_e32 v10, s4, v28
	v_mov_b32_e32 v6, 0
	v_mov_b32_e32 v8, 0
	;; [unrolled: 1-line block ×4, first 2 shown]
	v_cmp_gt_u64_e32 vcc_lo, s[12:13], v[10:11]
	ds_write_b128 v32, v[2:5]
	s_and_b32 s11, vcc_lo, s1
	s_and_saveexec_b32 s9, s11
	s_cbranch_execz .LBB548_6
; %bb.12:                               ;   in Loop: Header=BB548_7 Depth=1
	v_mad_u64_u32 v[2:3], null, s24, v10, 0
	v_mad_u64_u32 v[3:4], null, s25, v10, v[3:4]
	v_lshlrev_b64 v[2:3], 4, v[2:3]
	v_add_co_u32 v2, vcc_lo, v34, v2
	v_add_co_ci_u32_e64 v3, null, v35, v3, vcc_lo
	flat_load_dwordx4 v[6:9], v[2:3]
	s_waitcnt vmcnt(0) lgkmcnt(0)
	v_xor_b32_e32 v9, 0x80000000, v9
	s_branch .LBB548_6
.LBB548_13:
	v_add_nc_u32_e32 v11, s7, v1
	v_cmp_neq_f64_e64 s4, s[28:29], 0
	s_lshl_b64 s[0:1], s[42:43], 4
	s_waitcnt lgkmcnt(0)
	s_add_u32 s2, s2, s0
	v_ashrrev_i32_e32 v3, 31, v11
	v_mul_lo_u32 v4, s41, v11
	v_mad_u64_u32 v[1:2], null, s40, v11, 0
	s_addc_u32 s3, s3, s1
	v_mul_lo_u32 v3, s40, v3
	s_xor_b32 s5, s10, -1
	v_cmp_gt_i32_e64 s0, s8, v11
	v_add3_u32 v2, v2, v3, v4
	v_add_nc_u32_e32 v4, s6, v0
	s_or_b32 s4, s4, s5
	v_lshlrev_b64 v[0:1], 4, v[1:2]
	v_cmp_le_i32_e32 vcc_lo, v4, v11
	v_ashrrev_i32_e32 v5, 31, v4
	v_cndmask_b32_e64 v10, 0, 1, s4
	s_and_b32 s5, s0, vcc_lo
	v_add_co_u32 v8, s1, s2, v0
	v_add_co_ci_u32_e64 v9, null, s3, v1, s1
	s_and_saveexec_b32 s1, s5
	s_cbranch_execz .LBB548_17
; %bb.14:
	v_mul_f64 v[0:1], s[46:47], v[26:27]
	v_mul_f64 v[2:3], s[44:45], v[26:27]
	v_lshlrev_b64 v[6:7], 4, v[4:5]
	v_add_co_u32 v6, vcc_lo, v8, v6
	v_add_co_ci_u32_e64 v7, null, v9, v7, vcc_lo
	s_andn2_b32 vcc_lo, exec_lo, s4
	v_fma_f64 v[0:1], s[44:45], v[24:25], -v[0:1]
	v_fma_f64 v[2:3], s[46:47], v[24:25], v[2:3]
	s_cbranch_vccnz .LBB548_16
; %bb.15:
	flat_load_dwordx4 v[24:27], v[6:7]
	s_waitcnt vmcnt(0) lgkmcnt(0)
	v_mul_f64 v[28:29], s[30:31], v[26:27]
	v_mul_f64 v[26:27], s[28:29], v[26:27]
	v_fma_f64 v[28:29], s[28:29], v[24:25], -v[28:29]
	v_fma_f64 v[24:25], s[30:31], v[24:25], v[26:27]
	v_add_f64 v[0:1], v[0:1], v[28:29]
	v_add_f64 v[2:3], v[2:3], v[24:25]
.LBB548_16:
	flat_store_dwordx4 v[6:7], v[0:3]
.LBB548_17:
	s_or_b32 exec_lo, exec_lo, s1
	v_add_nc_u32_e32 v6, 16, v4
	v_cmp_le_i32_e32 vcc_lo, v6, v11
	v_ashrrev_i32_e32 v7, 31, v6
	s_and_b32 s0, s0, vcc_lo
	s_and_saveexec_b32 s1, s0
	s_cbranch_execz .LBB548_21
; %bb.18:
	v_mul_f64 v[0:1], s[46:47], v[22:23]
	v_mul_f64 v[2:3], s[44:45], v[22:23]
	v_cmp_ne_u32_e32 vcc_lo, 1, v10
	s_and_b32 vcc_lo, exec_lo, vcc_lo
	v_fma_f64 v[0:1], s[44:45], v[20:21], -v[0:1]
	v_fma_f64 v[2:3], s[46:47], v[20:21], v[2:3]
	v_lshlrev_b64 v[20:21], 4, v[6:7]
	v_add_co_u32 v8, s0, v8, v20
	v_add_co_ci_u32_e64 v9, null, v9, v21, s0
	s_cbranch_vccnz .LBB548_20
; %bb.19:
	flat_load_dwordx4 v[20:23], v[8:9]
	s_waitcnt vmcnt(0) lgkmcnt(0)
	v_mul_f64 v[24:25], s[30:31], v[22:23]
	v_mul_f64 v[22:23], s[28:29], v[22:23]
	v_fma_f64 v[24:25], s[28:29], v[20:21], -v[24:25]
	v_fma_f64 v[20:21], s[30:31], v[20:21], v[22:23]
	v_add_f64 v[0:1], v[0:1], v[24:25]
	v_add_f64 v[2:3], v[2:3], v[20:21]
.LBB548_20:
	flat_store_dwordx4 v[8:9], v[0:3]
.LBB548_21:
	s_or_b32 exec_lo, exec_lo, s1
	v_add_nc_u32_e32 v11, 16, v11
	v_ashrrev_i32_e32 v2, 31, v11
	v_mul_lo_u32 v3, s41, v11
	v_mad_u64_u32 v[0:1], null, s40, v11, 0
	v_cmp_gt_i32_e64 s0, s8, v11
	v_mul_lo_u32 v2, s40, v2
	v_cmp_le_i32_e32 vcc_lo, v4, v11
	v_add3_u32 v1, v1, v2, v3
	v_lshlrev_b64 v[0:1], 4, v[0:1]
	v_add_co_u32 v8, s1, s2, v0
	v_add_co_ci_u32_e64 v9, null, s3, v1, s1
	s_and_b32 s1, s0, vcc_lo
	s_and_saveexec_b32 s2, s1
	s_cbranch_execz .LBB548_25
; %bb.22:
	v_mul_f64 v[0:1], s[46:47], v[18:19]
	v_mul_f64 v[2:3], s[44:45], v[18:19]
	v_lshlrev_b64 v[4:5], 4, v[4:5]
	v_cmp_ne_u32_e32 vcc_lo, 1, v10
	s_and_b32 vcc_lo, exec_lo, vcc_lo
	v_add_co_u32 v4, s1, v8, v4
	v_add_co_ci_u32_e64 v5, null, v9, v5, s1
	v_fma_f64 v[0:1], s[44:45], v[16:17], -v[0:1]
	v_fma_f64 v[2:3], s[46:47], v[16:17], v[2:3]
	s_cbranch_vccnz .LBB548_24
; %bb.23:
	flat_load_dwordx4 v[16:19], v[4:5]
	s_waitcnt vmcnt(0) lgkmcnt(0)
	v_mul_f64 v[20:21], s[30:31], v[18:19]
	v_mul_f64 v[18:19], s[28:29], v[18:19]
	v_fma_f64 v[20:21], s[28:29], v[16:17], -v[20:21]
	v_fma_f64 v[16:17], s[30:31], v[16:17], v[18:19]
	v_add_f64 v[0:1], v[0:1], v[20:21]
	v_add_f64 v[2:3], v[2:3], v[16:17]
.LBB548_24:
	flat_store_dwordx4 v[4:5], v[0:3]
.LBB548_25:
	s_or_b32 exec_lo, exec_lo, s2
	v_cmp_le_i32_e32 vcc_lo, v6, v11
	s_and_b32 s0, s0, vcc_lo
	s_and_saveexec_b32 s1, s0
	s_cbranch_execz .LBB548_30
; %bb.26:
	v_mul_f64 v[0:1], s[46:47], v[12:13]
	v_mul_f64 v[2:3], s[44:45], v[12:13]
	v_lshlrev_b64 v[4:5], 4, v[6:7]
	v_cmp_ne_u32_e32 vcc_lo, 1, v10
	s_and_b32 vcc_lo, exec_lo, vcc_lo
	v_add_co_u32 v4, s0, v8, v4
	v_add_co_ci_u32_e64 v5, null, v9, v5, s0
	v_fma_f64 v[0:1], s[44:45], v[14:15], -v[0:1]
	v_fma_f64 v[2:3], s[46:47], v[14:15], v[2:3]
	s_cbranch_vccnz .LBB548_28
; %bb.27:
	flat_load_dwordx4 v[6:9], v[4:5]
	s_waitcnt vmcnt(0) lgkmcnt(0)
	v_mul_f64 v[10:11], s[30:31], v[8:9]
	v_mul_f64 v[8:9], s[28:29], v[8:9]
	v_fma_f64 v[10:11], s[28:29], v[6:7], -v[10:11]
	v_fma_f64 v[6:7], s[30:31], v[6:7], v[8:9]
	v_add_f64 v[0:1], v[0:1], v[10:11]
	v_add_f64 v[2:3], v[2:3], v[6:7]
.LBB548_28:
	flat_store_dwordx4 v[4:5], v[0:3]
	s_endpgm
.LBB548_29:
.LBB548_30:
	s_endpgm
	.section	.rodata,"a",@progbits
	.p2align	6, 0x0
	.amdhsa_kernel _ZL29rocblas_internal_gemmt_kernelIlLi16ELi32ELi8ELc67ELc67ELc85ELb1ELb1E19rocblas_complex_numIdEPKS1_PKS3_PKPS1_EviT_T9_T10_S9_lSB_S9_lSA_T11_S9_li
		.amdhsa_group_segment_fixed_size 8192
		.amdhsa_private_segment_fixed_size 0
		.amdhsa_kernarg_size 108
		.amdhsa_user_sgpr_count 6
		.amdhsa_user_sgpr_private_segment_buffer 1
		.amdhsa_user_sgpr_dispatch_ptr 0
		.amdhsa_user_sgpr_queue_ptr 0
		.amdhsa_user_sgpr_kernarg_segment_ptr 1
		.amdhsa_user_sgpr_dispatch_id 0
		.amdhsa_user_sgpr_flat_scratch_init 0
		.amdhsa_user_sgpr_private_segment_size 0
		.amdhsa_wavefront_size32 1
		.amdhsa_uses_dynamic_stack 0
		.amdhsa_system_sgpr_private_segment_wavefront_offset 0
		.amdhsa_system_sgpr_workgroup_id_x 1
		.amdhsa_system_sgpr_workgroup_id_y 1
		.amdhsa_system_sgpr_workgroup_id_z 1
		.amdhsa_system_sgpr_workgroup_info 0
		.amdhsa_system_vgpr_workitem_id 1
		.amdhsa_next_free_vgpr 118
		.amdhsa_next_free_sgpr 48
		.amdhsa_reserve_vcc 1
		.amdhsa_reserve_flat_scratch 0
		.amdhsa_float_round_mode_32 0
		.amdhsa_float_round_mode_16_64 0
		.amdhsa_float_denorm_mode_32 3
		.amdhsa_float_denorm_mode_16_64 3
		.amdhsa_dx10_clamp 1
		.amdhsa_ieee_mode 1
		.amdhsa_fp16_overflow 0
		.amdhsa_workgroup_processor_mode 1
		.amdhsa_memory_ordered 1
		.amdhsa_forward_progress 1
		.amdhsa_shared_vgpr_count 0
		.amdhsa_exception_fp_ieee_invalid_op 0
		.amdhsa_exception_fp_denorm_src 0
		.amdhsa_exception_fp_ieee_div_zero 0
		.amdhsa_exception_fp_ieee_overflow 0
		.amdhsa_exception_fp_ieee_underflow 0
		.amdhsa_exception_fp_ieee_inexact 0
		.amdhsa_exception_int_div_zero 0
	.end_amdhsa_kernel
	.section	.text._ZL29rocblas_internal_gemmt_kernelIlLi16ELi32ELi8ELc67ELc67ELc85ELb1ELb1E19rocblas_complex_numIdEPKS1_PKS3_PKPS1_EviT_T9_T10_S9_lSB_S9_lSA_T11_S9_li,"axG",@progbits,_ZL29rocblas_internal_gemmt_kernelIlLi16ELi32ELi8ELc67ELc67ELc85ELb1ELb1E19rocblas_complex_numIdEPKS1_PKS3_PKPS1_EviT_T9_T10_S9_lSB_S9_lSA_T11_S9_li,comdat
.Lfunc_end548:
	.size	_ZL29rocblas_internal_gemmt_kernelIlLi16ELi32ELi8ELc67ELc67ELc85ELb1ELb1E19rocblas_complex_numIdEPKS1_PKS3_PKPS1_EviT_T9_T10_S9_lSB_S9_lSA_T11_S9_li, .Lfunc_end548-_ZL29rocblas_internal_gemmt_kernelIlLi16ELi32ELi8ELc67ELc67ELc85ELb1ELb1E19rocblas_complex_numIdEPKS1_PKS3_PKPS1_EviT_T9_T10_S9_lSB_S9_lSA_T11_S9_li
                                        ; -- End function
	.set _ZL29rocblas_internal_gemmt_kernelIlLi16ELi32ELi8ELc67ELc67ELc85ELb1ELb1E19rocblas_complex_numIdEPKS1_PKS3_PKPS1_EviT_T9_T10_S9_lSB_S9_lSA_T11_S9_li.num_vgpr, 118
	.set _ZL29rocblas_internal_gemmt_kernelIlLi16ELi32ELi8ELc67ELc67ELc85ELb1ELb1E19rocblas_complex_numIdEPKS1_PKS3_PKPS1_EviT_T9_T10_S9_lSB_S9_lSA_T11_S9_li.num_agpr, 0
	.set _ZL29rocblas_internal_gemmt_kernelIlLi16ELi32ELi8ELc67ELc67ELc85ELb1ELb1E19rocblas_complex_numIdEPKS1_PKS3_PKPS1_EviT_T9_T10_S9_lSB_S9_lSA_T11_S9_li.numbered_sgpr, 48
	.set _ZL29rocblas_internal_gemmt_kernelIlLi16ELi32ELi8ELc67ELc67ELc85ELb1ELb1E19rocblas_complex_numIdEPKS1_PKS3_PKPS1_EviT_T9_T10_S9_lSB_S9_lSA_T11_S9_li.num_named_barrier, 0
	.set _ZL29rocblas_internal_gemmt_kernelIlLi16ELi32ELi8ELc67ELc67ELc85ELb1ELb1E19rocblas_complex_numIdEPKS1_PKS3_PKPS1_EviT_T9_T10_S9_lSB_S9_lSA_T11_S9_li.private_seg_size, 0
	.set _ZL29rocblas_internal_gemmt_kernelIlLi16ELi32ELi8ELc67ELc67ELc85ELb1ELb1E19rocblas_complex_numIdEPKS1_PKS3_PKPS1_EviT_T9_T10_S9_lSB_S9_lSA_T11_S9_li.uses_vcc, 1
	.set _ZL29rocblas_internal_gemmt_kernelIlLi16ELi32ELi8ELc67ELc67ELc85ELb1ELb1E19rocblas_complex_numIdEPKS1_PKS3_PKPS1_EviT_T9_T10_S9_lSB_S9_lSA_T11_S9_li.uses_flat_scratch, 0
	.set _ZL29rocblas_internal_gemmt_kernelIlLi16ELi32ELi8ELc67ELc67ELc85ELb1ELb1E19rocblas_complex_numIdEPKS1_PKS3_PKPS1_EviT_T9_T10_S9_lSB_S9_lSA_T11_S9_li.has_dyn_sized_stack, 0
	.set _ZL29rocblas_internal_gemmt_kernelIlLi16ELi32ELi8ELc67ELc67ELc85ELb1ELb1E19rocblas_complex_numIdEPKS1_PKS3_PKPS1_EviT_T9_T10_S9_lSB_S9_lSA_T11_S9_li.has_recursion, 0
	.set _ZL29rocblas_internal_gemmt_kernelIlLi16ELi32ELi8ELc67ELc67ELc85ELb1ELb1E19rocblas_complex_numIdEPKS1_PKS3_PKPS1_EviT_T9_T10_S9_lSB_S9_lSA_T11_S9_li.has_indirect_call, 0
	.section	.AMDGPU.csdata,"",@progbits
; Kernel info:
; codeLenInByte = 3568
; TotalNumSgprs: 50
; NumVgprs: 118
; ScratchSize: 0
; MemoryBound: 1
; FloatMode: 240
; IeeeMode: 1
; LDSByteSize: 8192 bytes/workgroup (compile time only)
; SGPRBlocks: 0
; VGPRBlocks: 14
; NumSGPRsForWavesPerEU: 50
; NumVGPRsForWavesPerEU: 118
; Occupancy: 8
; WaveLimiterHint : 1
; COMPUTE_PGM_RSRC2:SCRATCH_EN: 0
; COMPUTE_PGM_RSRC2:USER_SGPR: 6
; COMPUTE_PGM_RSRC2:TRAP_HANDLER: 0
; COMPUTE_PGM_RSRC2:TGID_X_EN: 1
; COMPUTE_PGM_RSRC2:TGID_Y_EN: 1
; COMPUTE_PGM_RSRC2:TGID_Z_EN: 1
; COMPUTE_PGM_RSRC2:TIDIG_COMP_CNT: 1
	.section	.text._ZL29rocblas_internal_gemmt_kernelIlLi16ELi32ELi8ELc78ELc78ELc76ELb0ELb0E19rocblas_complex_numIdEPKS1_PKS3_PKPS1_EviT_T9_T10_S9_lSB_S9_lSA_T11_S9_li,"axG",@progbits,_ZL29rocblas_internal_gemmt_kernelIlLi16ELi32ELi8ELc78ELc78ELc76ELb0ELb0E19rocblas_complex_numIdEPKS1_PKS3_PKPS1_EviT_T9_T10_S9_lSB_S9_lSA_T11_S9_li,comdat
	.globl	_ZL29rocblas_internal_gemmt_kernelIlLi16ELi32ELi8ELc78ELc78ELc76ELb0ELb0E19rocblas_complex_numIdEPKS1_PKS3_PKPS1_EviT_T9_T10_S9_lSB_S9_lSA_T11_S9_li ; -- Begin function _ZL29rocblas_internal_gemmt_kernelIlLi16ELi32ELi8ELc78ELc78ELc76ELb0ELb0E19rocblas_complex_numIdEPKS1_PKS3_PKPS1_EviT_T9_T10_S9_lSB_S9_lSA_T11_S9_li
	.p2align	8
	.type	_ZL29rocblas_internal_gemmt_kernelIlLi16ELi32ELi8ELc78ELc78ELc76ELb0ELb0E19rocblas_complex_numIdEPKS1_PKS3_PKPS1_EviT_T9_T10_S9_lSB_S9_lSA_T11_S9_li,@function
_ZL29rocblas_internal_gemmt_kernelIlLi16ELi32ELi8ELc78ELc78ELc76ELb0ELb0E19rocblas_complex_numIdEPKS1_PKS3_PKPS1_EviT_T9_T10_S9_lSB_S9_lSA_T11_S9_li: ; @_ZL29rocblas_internal_gemmt_kernelIlLi16ELi32ELi8ELc78ELc78ELc76ELb0ELb0E19rocblas_complex_numIdEPKS1_PKS3_PKPS1_EviT_T9_T10_S9_lSB_S9_lSA_T11_S9_li
; %bb.0:
	s_load_dwordx8 s[36:43], s[4:5], 0x48
	s_waitcnt lgkmcnt(0)
	s_load_dwordx4 s[28:31], s[36:37], 0x0
	s_load_dwordx16 s[12:27], s[4:5], 0x8
	s_waitcnt lgkmcnt(0)
	v_cmp_eq_f64_e64 s0, s[28:29], 1.0
	v_cmp_eq_f64_e64 s10, s[30:31], 0
	s_load_dwordx4 s[44:47], s[14:15], 0x0
	s_and_b32 s0, s0, s10
	s_andn2_b32 vcc_lo, exec_lo, s0
	s_mov_b32 s0, -1
	s_cbranch_vccnz .LBB549_3
; %bb.1:
	s_cmp_lg_u64 s[12:13], 0
	s_cbranch_scc0 .LBB549_33
; %bb.2:
	s_waitcnt lgkmcnt(0)
	v_cmp_neq_f64_e64 s0, s[44:45], 0
	v_cmp_neq_f64_e64 s1, s[46:47], 0
	s_or_b32 s0, s0, s1
.LBB549_3:
	s_and_b32 vcc_lo, exec_lo, s0
	s_cbranch_vccz .LBB549_34
; %bb.4:
	s_waitcnt lgkmcnt(0)
	v_cmp_eq_f64_e64 s11, s[44:45], 0
	v_cmp_eq_f64_e64 s14, s[46:47], 0
	s_mov_b32 s9, 0
	v_mov_b32_e32 v20, 0
	s_lshl_b64 s[0:1], s[8:9], 3
	v_mov_b32_e32 v22, 0
	s_add_u32 s2, s38, s0
	s_addc_u32 s3, s39, s1
	s_load_dword s8, s[4:5], 0x0
	s_load_dwordx2 s[2:3], s[2:3], 0x0
	v_cmp_lt_i64_e64 s4, s[12:13], 1
	v_mov_b32_e32 v18, 0
	v_mov_b32_e32 v16, 0
	;; [unrolled: 1-line block ×13, first 2 shown]
	s_and_b32 s5, s11, s14
	v_mov_b32_e32 v7, 0
	s_or_b32 s4, s5, s4
	s_lshl_b32 s6, s6, 5
	s_and_b32 vcc_lo, exec_lo, s4
	s_lshl_b32 s7, s7, 5
	s_cbranch_vccnz .LBB549_17
; %bb.5:
	s_add_u32 s4, s22, s0
	s_addc_u32 s5, s23, s1
	v_lshl_add_u32 v5, v1, 4, v0
	s_load_dwordx2 s[4:5], s[4:5], 0x0
	s_lshl_b64 s[14:15], s[26:27], 4
	v_and_b32_e32 v24, 7, v0
	v_mov_b32_e32 v6, 0
	v_lshrrev_b32_e32 v10, 3, v5
	v_and_b32_e32 v20, 31, v5
	v_lshrrev_b32_e32 v27, 5, v5
	v_lshlrev_b32_e32 v23, 4, v24
	v_mov_b32_e32 v8, 0
	v_add_nc_u32_e32 v11, s7, v10
	v_mov_b32_e32 v12, 0
	v_mov_b32_e32 v14, 0
	v_lshl_or_b32 v10, v10, 7, v23
	v_mov_b32_e32 v16, 0
	v_ashrrev_i32_e32 v4, 31, v11
	v_mul_lo_u32 v21, s25, v11
	v_mad_u64_u32 v[2:3], null, s24, v11, 0
	s_waitcnt lgkmcnt(0)
	v_cmp_gt_i32_e32 vcc_lo, s8, v11
	v_mul_lo_u32 v22, s24, v4
	s_add_u32 s11, s4, s14
	s_addc_u32 s22, s5, s15
	s_add_u32 s0, s16, s0
	s_addc_u32 s1, s17, s1
	v_or_b32_e32 v4, s6, v20
	s_load_dwordx2 s[4:5], s[0:1], 0x0
	v_lshlrev_b32_e32 v20, 4, v20
	v_add3_u32 v3, v3, v22, v21
	s_lshl_b64 s[14:15], s[20:21], 4
	v_ashrrev_i32_e32 v5, 31, v4
	v_cmp_gt_i32_e64 s0, s8, v4
	v_cmp_le_i32_e64 s9, s8, v4
	v_lshlrev_b64 v[2:3], 4, v[2:3]
	v_mov_b32_e32 v18, 0
	v_lshlrev_b64 v[4:5], 4, v[4:5]
	v_lshl_or_b32 v28, v27, 9, v20
	v_mov_b32_e32 v22, 0
	v_mov_b32_e32 v20, 0
	v_add_co_u32 v30, s1, s11, v2
	v_add_co_ci_u32_e64 v31, null, s22, v3, s1
	v_lshlrev_b32_e32 v25, 4, v0
	v_lshl_add_u32 v26, v1, 7, 0x1000
	v_mov_b32_e32 v7, 0
	s_waitcnt lgkmcnt(0)
	s_add_u32 s1, s4, s14
	s_addc_u32 s4, s5, s15
	v_add_co_u32 v32, s1, s1, v4
	v_mov_b32_e32 v9, 0
	v_mov_b32_e32 v13, 0
	;; [unrolled: 1-line block ×5, first 2 shown]
	v_add_nc_u32_e32 v29, 0x1000, v10
	v_add_co_ci_u32_e64 v33, null, s4, v5, s1
	v_mov_b32_e32 v23, 0
	v_mov_b32_e32 v21, 0
	;; [unrolled: 1-line block ×3, first 2 shown]
	s_mov_b64 s[4:5], 0
	s_xor_b32 s1, vcc_lo, -1
                                        ; implicit-def: $vgpr10_vgpr11
	s_branch .LBB549_7
.LBB549_6:                              ;   in Loop: Header=BB549_7 Depth=1
	s_or_b32 exec_lo, exec_lo, s11
	s_waitcnt lgkmcnt(0)
	s_barrier
	buffer_gl0_inv
	ds_read_b128 v[34:37], v26
	ds_read_b128 v[38:41], v25
	ds_read_b128 v[42:45], v25 offset:256
	ds_read_b128 v[46:49], v26 offset:2048
	ds_read_b128 v[50:53], v26 offset:16
	ds_read_b128 v[54:57], v25 offset:512
	ds_read_b128 v[58:61], v25 offset:768
	ds_read_b128 v[62:65], v26 offset:2064
	ds_read_b128 v[66:69], v25 offset:1024
	ds_read_b128 v[70:73], v25 offset:1280
	ds_read_b128 v[74:77], v26 offset:32
	ds_read_b128 v[78:81], v26 offset:48
	ds_read_b128 v[82:85], v26 offset:2080
	ds_read_b128 v[86:89], v26 offset:2096
	ds_read_b128 v[90:93], v25 offset:1536
	ds_read_b128 v[94:97], v25 offset:1792
	ds_read_b128 v[98:101], v25 offset:2048
	ds_read_b128 v[102:105], v25 offset:2304
	s_add_u32 s4, s4, 8
	s_addc_u32 s5, s5, 0
	v_cmp_gt_i64_e64 s11, s[12:13], s[4:5]
	s_waitcnt lgkmcnt(16)
	v_mul_f64 v[4:5], v[36:37], v[40:41]
	v_mul_f64 v[106:107], v[34:35], v[40:41]
	s_waitcnt lgkmcnt(15)
	v_mul_f64 v[108:109], v[36:37], v[44:45]
	v_mul_f64 v[110:111], v[34:35], v[44:45]
	;; [unrolled: 3-line block ×3, first 2 shown]
	v_mul_f64 v[114:115], v[48:49], v[44:45]
	v_mul_f64 v[44:45], v[46:47], v[44:45]
	s_waitcnt lgkmcnt(12)
	v_mul_f64 v[116:117], v[52:53], v[56:57]
	v_mul_f64 v[118:119], v[50:51], v[56:57]
	s_waitcnt lgkmcnt(11)
	;; [unrolled: 3-line block ×3, first 2 shown]
	v_mul_f64 v[124:125], v[64:65], v[56:57]
	v_mul_f64 v[56:57], v[62:63], v[56:57]
	;; [unrolled: 1-line block ×4, first 2 shown]
	s_waitcnt lgkmcnt(7)
	v_mul_f64 v[132:133], v[76:77], v[68:69]
	v_mul_f64 v[134:135], v[74:75], v[68:69]
	;; [unrolled: 1-line block ×4, first 2 shown]
	s_and_b32 vcc_lo, exec_lo, s11
	v_fma_f64 v[4:5], v[34:35], v[38:39], -v[4:5]
	v_fma_f64 v[106:107], v[36:37], v[38:39], v[106:107]
	v_fma_f64 v[108:109], v[34:35], v[42:43], -v[108:109]
	v_fma_f64 v[110:111], v[36:37], v[42:43], v[110:111]
	;; [unrolled: 2-line block ×8, first 2 shown]
	s_waitcnt lgkmcnt(5)
	v_mul_f64 v[60:61], v[84:85], v[68:69]
	v_mul_f64 v[64:65], v[84:85], v[72:73]
	s_waitcnt lgkmcnt(3)
	v_mul_f64 v[126:127], v[88:89], v[92:93]
	ds_read_b128 v[34:37], v26 offset:64
	ds_read_b128 v[38:41], v26 offset:80
	;; [unrolled: 1-line block ×6, first 2 shown]
	v_add_f64 v[4:5], v[20:21], v[4:5]
	v_add_f64 v[20:21], v[106:107], v[22:23]
	;; [unrolled: 1-line block ×3, first 2 shown]
	v_mul_f64 v[22:23], v[82:83], v[68:69]
	v_add_f64 v[16:17], v[110:111], v[16:17]
	v_add_f64 v[14:15], v[14:15], v[112:113]
	v_mul_f64 v[68:69], v[82:83], v[72:73]
	v_add_f64 v[12:13], v[128:129], v[12:13]
	v_add_f64 v[8:9], v[8:9], v[114:115]
	;; [unrolled: 1-line block ×3, first 2 shown]
	v_mul_f64 v[72:73], v[80:81], v[92:93]
	v_mul_f64 v[106:107], v[78:79], v[92:93]
	s_waitcnt lgkmcnt(8)
	v_mul_f64 v[108:109], v[80:81], v[96:97]
	v_mul_f64 v[110:111], v[78:79], v[96:97]
	v_fma_f64 v[112:113], v[74:75], v[66:67], -v[132:133]
	v_fma_f64 v[114:115], v[76:77], v[66:67], v[134:135]
	v_fma_f64 v[74:75], v[74:75], v[70:71], -v[136:137]
	v_fma_f64 v[76:77], v[76:77], v[70:71], v[140:141]
	v_mul_f64 v[92:93], v[86:87], v[92:93]
	v_mul_f64 v[128:129], v[88:89], v[96:97]
	v_fma_f64 v[60:61], v[82:83], v[66:67], -v[60:61]
	v_mul_f64 v[96:97], v[86:87], v[96:97]
	v_add_f64 v[4:5], v[4:5], v[116:117]
	v_add_f64 v[20:21], v[118:119], v[20:21]
	;; [unrolled: 1-line block ×3, first 2 shown]
	v_fma_f64 v[22:23], v[84:85], v[66:67], v[22:23]
	v_add_f64 v[16:17], v[122:123], v[16:17]
	v_add_f64 v[14:15], v[14:15], v[124:125]
	v_fma_f64 v[64:65], v[82:83], v[70:71], -v[64:65]
	v_add_f64 v[12:13], v[138:139], v[12:13]
	v_add_f64 v[8:9], v[8:9], v[62:63]
	v_fma_f64 v[66:67], v[84:85], v[70:71], v[68:69]
	v_add_f64 v[6:7], v[58:59], v[6:7]
	s_waitcnt lgkmcnt(5)
	v_mul_f64 v[116:117], v[36:37], v[100:101]
	v_mul_f64 v[118:119], v[34:35], v[100:101]
	;; [unrolled: 1-line block ×4, first 2 shown]
	s_waitcnt lgkmcnt(1)
	v_mul_f64 v[62:63], v[52:53], v[100:101]
	v_fma_f64 v[68:69], v[78:79], v[90:91], -v[72:73]
	v_fma_f64 v[70:71], v[80:81], v[90:91], v[106:107]
	v_fma_f64 v[72:73], v[78:79], v[94:95], -v[108:109]
	v_fma_f64 v[78:79], v[80:81], v[94:95], v[110:111]
	;; [unrolled: 2-line block ×3, first 2 shown]
	v_add_f64 v[4:5], v[4:5], v[112:113]
	v_add_f64 v[20:21], v[114:115], v[20:21]
	;; [unrolled: 1-line block ×3, first 2 shown]
	v_mul_f64 v[74:75], v[52:53], v[104:105]
	v_add_f64 v[16:17], v[76:77], v[16:17]
	v_add_f64 v[14:15], v[14:15], v[60:61]
	v_mul_f64 v[60:61], v[50:51], v[100:101]
	v_mul_f64 v[76:77], v[50:51], v[104:105]
	v_fma_f64 v[86:87], v[86:87], v[94:95], -v[128:129]
	v_add_f64 v[12:13], v[22:23], v[12:13]
	v_add_f64 v[8:9], v[8:9], v[64:65]
	v_fma_f64 v[88:89], v[88:89], v[94:95], v[96:97]
	v_add_f64 v[66:67], v[66:67], v[6:7]
	v_mul_f64 v[80:81], v[40:41], v[44:45]
	v_mul_f64 v[82:83], v[38:39], v[44:45]
	;; [unrolled: 1-line block ×3, first 2 shown]
	v_fma_f64 v[90:91], v[34:35], v[98:99], -v[116:117]
	v_fma_f64 v[92:93], v[36:37], v[98:99], v[118:119]
	v_fma_f64 v[34:35], v[34:35], v[102:103], -v[120:121]
	v_fma_f64 v[36:37], v[36:37], v[102:103], v[122:123]
	v_fma_f64 v[62:63], v[50:51], v[98:99], -v[62:63]
	v_mul_f64 v[94:95], v[38:39], v[48:49]
	v_add_f64 v[68:69], v[4:5], v[68:69]
	v_add_f64 v[70:71], v[70:71], v[20:21]
	;; [unrolled: 1-line block ×3, first 2 shown]
	s_waitcnt lgkmcnt(0)
	v_mul_f64 v[96:97], v[56:57], v[44:45]
	v_add_f64 v[78:79], v[78:79], v[16:17]
	v_add_f64 v[58:59], v[14:15], v[58:59]
	v_mul_f64 v[44:45], v[54:55], v[44:45]
	v_mul_f64 v[100:101], v[56:57], v[48:49]
	;; [unrolled: 1-line block ×3, first 2 shown]
	v_fma_f64 v[60:61], v[52:53], v[98:99], v[60:61]
	v_fma_f64 v[50:51], v[50:51], v[102:103], -v[74:75]
	v_add_f64 v[74:75], v[84:85], v[12:13]
	v_add_f64 v[8:9], v[8:9], v[86:87]
	v_fma_f64 v[52:53], v[52:53], v[102:103], v[76:77]
	v_add_f64 v[66:67], v[88:89], v[66:67]
	ds_read_b128 v[4:7], v26 offset:96
	ds_read_b128 v[12:15], v25 offset:3072
	;; [unrolled: 1-line block ×4, first 2 shown]
	v_fma_f64 v[76:77], v[38:39], v[42:43], -v[80:81]
	v_fma_f64 v[64:65], v[38:39], v[46:47], -v[64:65]
	v_fma_f64 v[80:81], v[40:41], v[46:47], v[94:95]
	v_add_f64 v[68:69], v[68:69], v[90:91]
	v_add_f64 v[70:71], v[92:93], v[70:71]
	;; [unrolled: 1-line block ×5, first 2 shown]
	v_fma_f64 v[62:63], v[40:41], v[42:43], v[82:83]
	v_fma_f64 v[82:83], v[54:55], v[42:43], -v[96:97]
	v_fma_f64 v[84:85], v[56:57], v[42:43], v[44:45]
	v_fma_f64 v[54:55], v[54:55], v[46:47], -v[100:101]
	v_fma_f64 v[56:57], v[56:57], v[46:47], v[48:49]
	v_add_f64 v[60:61], v[60:61], v[74:75]
	v_add_f64 v[8:9], v[8:9], v[50:51]
	s_waitcnt lgkmcnt(2)
	v_mul_f64 v[50:51], v[6:7], v[14:15]
	v_mul_f64 v[74:75], v[4:5], v[14:15]
	s_waitcnt lgkmcnt(1)
	v_mul_f64 v[86:87], v[6:7], v[18:19]
	v_mul_f64 v[88:89], v[4:5], v[18:19]
	;; [unrolled: 3-line block ×3, first 2 shown]
	v_mul_f64 v[92:93], v[22:23], v[18:19]
	v_add_f64 v[52:53], v[52:53], v[66:67]
	v_mul_f64 v[18:19], v[20:21], v[18:19]
	ds_read_b128 v[34:37], v26 offset:112
	ds_read_b128 v[38:41], v26 offset:2160
	;; [unrolled: 1-line block ×4, first 2 shown]
	v_add_f64 v[66:67], v[68:69], v[76:77]
	v_add_f64 v[64:65], v[72:73], v[64:65]
	v_add_f64 v[68:69], v[80:81], v[78:79]
	v_add_f64 v[62:63], v[62:63], v[70:71]
	v_add_f64 v[58:59], v[58:59], v[82:83]
	s_waitcnt lgkmcnt(0)
	s_barrier
	buffer_gl0_inv
	v_add_f64 v[60:61], v[84:85], v[60:61]
	v_add_f64 v[8:9], v[8:9], v[54:55]
	v_fma_f64 v[50:51], v[4:5], v[12:13], -v[50:51]
	v_fma_f64 v[54:55], v[6:7], v[12:13], v[74:75]
	v_fma_f64 v[4:5], v[4:5], v[16:17], -v[86:87]
	v_fma_f64 v[6:7], v[6:7], v[16:17], v[88:89]
	;; [unrolled: 2-line block ×3, first 2 shown]
	v_fma_f64 v[14:15], v[20:21], v[16:17], -v[92:93]
	v_add_f64 v[20:21], v[56:57], v[52:53]
	v_fma_f64 v[16:17], v[22:23], v[16:17], v[18:19]
	v_mul_f64 v[18:19], v[36:37], v[44:45]
	v_mul_f64 v[22:23], v[34:35], v[44:45]
	;; [unrolled: 1-line block ×8, first 2 shown]
	v_add_f64 v[50:51], v[66:67], v[50:51]
	v_add_f64 v[54:55], v[54:55], v[62:63]
	v_add_f64 v[4:5], v[64:65], v[4:5]
	v_add_f64 v[6:7], v[6:7], v[68:69]
	v_add_f64 v[58:59], v[58:59], v[70:71]
	v_add_f64 v[12:13], v[12:13], v[60:61]
	v_add_f64 v[8:9], v[8:9], v[14:15]
	v_add_f64 v[60:61], v[16:17], v[20:21]
	v_fma_f64 v[14:15], v[34:35], v[42:43], -v[18:19]
	v_fma_f64 v[16:17], v[36:37], v[42:43], v[22:23]
	v_fma_f64 v[18:19], v[34:35], v[46:47], -v[52:53]
	v_fma_f64 v[34:35], v[36:37], v[46:47], v[56:57]
	;; [unrolled: 2-line block ×4, first 2 shown]
	v_add_f64 v[20:21], v[50:51], v[14:15]
	v_add_f64 v[22:23], v[16:17], v[54:55]
	;; [unrolled: 1-line block ×8, first 2 shown]
	s_cbranch_vccz .LBB549_17
.LBB549_7:                              ; =>This Inner Loop Header: Depth=1
	s_mov_b32 s15, s9
	s_mov_b32 s11, 0
	s_and_saveexec_b32 s14, s0
	s_cbranch_execnz .LBB549_15
; %bb.8:                                ;   in Loop: Header=BB549_7 Depth=1
	s_or_b32 exec_lo, exec_lo, s14
	s_and_saveexec_b32 s14, s15
	s_xor_b32 s14, exec_lo, s14
	s_cbranch_execnz .LBB549_16
.LBB549_9:                              ;   in Loop: Header=BB549_7 Depth=1
	s_or_b32 exec_lo, exec_lo, s14
	s_and_saveexec_b32 s14, s11
	s_cbranch_execz .LBB549_11
.LBB549_10:                             ;   in Loop: Header=BB549_7 Depth=1
	v_mul_lo_u32 v2, s19, v10
	v_mul_lo_u32 v34, s18, v11
	v_mad_u64_u32 v[4:5], null, s18, v10, 0
	v_add3_u32 v5, v5, v34, v2
	v_lshlrev_b64 v[4:5], 4, v[4:5]
	v_add_co_u32 v4, vcc_lo, v32, v4
	v_add_co_ci_u32_e64 v5, null, v33, v5, vcc_lo
	flat_load_dwordx4 v[34:37], v[4:5]
	s_waitcnt vmcnt(0) lgkmcnt(0)
	ds_write2_b64 v28, v[34:35], v[36:37] offset1:1
.LBB549_11:                             ;   in Loop: Header=BB549_7 Depth=1
	s_or_b32 exec_lo, exec_lo, s14
	v_add_nc_u32_e32 v2, s4, v24
	v_cmp_le_u64_e32 vcc_lo, s[12:13], v[2:3]
	s_or_b32 s11, vcc_lo, s1
	s_and_saveexec_b32 s14, s11
	s_xor_b32 s11, exec_lo, s14
	s_cbranch_execz .LBB549_13
; %bb.12:                               ;   in Loop: Header=BB549_7 Depth=1
	v_mov_b32_e32 v2, v3
	v_mov_b32_e32 v4, v3
	;; [unrolled: 1-line block ×3, first 2 shown]
	ds_write_b128 v29, v[2:5]
.LBB549_13:                             ;   in Loop: Header=BB549_7 Depth=1
	s_andn2_saveexec_b32 s11, s11
	s_cbranch_execz .LBB549_6
; %bb.14:                               ;   in Loop: Header=BB549_7 Depth=1
	v_lshlrev_b64 v[4:5], 4, v[2:3]
	v_add_co_u32 v4, vcc_lo, v30, v4
	v_add_co_ci_u32_e64 v5, null, v31, v5, vcc_lo
	flat_load_dwordx4 v[34:37], v[4:5]
	s_waitcnt vmcnt(0) lgkmcnt(0)
	ds_write2_b64 v29, v[34:35], v[36:37] offset1:1
	s_branch .LBB549_6
.LBB549_15:                             ;   in Loop: Header=BB549_7 Depth=1
	v_add_nc_u32_e32 v2, s4, v27
	v_mov_b32_e32 v11, v3
	s_andn2_b32 s15, s9, exec_lo
	s_mov_b32 s11, exec_lo
	v_cmp_le_u64_e32 vcc_lo, s[12:13], v[2:3]
	v_mov_b32_e32 v10, v2
	s_and_b32 s16, vcc_lo, exec_lo
	s_or_b32 s15, s15, s16
	s_or_b32 exec_lo, exec_lo, s14
	s_and_saveexec_b32 s14, s15
	s_xor_b32 s14, exec_lo, s14
	s_cbranch_execz .LBB549_9
.LBB549_16:                             ;   in Loop: Header=BB549_7 Depth=1
	v_mov_b32_e32 v2, v3
	v_mov_b32_e32 v4, v3
	;; [unrolled: 1-line block ×3, first 2 shown]
	s_andn2_b32 s11, s11, exec_lo
	ds_write_b128 v28, v[2:5]
	s_or_b32 exec_lo, exec_lo, s14
	s_and_saveexec_b32 s14, s11
	s_cbranch_execnz .LBB549_10
	s_branch .LBB549_11
.LBB549_17:
	v_add_nc_u32_e32 v25, s7, v1
	v_cmp_neq_f64_e64 s5, s[28:29], 0
	s_lshl_b64 s[0:1], s[42:43], 4
	s_waitcnt lgkmcnt(0)
	s_add_u32 s4, s2, s0
	v_ashrrev_i32_e32 v3, 31, v25
	v_mul_lo_u32 v4, s41, v25
	v_mad_u64_u32 v[1:2], null, s40, v25, 0
	s_addc_u32 s3, s3, s1
	v_mul_lo_u32 v3, s40, v3
	s_xor_b32 s2, s10, -1
	v_add3_u32 v2, v2, v3, v4
	v_add_nc_u32_e32 v4, s6, v0
	s_or_b32 s2, s5, s2
	v_lshlrev_b64 v[0:1], 4, v[1:2]
	v_cmp_le_i32_e32 vcc_lo, v25, v4
	v_cmp_gt_i32_e64 s0, s8, v4
	v_ashrrev_i32_e32 v5, 31, v4
	v_cndmask_b32_e64 v24, 0, 1, s2
	v_add_co_u32 v26, s1, s4, v0
	v_add_co_ci_u32_e64 v27, null, s3, v1, s1
	s_and_b32 s5, vcc_lo, s0
	s_and_saveexec_b32 s1, s5
	s_cbranch_execz .LBB549_21
; %bb.18:
	v_mul_f64 v[0:1], s[46:47], v[22:23]
	v_mul_f64 v[2:3], s[44:45], v[22:23]
	v_lshlrev_b64 v[10:11], 4, v[4:5]
	v_add_co_u32 v10, vcc_lo, v26, v10
	v_add_co_ci_u32_e64 v11, null, v27, v11, vcc_lo
	s_andn2_b32 vcc_lo, exec_lo, s2
	v_fma_f64 v[0:1], s[44:45], v[20:21], -v[0:1]
	v_fma_f64 v[2:3], s[46:47], v[20:21], v[2:3]
	s_cbranch_vccnz .LBB549_20
; %bb.19:
	flat_load_dwordx4 v[20:23], v[10:11]
	s_waitcnt vmcnt(0) lgkmcnt(0)
	v_mul_f64 v[28:29], s[30:31], v[22:23]
	v_mul_f64 v[22:23], s[28:29], v[22:23]
	v_fma_f64 v[28:29], s[28:29], v[20:21], -v[28:29]
	v_fma_f64 v[20:21], s[30:31], v[20:21], v[22:23]
	v_add_f64 v[0:1], v[0:1], v[28:29]
	v_add_f64 v[2:3], v[2:3], v[20:21]
.LBB549_20:
	flat_store_dwordx4 v[10:11], v[0:3]
.LBB549_21:
	s_or_b32 exec_lo, exec_lo, s1
	v_add_nc_u32_e32 v10, 16, v4
	v_cmp_le_i32_e32 vcc_lo, v25, v10
	v_cmp_gt_i32_e64 s1, s8, v10
	v_ashrrev_i32_e32 v11, 31, v10
	s_and_b32 s2, vcc_lo, s1
	s_and_saveexec_b32 s5, s2
	s_cbranch_execz .LBB549_25
; %bb.22:
	v_mul_f64 v[0:1], s[46:47], v[16:17]
	v_mul_f64 v[2:3], s[44:45], v[16:17]
	v_lshlrev_b64 v[16:17], 4, v[10:11]
	v_cmp_ne_u32_e32 vcc_lo, 1, v24
	s_and_b32 vcc_lo, exec_lo, vcc_lo
	v_add_co_u32 v16, s2, v26, v16
	v_add_co_ci_u32_e64 v17, null, v27, v17, s2
	v_fma_f64 v[0:1], s[44:45], v[18:19], -v[0:1]
	v_fma_f64 v[2:3], s[46:47], v[18:19], v[2:3]
	s_cbranch_vccnz .LBB549_24
; %bb.23:
	flat_load_dwordx4 v[18:21], v[16:17]
	s_waitcnt vmcnt(0) lgkmcnt(0)
	v_mul_f64 v[22:23], s[30:31], v[20:21]
	v_mul_f64 v[20:21], s[28:29], v[20:21]
	v_fma_f64 v[22:23], s[28:29], v[18:19], -v[22:23]
	v_fma_f64 v[18:19], s[30:31], v[18:19], v[20:21]
	v_add_f64 v[0:1], v[0:1], v[22:23]
	v_add_f64 v[2:3], v[2:3], v[18:19]
.LBB549_24:
	flat_store_dwordx4 v[16:17], v[0:3]
.LBB549_25:
	s_or_b32 exec_lo, exec_lo, s5
	v_add_nc_u32_e32 v18, 16, v25
	v_ashrrev_i32_e32 v2, 31, v18
	v_mul_lo_u32 v3, s41, v18
	v_mad_u64_u32 v[0:1], null, s40, v18, 0
	v_cmp_le_i32_e32 vcc_lo, v18, v4
	v_mul_lo_u32 v2, s40, v2
	s_and_b32 s0, vcc_lo, s0
	v_add3_u32 v1, v1, v2, v3
	v_lshlrev_b64 v[0:1], 4, v[0:1]
	v_add_co_u32 v16, s2, s4, v0
	v_add_co_ci_u32_e64 v17, null, s3, v1, s2
	s_and_saveexec_b32 s2, s0
	s_cbranch_execz .LBB549_29
; %bb.26:
	v_mul_f64 v[0:1], s[46:47], v[12:13]
	v_mul_f64 v[2:3], s[44:45], v[12:13]
	v_lshlrev_b64 v[4:5], 4, v[4:5]
	v_cmp_ne_u32_e32 vcc_lo, 1, v24
	s_and_b32 vcc_lo, exec_lo, vcc_lo
	v_add_co_u32 v4, s0, v16, v4
	v_add_co_ci_u32_e64 v5, null, v17, v5, s0
	v_fma_f64 v[0:1], s[44:45], v[14:15], -v[0:1]
	v_fma_f64 v[2:3], s[46:47], v[14:15], v[2:3]
	s_cbranch_vccnz .LBB549_28
; %bb.27:
	flat_load_dwordx4 v[12:15], v[4:5]
	s_waitcnt vmcnt(0) lgkmcnt(0)
	v_mul_f64 v[19:20], s[30:31], v[14:15]
	v_mul_f64 v[14:15], s[28:29], v[14:15]
	v_fma_f64 v[19:20], s[28:29], v[12:13], -v[19:20]
	v_fma_f64 v[12:13], s[30:31], v[12:13], v[14:15]
	v_add_f64 v[0:1], v[0:1], v[19:20]
	v_add_f64 v[2:3], v[2:3], v[12:13]
.LBB549_28:
	flat_store_dwordx4 v[4:5], v[0:3]
.LBB549_29:
	s_or_b32 exec_lo, exec_lo, s2
	v_cmp_le_i32_e32 vcc_lo, v18, v10
	s_and_b32 s0, vcc_lo, s1
	s_and_saveexec_b32 s1, s0
	s_cbranch_execz .LBB549_34
; %bb.30:
	v_mul_f64 v[0:1], s[46:47], v[6:7]
	v_mul_f64 v[2:3], s[44:45], v[6:7]
	v_lshlrev_b64 v[4:5], 4, v[10:11]
	v_cmp_ne_u32_e32 vcc_lo, 1, v24
	s_and_b32 vcc_lo, exec_lo, vcc_lo
	v_add_co_u32 v4, s0, v16, v4
	v_add_co_ci_u32_e64 v5, null, v17, v5, s0
	v_fma_f64 v[0:1], s[44:45], v[8:9], -v[0:1]
	v_fma_f64 v[2:3], s[46:47], v[8:9], v[2:3]
	s_cbranch_vccnz .LBB549_32
; %bb.31:
	flat_load_dwordx4 v[6:9], v[4:5]
	s_waitcnt vmcnt(0) lgkmcnt(0)
	v_mul_f64 v[10:11], s[30:31], v[8:9]
	v_mul_f64 v[8:9], s[28:29], v[8:9]
	v_fma_f64 v[10:11], s[28:29], v[6:7], -v[10:11]
	v_fma_f64 v[6:7], s[30:31], v[6:7], v[8:9]
	v_add_f64 v[0:1], v[0:1], v[10:11]
	v_add_f64 v[2:3], v[2:3], v[6:7]
.LBB549_32:
	flat_store_dwordx4 v[4:5], v[0:3]
	s_endpgm
.LBB549_33:
.LBB549_34:
	s_endpgm
	.section	.rodata,"a",@progbits
	.p2align	6, 0x0
	.amdhsa_kernel _ZL29rocblas_internal_gemmt_kernelIlLi16ELi32ELi8ELc78ELc78ELc76ELb0ELb0E19rocblas_complex_numIdEPKS1_PKS3_PKPS1_EviT_T9_T10_S9_lSB_S9_lSA_T11_S9_li
		.amdhsa_group_segment_fixed_size 8192
		.amdhsa_private_segment_fixed_size 0
		.amdhsa_kernarg_size 108
		.amdhsa_user_sgpr_count 6
		.amdhsa_user_sgpr_private_segment_buffer 1
		.amdhsa_user_sgpr_dispatch_ptr 0
		.amdhsa_user_sgpr_queue_ptr 0
		.amdhsa_user_sgpr_kernarg_segment_ptr 1
		.amdhsa_user_sgpr_dispatch_id 0
		.amdhsa_user_sgpr_flat_scratch_init 0
		.amdhsa_user_sgpr_private_segment_size 0
		.amdhsa_wavefront_size32 1
		.amdhsa_uses_dynamic_stack 0
		.amdhsa_system_sgpr_private_segment_wavefront_offset 0
		.amdhsa_system_sgpr_workgroup_id_x 1
		.amdhsa_system_sgpr_workgroup_id_y 1
		.amdhsa_system_sgpr_workgroup_id_z 1
		.amdhsa_system_sgpr_workgroup_info 0
		.amdhsa_system_vgpr_workitem_id 1
		.amdhsa_next_free_vgpr 142
		.amdhsa_next_free_sgpr 48
		.amdhsa_reserve_vcc 1
		.amdhsa_reserve_flat_scratch 0
		.amdhsa_float_round_mode_32 0
		.amdhsa_float_round_mode_16_64 0
		.amdhsa_float_denorm_mode_32 3
		.amdhsa_float_denorm_mode_16_64 3
		.amdhsa_dx10_clamp 1
		.amdhsa_ieee_mode 1
		.amdhsa_fp16_overflow 0
		.amdhsa_workgroup_processor_mode 1
		.amdhsa_memory_ordered 1
		.amdhsa_forward_progress 1
		.amdhsa_shared_vgpr_count 0
		.amdhsa_exception_fp_ieee_invalid_op 0
		.amdhsa_exception_fp_denorm_src 0
		.amdhsa_exception_fp_ieee_div_zero 0
		.amdhsa_exception_fp_ieee_overflow 0
		.amdhsa_exception_fp_ieee_underflow 0
		.amdhsa_exception_fp_ieee_inexact 0
		.amdhsa_exception_int_div_zero 0
	.end_amdhsa_kernel
	.section	.text._ZL29rocblas_internal_gemmt_kernelIlLi16ELi32ELi8ELc78ELc78ELc76ELb0ELb0E19rocblas_complex_numIdEPKS1_PKS3_PKPS1_EviT_T9_T10_S9_lSB_S9_lSA_T11_S9_li,"axG",@progbits,_ZL29rocblas_internal_gemmt_kernelIlLi16ELi32ELi8ELc78ELc78ELc76ELb0ELb0E19rocblas_complex_numIdEPKS1_PKS3_PKPS1_EviT_T9_T10_S9_lSB_S9_lSA_T11_S9_li,comdat
.Lfunc_end549:
	.size	_ZL29rocblas_internal_gemmt_kernelIlLi16ELi32ELi8ELc78ELc78ELc76ELb0ELb0E19rocblas_complex_numIdEPKS1_PKS3_PKPS1_EviT_T9_T10_S9_lSB_S9_lSA_T11_S9_li, .Lfunc_end549-_ZL29rocblas_internal_gemmt_kernelIlLi16ELi32ELi8ELc78ELc78ELc76ELb0ELb0E19rocblas_complex_numIdEPKS1_PKS3_PKPS1_EviT_T9_T10_S9_lSB_S9_lSA_T11_S9_li
                                        ; -- End function
	.set _ZL29rocblas_internal_gemmt_kernelIlLi16ELi32ELi8ELc78ELc78ELc76ELb0ELb0E19rocblas_complex_numIdEPKS1_PKS3_PKPS1_EviT_T9_T10_S9_lSB_S9_lSA_T11_S9_li.num_vgpr, 142
	.set _ZL29rocblas_internal_gemmt_kernelIlLi16ELi32ELi8ELc78ELc78ELc76ELb0ELb0E19rocblas_complex_numIdEPKS1_PKS3_PKPS1_EviT_T9_T10_S9_lSB_S9_lSA_T11_S9_li.num_agpr, 0
	.set _ZL29rocblas_internal_gemmt_kernelIlLi16ELi32ELi8ELc78ELc78ELc76ELb0ELb0E19rocblas_complex_numIdEPKS1_PKS3_PKPS1_EviT_T9_T10_S9_lSB_S9_lSA_T11_S9_li.numbered_sgpr, 48
	.set _ZL29rocblas_internal_gemmt_kernelIlLi16ELi32ELi8ELc78ELc78ELc76ELb0ELb0E19rocblas_complex_numIdEPKS1_PKS3_PKPS1_EviT_T9_T10_S9_lSB_S9_lSA_T11_S9_li.num_named_barrier, 0
	.set _ZL29rocblas_internal_gemmt_kernelIlLi16ELi32ELi8ELc78ELc78ELc76ELb0ELb0E19rocblas_complex_numIdEPKS1_PKS3_PKPS1_EviT_T9_T10_S9_lSB_S9_lSA_T11_S9_li.private_seg_size, 0
	.set _ZL29rocblas_internal_gemmt_kernelIlLi16ELi32ELi8ELc78ELc78ELc76ELb0ELb0E19rocblas_complex_numIdEPKS1_PKS3_PKPS1_EviT_T9_T10_S9_lSB_S9_lSA_T11_S9_li.uses_vcc, 1
	.set _ZL29rocblas_internal_gemmt_kernelIlLi16ELi32ELi8ELc78ELc78ELc76ELb0ELb0E19rocblas_complex_numIdEPKS1_PKS3_PKPS1_EviT_T9_T10_S9_lSB_S9_lSA_T11_S9_li.uses_flat_scratch, 0
	.set _ZL29rocblas_internal_gemmt_kernelIlLi16ELi32ELi8ELc78ELc78ELc76ELb0ELb0E19rocblas_complex_numIdEPKS1_PKS3_PKPS1_EviT_T9_T10_S9_lSB_S9_lSA_T11_S9_li.has_dyn_sized_stack, 0
	.set _ZL29rocblas_internal_gemmt_kernelIlLi16ELi32ELi8ELc78ELc78ELc76ELb0ELb0E19rocblas_complex_numIdEPKS1_PKS3_PKPS1_EviT_T9_T10_S9_lSB_S9_lSA_T11_S9_li.has_recursion, 0
	.set _ZL29rocblas_internal_gemmt_kernelIlLi16ELi32ELi8ELc78ELc78ELc76ELb0ELb0E19rocblas_complex_numIdEPKS1_PKS3_PKPS1_EviT_T9_T10_S9_lSB_S9_lSA_T11_S9_li.has_indirect_call, 0
	.section	.AMDGPU.csdata,"",@progbits
; Kernel info:
; codeLenInByte = 3644
; TotalNumSgprs: 50
; NumVgprs: 142
; ScratchSize: 0
; MemoryBound: 0
; FloatMode: 240
; IeeeMode: 1
; LDSByteSize: 8192 bytes/workgroup (compile time only)
; SGPRBlocks: 0
; VGPRBlocks: 17
; NumSGPRsForWavesPerEU: 50
; NumVGPRsForWavesPerEU: 142
; Occupancy: 7
; WaveLimiterHint : 1
; COMPUTE_PGM_RSRC2:SCRATCH_EN: 0
; COMPUTE_PGM_RSRC2:USER_SGPR: 6
; COMPUTE_PGM_RSRC2:TRAP_HANDLER: 0
; COMPUTE_PGM_RSRC2:TGID_X_EN: 1
; COMPUTE_PGM_RSRC2:TGID_Y_EN: 1
; COMPUTE_PGM_RSRC2:TGID_Z_EN: 1
; COMPUTE_PGM_RSRC2:TIDIG_COMP_CNT: 1
	.section	.text._ZL29rocblas_internal_gemmt_kernelIlLi16ELi32ELi8ELc78ELc84ELc76ELb0ELb0E19rocblas_complex_numIdEPKS1_PKS3_PKPS1_EviT_T9_T10_S9_lSB_S9_lSA_T11_S9_li,"axG",@progbits,_ZL29rocblas_internal_gemmt_kernelIlLi16ELi32ELi8ELc78ELc84ELc76ELb0ELb0E19rocblas_complex_numIdEPKS1_PKS3_PKPS1_EviT_T9_T10_S9_lSB_S9_lSA_T11_S9_li,comdat
	.globl	_ZL29rocblas_internal_gemmt_kernelIlLi16ELi32ELi8ELc78ELc84ELc76ELb0ELb0E19rocblas_complex_numIdEPKS1_PKS3_PKPS1_EviT_T9_T10_S9_lSB_S9_lSA_T11_S9_li ; -- Begin function _ZL29rocblas_internal_gemmt_kernelIlLi16ELi32ELi8ELc78ELc84ELc76ELb0ELb0E19rocblas_complex_numIdEPKS1_PKS3_PKPS1_EviT_T9_T10_S9_lSB_S9_lSA_T11_S9_li
	.p2align	8
	.type	_ZL29rocblas_internal_gemmt_kernelIlLi16ELi32ELi8ELc78ELc84ELc76ELb0ELb0E19rocblas_complex_numIdEPKS1_PKS3_PKPS1_EviT_T9_T10_S9_lSB_S9_lSA_T11_S9_li,@function
_ZL29rocblas_internal_gemmt_kernelIlLi16ELi32ELi8ELc78ELc84ELc76ELb0ELb0E19rocblas_complex_numIdEPKS1_PKS3_PKPS1_EviT_T9_T10_S9_lSB_S9_lSA_T11_S9_li: ; @_ZL29rocblas_internal_gemmt_kernelIlLi16ELi32ELi8ELc78ELc84ELc76ELb0ELb0E19rocblas_complex_numIdEPKS1_PKS3_PKPS1_EviT_T9_T10_S9_lSB_S9_lSA_T11_S9_li
; %bb.0:
	s_load_dwordx8 s[36:43], s[4:5], 0x48
	s_waitcnt lgkmcnt(0)
	s_load_dwordx4 s[28:31], s[36:37], 0x0
	s_load_dwordx16 s[12:27], s[4:5], 0x8
	s_waitcnt lgkmcnt(0)
	v_cmp_eq_f64_e64 s0, s[28:29], 1.0
	v_cmp_eq_f64_e64 s10, s[30:31], 0
	s_load_dwordx4 s[44:47], s[14:15], 0x0
	s_and_b32 s0, s0, s10
	s_andn2_b32 vcc_lo, exec_lo, s0
	s_mov_b32 s0, -1
	s_cbranch_vccnz .LBB550_3
; %bb.1:
	s_cmp_lg_u64 s[12:13], 0
	s_cbranch_scc0 .LBB550_33
; %bb.2:
	s_waitcnt lgkmcnt(0)
	v_cmp_neq_f64_e64 s0, s[44:45], 0
	v_cmp_neq_f64_e64 s1, s[46:47], 0
	s_or_b32 s0, s0, s1
.LBB550_3:
	s_and_b32 vcc_lo, exec_lo, s0
	s_cbranch_vccz .LBB550_34
; %bb.4:
	s_waitcnt lgkmcnt(0)
	v_cmp_eq_f64_e64 s11, s[44:45], 0
	v_cmp_eq_f64_e64 s14, s[46:47], 0
	s_mov_b32 s9, 0
	v_mov_b32_e32 v20, 0
	s_lshl_b64 s[0:1], s[8:9], 3
	v_mov_b32_e32 v22, 0
	s_add_u32 s2, s38, s0
	s_addc_u32 s3, s39, s1
	s_load_dword s8, s[4:5], 0x0
	s_load_dwordx2 s[2:3], s[2:3], 0x0
	v_cmp_lt_i64_e64 s4, s[12:13], 1
	v_mov_b32_e32 v16, 0
	v_mov_b32_e32 v18, 0
	;; [unrolled: 1-line block ×13, first 2 shown]
	s_and_b32 s5, s11, s14
	v_mov_b32_e32 v7, 0
	s_or_b32 s4, s5, s4
	s_lshl_b32 s6, s6, 5
	s_and_b32 vcc_lo, exec_lo, s4
	s_lshl_b32 s7, s7, 5
	s_cbranch_vccnz .LBB550_17
; %bb.5:
	s_add_u32 s4, s22, s0
	s_addc_u32 s5, s23, s1
	v_lshl_add_u32 v3, v1, 4, v0
	s_load_dwordx2 s[4:5], s[4:5], 0x0
	s_lshl_b64 s[14:15], s[26:27], 4
	v_and_b32_e32 v24, 7, v0
	v_mov_b32_e32 v6, 0
	v_lshrrev_b32_e32 v5, 3, v3
	v_and_b32_e32 v10, 31, v3
	v_lshrrev_b32_e32 v27, 5, v3
	v_lshlrev_b32_e32 v11, 4, v24
	v_mov_b32_e32 v8, 0
	v_add_nc_u32_e32 v2, s7, v5
	v_or_b32_e32 v4, s6, v10
	v_lshlrev_b32_e32 v10, 4, v10
	v_lshl_or_b32 v29, v5, 7, v11
	v_mov_b32_e32 v12, 0
	v_ashrrev_i32_e32 v3, 31, v2
	v_ashrrev_i32_e32 v5, 31, v4
	v_lshl_or_b32 v28, v27, 9, v10
	s_waitcnt lgkmcnt(0)
	v_cmp_gt_i32_e32 vcc_lo, s8, v2
	v_mov_b32_e32 v14, 0
	v_lshlrev_b64 v[10:11], 4, v[2:3]
	s_add_u32 s11, s4, s14
	s_addc_u32 s22, s5, s15
	s_add_u32 s0, s16, s0
	s_addc_u32 s1, s17, s1
	v_lshlrev_b64 v[2:3], 4, v[4:5]
	s_load_dwordx2 s[4:5], s[0:1], 0x0
	s_lshl_b64 s[14:15], s[20:21], 4
	v_add_co_u32 v30, s1, s11, v10
	v_add_co_ci_u32_e64 v31, null, s22, v11, s1
	v_mov_b32_e32 v18, 0
	v_mov_b32_e32 v16, 0
	;; [unrolled: 1-line block ×4, first 2 shown]
	v_lshlrev_b32_e32 v25, 4, v0
	v_lshl_add_u32 v26, v1, 7, 0x1000
	v_mov_b32_e32 v7, 0
	v_mov_b32_e32 v9, 0
	;; [unrolled: 1-line block ×8, first 2 shown]
	s_waitcnt lgkmcnt(0)
	s_add_u32 s1, s4, s14
	s_addc_u32 s4, s5, s15
	v_add_co_u32 v32, s1, s1, v2
	v_cmp_gt_i32_e64 s0, s8, v4
	v_cmp_le_i32_e64 s9, s8, v4
	v_add_nc_u32_e32 v29, 0x1000, v29
	v_add_co_ci_u32_e64 v33, null, s4, v3, s1
	v_mov_b32_e32 v3, 0
	s_mov_b64 s[4:5], 0
	s_xor_b32 s1, vcc_lo, -1
                                        ; implicit-def: $vgpr10_vgpr11
	s_branch .LBB550_7
.LBB550_6:                              ;   in Loop: Header=BB550_7 Depth=1
	s_or_b32 exec_lo, exec_lo, s11
	s_waitcnt lgkmcnt(0)
	s_barrier
	buffer_gl0_inv
	ds_read_b128 v[34:37], v26
	ds_read_b128 v[38:41], v25
	ds_read_b128 v[42:45], v25 offset:256
	ds_read_b128 v[46:49], v26 offset:2048
	;; [unrolled: 1-line block ×16, first 2 shown]
	s_add_u32 s4, s4, 8
	s_addc_u32 s5, s5, 0
	v_cmp_gt_i64_e64 s11, s[12:13], s[4:5]
	s_waitcnt lgkmcnt(16)
	v_mul_f64 v[4:5], v[36:37], v[40:41]
	v_mul_f64 v[106:107], v[34:35], v[40:41]
	s_waitcnt lgkmcnt(15)
	v_mul_f64 v[108:109], v[36:37], v[44:45]
	v_mul_f64 v[110:111], v[34:35], v[44:45]
	;; [unrolled: 3-line block ×3, first 2 shown]
	v_mul_f64 v[114:115], v[48:49], v[44:45]
	v_mul_f64 v[44:45], v[46:47], v[44:45]
	s_waitcnt lgkmcnt(12)
	v_mul_f64 v[116:117], v[52:53], v[56:57]
	v_mul_f64 v[118:119], v[50:51], v[56:57]
	s_waitcnt lgkmcnt(11)
	;; [unrolled: 3-line block ×3, first 2 shown]
	v_mul_f64 v[124:125], v[64:65], v[56:57]
	v_mul_f64 v[56:57], v[62:63], v[56:57]
	;; [unrolled: 1-line block ×4, first 2 shown]
	s_waitcnt lgkmcnt(7)
	v_mul_f64 v[132:133], v[76:77], v[68:69]
	v_mul_f64 v[134:135], v[74:75], v[68:69]
	;; [unrolled: 1-line block ×4, first 2 shown]
	s_and_b32 vcc_lo, exec_lo, s11
	v_fma_f64 v[4:5], v[34:35], v[38:39], -v[4:5]
	v_fma_f64 v[106:107], v[36:37], v[38:39], v[106:107]
	v_fma_f64 v[108:109], v[34:35], v[42:43], -v[108:109]
	v_fma_f64 v[110:111], v[36:37], v[42:43], v[110:111]
	;; [unrolled: 2-line block ×8, first 2 shown]
	s_waitcnt lgkmcnt(5)
	v_mul_f64 v[60:61], v[84:85], v[68:69]
	v_mul_f64 v[64:65], v[84:85], v[72:73]
	s_waitcnt lgkmcnt(3)
	v_mul_f64 v[126:127], v[88:89], v[92:93]
	ds_read_b128 v[34:37], v26 offset:64
	ds_read_b128 v[38:41], v26 offset:80
	ds_read_b128 v[42:45], v25 offset:2560
	ds_read_b128 v[46:49], v25 offset:2816
	ds_read_b128 v[50:53], v26 offset:2112
	ds_read_b128 v[54:57], v26 offset:2128
	v_add_f64 v[4:5], v[20:21], v[4:5]
	v_add_f64 v[20:21], v[106:107], v[22:23]
	;; [unrolled: 1-line block ×3, first 2 shown]
	v_mul_f64 v[22:23], v[82:83], v[68:69]
	v_add_f64 v[18:19], v[110:111], v[18:19]
	v_add_f64 v[14:15], v[14:15], v[112:113]
	v_mul_f64 v[68:69], v[82:83], v[72:73]
	v_add_f64 v[12:13], v[128:129], v[12:13]
	v_add_f64 v[8:9], v[8:9], v[114:115]
	;; [unrolled: 1-line block ×3, first 2 shown]
	v_mul_f64 v[72:73], v[80:81], v[92:93]
	v_mul_f64 v[106:107], v[78:79], v[92:93]
	s_waitcnt lgkmcnt(8)
	v_mul_f64 v[108:109], v[80:81], v[96:97]
	v_mul_f64 v[110:111], v[78:79], v[96:97]
	v_fma_f64 v[112:113], v[74:75], v[66:67], -v[132:133]
	v_fma_f64 v[114:115], v[76:77], v[66:67], v[134:135]
	v_fma_f64 v[74:75], v[74:75], v[70:71], -v[136:137]
	v_fma_f64 v[76:77], v[76:77], v[70:71], v[140:141]
	v_mul_f64 v[92:93], v[86:87], v[92:93]
	v_mul_f64 v[128:129], v[88:89], v[96:97]
	v_fma_f64 v[60:61], v[82:83], v[66:67], -v[60:61]
	v_mul_f64 v[96:97], v[86:87], v[96:97]
	v_add_f64 v[4:5], v[4:5], v[116:117]
	v_add_f64 v[20:21], v[118:119], v[20:21]
	;; [unrolled: 1-line block ×3, first 2 shown]
	v_fma_f64 v[22:23], v[84:85], v[66:67], v[22:23]
	v_add_f64 v[18:19], v[122:123], v[18:19]
	v_add_f64 v[14:15], v[14:15], v[124:125]
	v_fma_f64 v[64:65], v[82:83], v[70:71], -v[64:65]
	v_add_f64 v[12:13], v[138:139], v[12:13]
	v_add_f64 v[8:9], v[8:9], v[62:63]
	v_fma_f64 v[66:67], v[84:85], v[70:71], v[68:69]
	v_add_f64 v[6:7], v[58:59], v[6:7]
	s_waitcnt lgkmcnt(5)
	v_mul_f64 v[116:117], v[36:37], v[100:101]
	v_mul_f64 v[118:119], v[34:35], v[100:101]
	;; [unrolled: 1-line block ×4, first 2 shown]
	s_waitcnt lgkmcnt(1)
	v_mul_f64 v[62:63], v[52:53], v[100:101]
	v_fma_f64 v[68:69], v[78:79], v[90:91], -v[72:73]
	v_fma_f64 v[70:71], v[80:81], v[90:91], v[106:107]
	v_fma_f64 v[72:73], v[78:79], v[94:95], -v[108:109]
	v_fma_f64 v[78:79], v[80:81], v[94:95], v[110:111]
	v_fma_f64 v[58:59], v[86:87], v[90:91], -v[126:127]
	v_fma_f64 v[84:85], v[88:89], v[90:91], v[92:93]
	v_add_f64 v[4:5], v[4:5], v[112:113]
	v_add_f64 v[20:21], v[114:115], v[20:21]
	;; [unrolled: 1-line block ×3, first 2 shown]
	v_mul_f64 v[74:75], v[52:53], v[104:105]
	v_add_f64 v[18:19], v[76:77], v[18:19]
	v_add_f64 v[14:15], v[14:15], v[60:61]
	v_mul_f64 v[60:61], v[50:51], v[100:101]
	v_mul_f64 v[76:77], v[50:51], v[104:105]
	v_fma_f64 v[86:87], v[86:87], v[94:95], -v[128:129]
	v_add_f64 v[12:13], v[22:23], v[12:13]
	v_add_f64 v[8:9], v[8:9], v[64:65]
	v_fma_f64 v[88:89], v[88:89], v[94:95], v[96:97]
	v_add_f64 v[66:67], v[66:67], v[6:7]
	v_mul_f64 v[80:81], v[40:41], v[44:45]
	v_mul_f64 v[82:83], v[38:39], v[44:45]
	;; [unrolled: 1-line block ×3, first 2 shown]
	v_fma_f64 v[90:91], v[34:35], v[98:99], -v[116:117]
	v_fma_f64 v[92:93], v[36:37], v[98:99], v[118:119]
	v_fma_f64 v[34:35], v[34:35], v[102:103], -v[120:121]
	v_fma_f64 v[36:37], v[36:37], v[102:103], v[122:123]
	v_fma_f64 v[62:63], v[50:51], v[98:99], -v[62:63]
	v_mul_f64 v[94:95], v[38:39], v[48:49]
	v_add_f64 v[68:69], v[4:5], v[68:69]
	v_add_f64 v[70:71], v[70:71], v[20:21]
	;; [unrolled: 1-line block ×3, first 2 shown]
	s_waitcnt lgkmcnt(0)
	v_mul_f64 v[96:97], v[56:57], v[44:45]
	v_add_f64 v[78:79], v[78:79], v[18:19]
	v_add_f64 v[58:59], v[14:15], v[58:59]
	v_mul_f64 v[44:45], v[54:55], v[44:45]
	v_mul_f64 v[100:101], v[56:57], v[48:49]
	;; [unrolled: 1-line block ×3, first 2 shown]
	v_fma_f64 v[60:61], v[52:53], v[98:99], v[60:61]
	v_fma_f64 v[50:51], v[50:51], v[102:103], -v[74:75]
	v_add_f64 v[74:75], v[84:85], v[12:13]
	v_add_f64 v[8:9], v[8:9], v[86:87]
	v_fma_f64 v[52:53], v[52:53], v[102:103], v[76:77]
	v_add_f64 v[66:67], v[88:89], v[66:67]
	ds_read_b128 v[4:7], v26 offset:96
	ds_read_b128 v[12:15], v25 offset:3072
	;; [unrolled: 1-line block ×4, first 2 shown]
	v_fma_f64 v[76:77], v[38:39], v[42:43], -v[80:81]
	v_fma_f64 v[64:65], v[38:39], v[46:47], -v[64:65]
	v_fma_f64 v[80:81], v[40:41], v[46:47], v[94:95]
	v_add_f64 v[68:69], v[68:69], v[90:91]
	v_add_f64 v[70:71], v[92:93], v[70:71]
	;; [unrolled: 1-line block ×5, first 2 shown]
	v_fma_f64 v[62:63], v[40:41], v[42:43], v[82:83]
	v_fma_f64 v[82:83], v[54:55], v[42:43], -v[96:97]
	v_fma_f64 v[84:85], v[56:57], v[42:43], v[44:45]
	v_fma_f64 v[54:55], v[54:55], v[46:47], -v[100:101]
	v_fma_f64 v[56:57], v[56:57], v[46:47], v[48:49]
	v_add_f64 v[60:61], v[60:61], v[74:75]
	v_add_f64 v[8:9], v[8:9], v[50:51]
	s_waitcnt lgkmcnt(2)
	v_mul_f64 v[50:51], v[6:7], v[14:15]
	v_mul_f64 v[74:75], v[4:5], v[14:15]
	s_waitcnt lgkmcnt(1)
	v_mul_f64 v[86:87], v[6:7], v[18:19]
	v_mul_f64 v[88:89], v[4:5], v[18:19]
	;; [unrolled: 3-line block ×3, first 2 shown]
	v_mul_f64 v[92:93], v[22:23], v[18:19]
	v_add_f64 v[52:53], v[52:53], v[66:67]
	v_mul_f64 v[18:19], v[20:21], v[18:19]
	ds_read_b128 v[34:37], v26 offset:112
	ds_read_b128 v[38:41], v26 offset:2160
	;; [unrolled: 1-line block ×4, first 2 shown]
	v_add_f64 v[66:67], v[68:69], v[76:77]
	v_add_f64 v[64:65], v[72:73], v[64:65]
	;; [unrolled: 1-line block ×5, first 2 shown]
	s_waitcnt lgkmcnt(0)
	s_barrier
	buffer_gl0_inv
	v_add_f64 v[60:61], v[84:85], v[60:61]
	v_add_f64 v[8:9], v[8:9], v[54:55]
	v_fma_f64 v[50:51], v[4:5], v[12:13], -v[50:51]
	v_fma_f64 v[54:55], v[6:7], v[12:13], v[74:75]
	v_fma_f64 v[4:5], v[4:5], v[16:17], -v[86:87]
	v_fma_f64 v[6:7], v[6:7], v[16:17], v[88:89]
	;; [unrolled: 2-line block ×3, first 2 shown]
	v_fma_f64 v[14:15], v[20:21], v[16:17], -v[92:93]
	v_add_f64 v[20:21], v[56:57], v[52:53]
	v_fma_f64 v[16:17], v[22:23], v[16:17], v[18:19]
	v_mul_f64 v[18:19], v[36:37], v[44:45]
	v_mul_f64 v[22:23], v[34:35], v[44:45]
	;; [unrolled: 1-line block ×8, first 2 shown]
	v_add_f64 v[50:51], v[66:67], v[50:51]
	v_add_f64 v[54:55], v[54:55], v[62:63]
	;; [unrolled: 1-line block ×8, first 2 shown]
	v_fma_f64 v[14:15], v[34:35], v[42:43], -v[18:19]
	v_fma_f64 v[16:17], v[36:37], v[42:43], v[22:23]
	v_fma_f64 v[18:19], v[34:35], v[46:47], -v[52:53]
	v_fma_f64 v[34:35], v[36:37], v[46:47], v[56:57]
	;; [unrolled: 2-line block ×4, first 2 shown]
	v_add_f64 v[20:21], v[50:51], v[14:15]
	v_add_f64 v[22:23], v[16:17], v[54:55]
	;; [unrolled: 1-line block ×8, first 2 shown]
	s_cbranch_vccz .LBB550_17
.LBB550_7:                              ; =>This Inner Loop Header: Depth=1
	s_mov_b32 s15, s9
	s_mov_b32 s11, 0
	s_and_saveexec_b32 s14, s0
	s_cbranch_execnz .LBB550_15
; %bb.8:                                ;   in Loop: Header=BB550_7 Depth=1
	s_or_b32 exec_lo, exec_lo, s14
	s_and_saveexec_b32 s14, s15
	s_xor_b32 s14, exec_lo, s14
	s_cbranch_execnz .LBB550_16
.LBB550_9:                              ;   in Loop: Header=BB550_7 Depth=1
	s_or_b32 exec_lo, exec_lo, s14
	s_and_saveexec_b32 s14, s11
	s_cbranch_execz .LBB550_11
.LBB550_10:                             ;   in Loop: Header=BB550_7 Depth=1
	v_mul_lo_u32 v2, s19, v10
	v_mul_lo_u32 v34, s18, v11
	v_mad_u64_u32 v[4:5], null, s18, v10, 0
	v_add3_u32 v5, v5, v34, v2
	v_lshlrev_b64 v[4:5], 4, v[4:5]
	v_add_co_u32 v4, vcc_lo, v32, v4
	v_add_co_ci_u32_e64 v5, null, v33, v5, vcc_lo
	flat_load_dwordx4 v[34:37], v[4:5]
	s_waitcnt vmcnt(0) lgkmcnt(0)
	ds_write2_b64 v28, v[34:35], v[36:37] offset1:1
.LBB550_11:                             ;   in Loop: Header=BB550_7 Depth=1
	s_or_b32 exec_lo, exec_lo, s14
	v_add_nc_u32_e32 v2, s4, v24
	v_cmp_le_u64_e32 vcc_lo, s[12:13], v[2:3]
	s_or_b32 s11, vcc_lo, s1
	s_and_saveexec_b32 s14, s11
	s_xor_b32 s11, exec_lo, s14
	s_cbranch_execz .LBB550_13
; %bb.12:                               ;   in Loop: Header=BB550_7 Depth=1
	v_mov_b32_e32 v2, v3
	v_mov_b32_e32 v4, v3
	v_mov_b32_e32 v5, v3
	ds_write_b128 v29, v[2:5]
.LBB550_13:                             ;   in Loop: Header=BB550_7 Depth=1
	s_andn2_saveexec_b32 s11, s11
	s_cbranch_execz .LBB550_6
; %bb.14:                               ;   in Loop: Header=BB550_7 Depth=1
	v_mad_u64_u32 v[4:5], null, s24, v2, 0
	v_mad_u64_u32 v[34:35], null, s25, v2, v[5:6]
	v_mov_b32_e32 v5, v34
	v_lshlrev_b64 v[4:5], 4, v[4:5]
	v_add_co_u32 v4, vcc_lo, v30, v4
	v_add_co_ci_u32_e64 v5, null, v31, v5, vcc_lo
	flat_load_dwordx4 v[34:37], v[4:5]
	s_waitcnt vmcnt(0) lgkmcnt(0)
	ds_write2_b64 v29, v[34:35], v[36:37] offset1:1
	s_branch .LBB550_6
.LBB550_15:                             ;   in Loop: Header=BB550_7 Depth=1
	v_add_nc_u32_e32 v2, s4, v27
	v_mov_b32_e32 v11, v3
	s_andn2_b32 s15, s9, exec_lo
	s_mov_b32 s11, exec_lo
	v_cmp_le_u64_e32 vcc_lo, s[12:13], v[2:3]
	v_mov_b32_e32 v10, v2
	s_and_b32 s16, vcc_lo, exec_lo
	s_or_b32 s15, s15, s16
	s_or_b32 exec_lo, exec_lo, s14
	s_and_saveexec_b32 s14, s15
	s_xor_b32 s14, exec_lo, s14
	s_cbranch_execz .LBB550_9
.LBB550_16:                             ;   in Loop: Header=BB550_7 Depth=1
	v_mov_b32_e32 v2, v3
	v_mov_b32_e32 v4, v3
	;; [unrolled: 1-line block ×3, first 2 shown]
	s_andn2_b32 s11, s11, exec_lo
	ds_write_b128 v28, v[2:5]
	s_or_b32 exec_lo, exec_lo, s14
	s_and_saveexec_b32 s14, s11
	s_cbranch_execnz .LBB550_10
	s_branch .LBB550_11
.LBB550_17:
	v_add_nc_u32_e32 v25, s7, v1
	v_cmp_neq_f64_e64 s5, s[28:29], 0
	s_lshl_b64 s[0:1], s[42:43], 4
	s_waitcnt lgkmcnt(0)
	s_add_u32 s4, s2, s0
	v_ashrrev_i32_e32 v3, 31, v25
	v_mul_lo_u32 v4, s41, v25
	v_mad_u64_u32 v[1:2], null, s40, v25, 0
	s_addc_u32 s3, s3, s1
	v_mul_lo_u32 v3, s40, v3
	s_xor_b32 s2, s10, -1
	v_add3_u32 v2, v2, v3, v4
	v_add_nc_u32_e32 v4, s6, v0
	s_or_b32 s2, s5, s2
	v_lshlrev_b64 v[0:1], 4, v[1:2]
	v_cmp_le_i32_e32 vcc_lo, v25, v4
	v_cmp_gt_i32_e64 s0, s8, v4
	v_ashrrev_i32_e32 v5, 31, v4
	v_cndmask_b32_e64 v24, 0, 1, s2
	v_add_co_u32 v26, s1, s4, v0
	v_add_co_ci_u32_e64 v27, null, s3, v1, s1
	s_and_b32 s5, vcc_lo, s0
	s_and_saveexec_b32 s1, s5
	s_cbranch_execz .LBB550_21
; %bb.18:
	v_mul_f64 v[0:1], s[46:47], v[22:23]
	v_mul_f64 v[2:3], s[44:45], v[22:23]
	v_lshlrev_b64 v[10:11], 4, v[4:5]
	v_add_co_u32 v10, vcc_lo, v26, v10
	v_add_co_ci_u32_e64 v11, null, v27, v11, vcc_lo
	s_andn2_b32 vcc_lo, exec_lo, s2
	v_fma_f64 v[0:1], s[44:45], v[20:21], -v[0:1]
	v_fma_f64 v[2:3], s[46:47], v[20:21], v[2:3]
	s_cbranch_vccnz .LBB550_20
; %bb.19:
	flat_load_dwordx4 v[20:23], v[10:11]
	s_waitcnt vmcnt(0) lgkmcnt(0)
	v_mul_f64 v[28:29], s[30:31], v[22:23]
	v_mul_f64 v[22:23], s[28:29], v[22:23]
	v_fma_f64 v[28:29], s[28:29], v[20:21], -v[28:29]
	v_fma_f64 v[20:21], s[30:31], v[20:21], v[22:23]
	v_add_f64 v[0:1], v[0:1], v[28:29]
	v_add_f64 v[2:3], v[2:3], v[20:21]
.LBB550_20:
	flat_store_dwordx4 v[10:11], v[0:3]
.LBB550_21:
	s_or_b32 exec_lo, exec_lo, s1
	v_add_nc_u32_e32 v10, 16, v4
	v_cmp_le_i32_e32 vcc_lo, v25, v10
	v_cmp_gt_i32_e64 s1, s8, v10
	v_ashrrev_i32_e32 v11, 31, v10
	s_and_b32 s2, vcc_lo, s1
	s_and_saveexec_b32 s5, s2
	s_cbranch_execz .LBB550_25
; %bb.22:
	v_mul_f64 v[0:1], s[46:47], v[18:19]
	v_mul_f64 v[2:3], s[44:45], v[18:19]
	v_cmp_ne_u32_e32 vcc_lo, 1, v24
	s_and_b32 vcc_lo, exec_lo, vcc_lo
	v_fma_f64 v[0:1], s[44:45], v[16:17], -v[0:1]
	v_fma_f64 v[2:3], s[46:47], v[16:17], v[2:3]
	v_lshlrev_b64 v[16:17], 4, v[10:11]
	v_add_co_u32 v16, s2, v26, v16
	v_add_co_ci_u32_e64 v17, null, v27, v17, s2
	s_cbranch_vccnz .LBB550_24
; %bb.23:
	flat_load_dwordx4 v[18:21], v[16:17]
	s_waitcnt vmcnt(0) lgkmcnt(0)
	v_mul_f64 v[22:23], s[30:31], v[20:21]
	v_mul_f64 v[20:21], s[28:29], v[20:21]
	v_fma_f64 v[22:23], s[28:29], v[18:19], -v[22:23]
	v_fma_f64 v[18:19], s[30:31], v[18:19], v[20:21]
	v_add_f64 v[0:1], v[0:1], v[22:23]
	v_add_f64 v[2:3], v[2:3], v[18:19]
.LBB550_24:
	flat_store_dwordx4 v[16:17], v[0:3]
.LBB550_25:
	s_or_b32 exec_lo, exec_lo, s5
	v_add_nc_u32_e32 v18, 16, v25
	v_ashrrev_i32_e32 v2, 31, v18
	v_mul_lo_u32 v3, s41, v18
	v_mad_u64_u32 v[0:1], null, s40, v18, 0
	v_cmp_le_i32_e32 vcc_lo, v18, v4
	v_mul_lo_u32 v2, s40, v2
	s_and_b32 s0, vcc_lo, s0
	v_add3_u32 v1, v1, v2, v3
	v_lshlrev_b64 v[0:1], 4, v[0:1]
	v_add_co_u32 v16, s2, s4, v0
	v_add_co_ci_u32_e64 v17, null, s3, v1, s2
	s_and_saveexec_b32 s2, s0
	s_cbranch_execz .LBB550_29
; %bb.26:
	v_mul_f64 v[0:1], s[46:47], v[12:13]
	v_mul_f64 v[2:3], s[44:45], v[12:13]
	v_lshlrev_b64 v[4:5], 4, v[4:5]
	v_cmp_ne_u32_e32 vcc_lo, 1, v24
	s_and_b32 vcc_lo, exec_lo, vcc_lo
	v_add_co_u32 v4, s0, v16, v4
	v_add_co_ci_u32_e64 v5, null, v17, v5, s0
	v_fma_f64 v[0:1], s[44:45], v[14:15], -v[0:1]
	v_fma_f64 v[2:3], s[46:47], v[14:15], v[2:3]
	s_cbranch_vccnz .LBB550_28
; %bb.27:
	flat_load_dwordx4 v[12:15], v[4:5]
	s_waitcnt vmcnt(0) lgkmcnt(0)
	v_mul_f64 v[19:20], s[30:31], v[14:15]
	v_mul_f64 v[14:15], s[28:29], v[14:15]
	v_fma_f64 v[19:20], s[28:29], v[12:13], -v[19:20]
	v_fma_f64 v[12:13], s[30:31], v[12:13], v[14:15]
	v_add_f64 v[0:1], v[0:1], v[19:20]
	v_add_f64 v[2:3], v[2:3], v[12:13]
.LBB550_28:
	flat_store_dwordx4 v[4:5], v[0:3]
.LBB550_29:
	s_or_b32 exec_lo, exec_lo, s2
	v_cmp_le_i32_e32 vcc_lo, v18, v10
	s_and_b32 s0, vcc_lo, s1
	s_and_saveexec_b32 s1, s0
	s_cbranch_execz .LBB550_34
; %bb.30:
	v_mul_f64 v[0:1], s[46:47], v[6:7]
	v_mul_f64 v[2:3], s[44:45], v[6:7]
	v_lshlrev_b64 v[4:5], 4, v[10:11]
	v_cmp_ne_u32_e32 vcc_lo, 1, v24
	s_and_b32 vcc_lo, exec_lo, vcc_lo
	v_add_co_u32 v4, s0, v16, v4
	v_add_co_ci_u32_e64 v5, null, v17, v5, s0
	v_fma_f64 v[0:1], s[44:45], v[8:9], -v[0:1]
	v_fma_f64 v[2:3], s[46:47], v[8:9], v[2:3]
	s_cbranch_vccnz .LBB550_32
; %bb.31:
	flat_load_dwordx4 v[6:9], v[4:5]
	s_waitcnt vmcnt(0) lgkmcnt(0)
	v_mul_f64 v[10:11], s[30:31], v[8:9]
	v_mul_f64 v[8:9], s[28:29], v[8:9]
	v_fma_f64 v[10:11], s[28:29], v[6:7], -v[10:11]
	v_fma_f64 v[6:7], s[30:31], v[6:7], v[8:9]
	v_add_f64 v[0:1], v[0:1], v[10:11]
	v_add_f64 v[2:3], v[2:3], v[6:7]
.LBB550_32:
	flat_store_dwordx4 v[4:5], v[0:3]
	s_endpgm
.LBB550_33:
.LBB550_34:
	s_endpgm
	.section	.rodata,"a",@progbits
	.p2align	6, 0x0
	.amdhsa_kernel _ZL29rocblas_internal_gemmt_kernelIlLi16ELi32ELi8ELc78ELc84ELc76ELb0ELb0E19rocblas_complex_numIdEPKS1_PKS3_PKPS1_EviT_T9_T10_S9_lSB_S9_lSA_T11_S9_li
		.amdhsa_group_segment_fixed_size 8192
		.amdhsa_private_segment_fixed_size 0
		.amdhsa_kernarg_size 108
		.amdhsa_user_sgpr_count 6
		.amdhsa_user_sgpr_private_segment_buffer 1
		.amdhsa_user_sgpr_dispatch_ptr 0
		.amdhsa_user_sgpr_queue_ptr 0
		.amdhsa_user_sgpr_kernarg_segment_ptr 1
		.amdhsa_user_sgpr_dispatch_id 0
		.amdhsa_user_sgpr_flat_scratch_init 0
		.amdhsa_user_sgpr_private_segment_size 0
		.amdhsa_wavefront_size32 1
		.amdhsa_uses_dynamic_stack 0
		.amdhsa_system_sgpr_private_segment_wavefront_offset 0
		.amdhsa_system_sgpr_workgroup_id_x 1
		.amdhsa_system_sgpr_workgroup_id_y 1
		.amdhsa_system_sgpr_workgroup_id_z 1
		.amdhsa_system_sgpr_workgroup_info 0
		.amdhsa_system_vgpr_workitem_id 1
		.amdhsa_next_free_vgpr 142
		.amdhsa_next_free_sgpr 48
		.amdhsa_reserve_vcc 1
		.amdhsa_reserve_flat_scratch 0
		.amdhsa_float_round_mode_32 0
		.amdhsa_float_round_mode_16_64 0
		.amdhsa_float_denorm_mode_32 3
		.amdhsa_float_denorm_mode_16_64 3
		.amdhsa_dx10_clamp 1
		.amdhsa_ieee_mode 1
		.amdhsa_fp16_overflow 0
		.amdhsa_workgroup_processor_mode 1
		.amdhsa_memory_ordered 1
		.amdhsa_forward_progress 1
		.amdhsa_shared_vgpr_count 0
		.amdhsa_exception_fp_ieee_invalid_op 0
		.amdhsa_exception_fp_denorm_src 0
		.amdhsa_exception_fp_ieee_div_zero 0
		.amdhsa_exception_fp_ieee_overflow 0
		.amdhsa_exception_fp_ieee_underflow 0
		.amdhsa_exception_fp_ieee_inexact 0
		.amdhsa_exception_int_div_zero 0
	.end_amdhsa_kernel
	.section	.text._ZL29rocblas_internal_gemmt_kernelIlLi16ELi32ELi8ELc78ELc84ELc76ELb0ELb0E19rocblas_complex_numIdEPKS1_PKS3_PKPS1_EviT_T9_T10_S9_lSB_S9_lSA_T11_S9_li,"axG",@progbits,_ZL29rocblas_internal_gemmt_kernelIlLi16ELi32ELi8ELc78ELc84ELc76ELb0ELb0E19rocblas_complex_numIdEPKS1_PKS3_PKPS1_EviT_T9_T10_S9_lSB_S9_lSA_T11_S9_li,comdat
.Lfunc_end550:
	.size	_ZL29rocblas_internal_gemmt_kernelIlLi16ELi32ELi8ELc78ELc84ELc76ELb0ELb0E19rocblas_complex_numIdEPKS1_PKS3_PKPS1_EviT_T9_T10_S9_lSB_S9_lSA_T11_S9_li, .Lfunc_end550-_ZL29rocblas_internal_gemmt_kernelIlLi16ELi32ELi8ELc78ELc84ELc76ELb0ELb0E19rocblas_complex_numIdEPKS1_PKS3_PKPS1_EviT_T9_T10_S9_lSB_S9_lSA_T11_S9_li
                                        ; -- End function
	.set _ZL29rocblas_internal_gemmt_kernelIlLi16ELi32ELi8ELc78ELc84ELc76ELb0ELb0E19rocblas_complex_numIdEPKS1_PKS3_PKPS1_EviT_T9_T10_S9_lSB_S9_lSA_T11_S9_li.num_vgpr, 142
	.set _ZL29rocblas_internal_gemmt_kernelIlLi16ELi32ELi8ELc78ELc84ELc76ELb0ELb0E19rocblas_complex_numIdEPKS1_PKS3_PKPS1_EviT_T9_T10_S9_lSB_S9_lSA_T11_S9_li.num_agpr, 0
	.set _ZL29rocblas_internal_gemmt_kernelIlLi16ELi32ELi8ELc78ELc84ELc76ELb0ELb0E19rocblas_complex_numIdEPKS1_PKS3_PKPS1_EviT_T9_T10_S9_lSB_S9_lSA_T11_S9_li.numbered_sgpr, 48
	.set _ZL29rocblas_internal_gemmt_kernelIlLi16ELi32ELi8ELc78ELc84ELc76ELb0ELb0E19rocblas_complex_numIdEPKS1_PKS3_PKPS1_EviT_T9_T10_S9_lSB_S9_lSA_T11_S9_li.num_named_barrier, 0
	.set _ZL29rocblas_internal_gemmt_kernelIlLi16ELi32ELi8ELc78ELc84ELc76ELb0ELb0E19rocblas_complex_numIdEPKS1_PKS3_PKPS1_EviT_T9_T10_S9_lSB_S9_lSA_T11_S9_li.private_seg_size, 0
	.set _ZL29rocblas_internal_gemmt_kernelIlLi16ELi32ELi8ELc78ELc84ELc76ELb0ELb0E19rocblas_complex_numIdEPKS1_PKS3_PKPS1_EviT_T9_T10_S9_lSB_S9_lSA_T11_S9_li.uses_vcc, 1
	.set _ZL29rocblas_internal_gemmt_kernelIlLi16ELi32ELi8ELc78ELc84ELc76ELb0ELb0E19rocblas_complex_numIdEPKS1_PKS3_PKPS1_EviT_T9_T10_S9_lSB_S9_lSA_T11_S9_li.uses_flat_scratch, 0
	.set _ZL29rocblas_internal_gemmt_kernelIlLi16ELi32ELi8ELc78ELc84ELc76ELb0ELb0E19rocblas_complex_numIdEPKS1_PKS3_PKPS1_EviT_T9_T10_S9_lSB_S9_lSA_T11_S9_li.has_dyn_sized_stack, 0
	.set _ZL29rocblas_internal_gemmt_kernelIlLi16ELi32ELi8ELc78ELc84ELc76ELb0ELb0E19rocblas_complex_numIdEPKS1_PKS3_PKPS1_EviT_T9_T10_S9_lSB_S9_lSA_T11_S9_li.has_recursion, 0
	.set _ZL29rocblas_internal_gemmt_kernelIlLi16ELi32ELi8ELc78ELc84ELc76ELb0ELb0E19rocblas_complex_numIdEPKS1_PKS3_PKPS1_EviT_T9_T10_S9_lSB_S9_lSA_T11_S9_li.has_indirect_call, 0
	.section	.AMDGPU.csdata,"",@progbits
; Kernel info:
; codeLenInByte = 3632
; TotalNumSgprs: 50
; NumVgprs: 142
; ScratchSize: 0
; MemoryBound: 0
; FloatMode: 240
; IeeeMode: 1
; LDSByteSize: 8192 bytes/workgroup (compile time only)
; SGPRBlocks: 0
; VGPRBlocks: 17
; NumSGPRsForWavesPerEU: 50
; NumVGPRsForWavesPerEU: 142
; Occupancy: 7
; WaveLimiterHint : 1
; COMPUTE_PGM_RSRC2:SCRATCH_EN: 0
; COMPUTE_PGM_RSRC2:USER_SGPR: 6
; COMPUTE_PGM_RSRC2:TRAP_HANDLER: 0
; COMPUTE_PGM_RSRC2:TGID_X_EN: 1
; COMPUTE_PGM_RSRC2:TGID_Y_EN: 1
; COMPUTE_PGM_RSRC2:TGID_Z_EN: 1
; COMPUTE_PGM_RSRC2:TIDIG_COMP_CNT: 1
	.section	.text._ZL29rocblas_internal_gemmt_kernelIlLi16ELi32ELi8ELc78ELc67ELc76ELb0ELb1E19rocblas_complex_numIdEPKS1_PKS3_PKPS1_EviT_T9_T10_S9_lSB_S9_lSA_T11_S9_li,"axG",@progbits,_ZL29rocblas_internal_gemmt_kernelIlLi16ELi32ELi8ELc78ELc67ELc76ELb0ELb1E19rocblas_complex_numIdEPKS1_PKS3_PKPS1_EviT_T9_T10_S9_lSB_S9_lSA_T11_S9_li,comdat
	.globl	_ZL29rocblas_internal_gemmt_kernelIlLi16ELi32ELi8ELc78ELc67ELc76ELb0ELb1E19rocblas_complex_numIdEPKS1_PKS3_PKPS1_EviT_T9_T10_S9_lSB_S9_lSA_T11_S9_li ; -- Begin function _ZL29rocblas_internal_gemmt_kernelIlLi16ELi32ELi8ELc78ELc67ELc76ELb0ELb1E19rocblas_complex_numIdEPKS1_PKS3_PKPS1_EviT_T9_T10_S9_lSB_S9_lSA_T11_S9_li
	.p2align	8
	.type	_ZL29rocblas_internal_gemmt_kernelIlLi16ELi32ELi8ELc78ELc67ELc76ELb0ELb1E19rocblas_complex_numIdEPKS1_PKS3_PKPS1_EviT_T9_T10_S9_lSB_S9_lSA_T11_S9_li,@function
_ZL29rocblas_internal_gemmt_kernelIlLi16ELi32ELi8ELc78ELc67ELc76ELb0ELb1E19rocblas_complex_numIdEPKS1_PKS3_PKPS1_EviT_T9_T10_S9_lSB_S9_lSA_T11_S9_li: ; @_ZL29rocblas_internal_gemmt_kernelIlLi16ELi32ELi8ELc78ELc67ELc76ELb0ELb1E19rocblas_complex_numIdEPKS1_PKS3_PKPS1_EviT_T9_T10_S9_lSB_S9_lSA_T11_S9_li
; %bb.0:
	s_load_dwordx8 s[36:43], s[4:5], 0x48
	s_waitcnt lgkmcnt(0)
	s_load_dwordx4 s[28:31], s[36:37], 0x0
	s_load_dwordx16 s[12:27], s[4:5], 0x8
	s_waitcnt lgkmcnt(0)
	v_cmp_eq_f64_e64 s0, s[28:29], 1.0
	v_cmp_eq_f64_e64 s10, s[30:31], 0
	s_load_dwordx4 s[44:47], s[14:15], 0x0
	s_and_b32 s0, s0, s10
	s_andn2_b32 vcc_lo, exec_lo, s0
	s_mov_b32 s0, -1
	s_cbranch_vccnz .LBB551_3
; %bb.1:
	s_cmp_lg_u64 s[12:13], 0
	s_cbranch_scc0 .LBB551_31
; %bb.2:
	s_waitcnt lgkmcnt(0)
	v_cmp_neq_f64_e64 s0, s[44:45], 0
	v_cmp_neq_f64_e64 s1, s[46:47], 0
	s_or_b32 s0, s0, s1
.LBB551_3:
	s_and_b32 vcc_lo, exec_lo, s0
	s_cbranch_vccz .LBB551_32
; %bb.4:
	s_waitcnt lgkmcnt(0)
	v_cmp_eq_f64_e64 s11, s[44:45], 0
	v_cmp_eq_f64_e64 s14, s[46:47], 0
	s_mov_b32 s9, 0
	v_mov_b32_e32 v22, 0
	s_lshl_b64 s[0:1], s[8:9], 3
	v_mov_b32_e32 v24, 0
	s_add_u32 s2, s38, s0
	s_addc_u32 s3, s39, s1
	s_load_dword s8, s[4:5], 0x0
	s_load_dwordx2 s[2:3], s[2:3], 0x0
	v_cmp_lt_i64_e64 s4, s[12:13], 1
	v_mov_b32_e32 v18, 0
	v_mov_b32_e32 v20, 0
	v_mov_b32_e32 v14, 0
	v_mov_b32_e32 v16, 0
	v_mov_b32_e32 v12, 0
	v_mov_b32_e32 v10, 0
	v_mov_b32_e32 v23, 0
	v_mov_b32_e32 v25, 0
	v_mov_b32_e32 v19, 0
	v_mov_b32_e32 v21, 0
	v_mov_b32_e32 v15, 0
	v_mov_b32_e32 v17, 0
	v_mov_b32_e32 v13, 0
	s_and_b32 s5, s11, s14
	v_mov_b32_e32 v11, 0
	s_or_b32 s4, s5, s4
	s_lshl_b32 s6, s6, 5
	s_and_b32 vcc_lo, exec_lo, s4
	s_lshl_b32 s7, s7, 5
	s_cbranch_vccnz .LBB551_15
; %bb.5:
	s_add_u32 s4, s22, s0
	s_addc_u32 s5, s23, s1
	s_lshl_b64 s[14:15], s[26:27], 4
	s_load_dwordx2 s[4:5], s[4:5], 0x0
	v_lshl_add_u32 v3, v1, 4, v0
	v_and_b32_e32 v26, 7, v0
	v_mov_b32_e32 v10, 0
	v_mov_b32_e32 v12, 0
	v_mov_b32_e32 v16, 0
	v_lshrrev_b32_e32 v5, 3, v3
	v_and_b32_e32 v6, 31, v3
	v_lshlrev_b32_e32 v7, 4, v26
	v_lshrrev_b32_e32 v29, 5, v3
	v_mov_b32_e32 v14, 0
	v_add_nc_u32_e32 v2, s7, v5
	v_or_b32_e32 v4, s6, v6
	v_lshlrev_b32_e32 v6, 4, v6
	v_lshl_or_b32 v8, v5, 7, v7
	v_mov_b32_e32 v20, 0
	v_ashrrev_i32_e32 v3, 31, v2
	v_ashrrev_i32_e32 v5, 31, v4
	v_lshl_or_b32 v30, v29, 9, v6
	v_mov_b32_e32 v18, 0
	s_waitcnt lgkmcnt(0)
	s_add_u32 s11, s4, s14
	s_addc_u32 s22, s5, s15
	s_add_u32 s0, s16, s0
	s_addc_u32 s1, s17, s1
	v_lshlrev_b64 v[6:7], 4, v[2:3]
	s_load_dwordx2 s[4:5], s[0:1], 0x0
	v_cmp_gt_i32_e64 s1, s8, v2
	v_lshlrev_b64 v[2:3], 4, v[4:5]
	s_lshl_b64 s[14:15], s[20:21], 4
	v_mov_b32_e32 v24, 0
	v_add_co_u32 v32, vcc_lo, s11, v6
	v_add_co_ci_u32_e64 v33, null, s22, v7, vcc_lo
	v_mov_b32_e32 v22, 0
	v_lshlrev_b32_e32 v27, 4, v0
	v_lshl_add_u32 v28, v1, 7, 0x1000
	v_mov_b32_e32 v11, 0
	v_mov_b32_e32 v13, 0
	;; [unrolled: 1-line block ×8, first 2 shown]
	s_waitcnt lgkmcnt(0)
	s_add_u32 s4, s4, s14
	s_addc_u32 s5, s5, s15
	v_add_co_u32 v34, vcc_lo, s4, v2
	v_cmp_gt_i32_e64 s0, s8, v4
	v_cmp_le_i32_e64 s9, s8, v4
	v_add_nc_u32_e32 v31, 0x1000, v8
	v_add_co_ci_u32_e64 v35, null, s5, v3, vcc_lo
	v_mov_b32_e32 v3, 0
	s_mov_b64 s[4:5], 0
                                        ; implicit-def: $vgpr8_vgpr9
	s_branch .LBB551_7
.LBB551_6:                              ;   in Loop: Header=BB551_7 Depth=1
	s_or_b32 exec_lo, exec_lo, s11
	ds_write_b128 v31, v[4:7]
	s_waitcnt lgkmcnt(0)
	s_barrier
	buffer_gl0_inv
	ds_read_b128 v[4:7], v28
	ds_read_b128 v[36:39], v27
	ds_read_b128 v[40:43], v27 offset:256
	ds_read_b128 v[44:47], v28 offset:2048
	;; [unrolled: 1-line block ×11, first 2 shown]
	s_add_u32 s4, s4, 8
	s_addc_u32 s5, s5, 0
	v_cmp_gt_i64_e64 s11, s[12:13], s[4:5]
	s_waitcnt lgkmcnt(11)
	v_mul_f64 v[84:85], v[6:7], v[38:39]
	v_mul_f64 v[86:87], v[4:5], v[38:39]
	s_waitcnt lgkmcnt(10)
	v_mul_f64 v[88:89], v[6:7], v[42:43]
	v_mul_f64 v[90:91], v[4:5], v[42:43]
	s_waitcnt lgkmcnt(9)
	v_mul_f64 v[92:93], v[46:47], v[38:39]
	v_mul_f64 v[38:39], v[44:45], v[38:39]
	v_mul_f64 v[94:95], v[46:47], v[42:43]
	v_mul_f64 v[42:43], v[44:45], v[42:43]
	s_waitcnt lgkmcnt(7)
	v_mul_f64 v[96:97], v[50:51], v[54:55]
	v_mul_f64 v[98:99], v[48:49], v[54:55]
	s_waitcnt lgkmcnt(6)
	v_mul_f64 v[100:101], v[50:51], v[58:59]
	s_waitcnt lgkmcnt(5)
	v_mul_f64 v[104:105], v[62:63], v[54:55]
	v_mul_f64 v[54:55], v[60:61], v[54:55]
	;; [unrolled: 1-line block ×5, first 2 shown]
	s_waitcnt lgkmcnt(3)
	v_mul_f64 v[108:109], v[70:71], v[66:67]
	v_mul_f64 v[110:111], v[68:69], v[66:67]
	s_and_b32 vcc_lo, exec_lo, s11
	v_fma_f64 v[84:85], v[4:5], v[36:37], -v[84:85]
	v_fma_f64 v[86:87], v[6:7], v[36:37], v[86:87]
	v_fma_f64 v[88:89], v[4:5], v[40:41], -v[88:89]
	v_fma_f64 v[90:91], v[6:7], v[40:41], v[90:91]
	;; [unrolled: 2-line block ×3, first 2 shown]
	v_fma_f64 v[94:95], v[44:45], v[40:41], -v[94:95]
	ds_read_b128 v[4:7], v27 offset:1536
	s_waitcnt lgkmcnt(3)
	v_mul_f64 v[112:113], v[70:71], v[74:75]
	v_mul_f64 v[114:115], v[68:69], v[74:75]
	v_fma_f64 v[118:119], v[46:47], v[40:41], v[42:43]
	v_fma_f64 v[96:97], v[48:49], v[52:53], -v[96:97]
	v_fma_f64 v[98:99], v[50:51], v[52:53], v[98:99]
	v_fma_f64 v[48:49], v[48:49], v[56:57], -v[100:101]
	s_waitcnt lgkmcnt(2)
	v_mul_f64 v[44:45], v[78:79], v[66:67]
	v_fma_f64 v[100:101], v[60:61], v[52:53], -v[104:105]
	v_fma_f64 v[52:53], v[62:63], v[52:53], v[54:55]
	v_mul_f64 v[46:47], v[76:77], v[66:67]
	v_mul_f64 v[54:55], v[78:79], v[74:75]
	v_mul_f64 v[66:67], v[76:77], v[74:75]
	v_fma_f64 v[50:51], v[50:51], v[56:57], v[102:103]
	v_fma_f64 v[60:61], v[60:61], v[56:57], -v[106:107]
	v_fma_f64 v[56:57], v[62:63], v[56:57], v[58:59]
	v_fma_f64 v[58:59], v[68:69], v[64:65], -v[108:109]
	v_fma_f64 v[62:63], v[70:71], v[64:65], v[110:111]
	v_add_f64 v[84:85], v[22:23], v[84:85]
	v_add_f64 v[86:87], v[86:87], v[24:25]
	;; [unrolled: 1-line block ×5, first 2 shown]
	v_fma_f64 v[68:69], v[68:69], v[72:73], -v[112:113]
	v_fma_f64 v[70:71], v[70:71], v[72:73], v[114:115]
	v_add_f64 v[106:107], v[116:117], v[16:17]
	ds_read_b128 v[36:39], v27 offset:1792
	ds_read_b128 v[40:43], v28 offset:2096
	s_waitcnt lgkmcnt(2)
	v_mul_f64 v[74:75], v[82:83], v[6:7]
	v_mul_f64 v[102:103], v[80:81], v[6:7]
	v_fma_f64 v[110:111], v[76:77], v[64:65], -v[44:45]
	ds_read_b128 v[14:17], v28 offset:64
	v_fma_f64 v[64:65], v[78:79], v[64:65], v[46:47]
	v_fma_f64 v[76:77], v[76:77], v[72:73], -v[54:55]
	v_fma_f64 v[66:67], v[78:79], v[72:73], v[66:67]
	v_add_f64 v[54:55], v[12:13], v[94:95]
	v_add_f64 v[72:73], v[118:119], v[10:11]
	ds_read_b128 v[18:21], v27 offset:2048
	ds_read_b128 v[22:25], v27 offset:2304
	;; [unrolled: 1-line block ×4, first 2 shown]
	v_add_f64 v[84:85], v[84:85], v[96:97]
	v_add_f64 v[86:87], v[98:99], v[86:87]
	;; [unrolled: 1-line block ×5, first 2 shown]
	s_waitcnt lgkmcnt(6)
	v_mul_f64 v[104:105], v[82:83], v[38:39]
	v_mul_f64 v[108:109], v[80:81], v[38:39]
	s_waitcnt lgkmcnt(5)
	v_mul_f64 v[112:113], v[42:43], v[6:7]
	v_mul_f64 v[6:7], v[40:41], v[6:7]
	v_add_f64 v[52:53], v[52:53], v[106:107]
	v_mul_f64 v[94:95], v[42:43], v[38:39]
	v_mul_f64 v[38:39], v[40:41], v[38:39]
	v_fma_f64 v[74:75], v[80:81], v[4:5], -v[74:75]
	v_fma_f64 v[78:79], v[82:83], v[4:5], v[102:103]
	ds_read_b128 v[48:51], v28 offset:2128
	s_waitcnt lgkmcnt(4)
	v_mul_f64 v[100:101], v[16:17], v[20:21]
	v_mul_f64 v[102:103], v[14:15], v[20:21]
	v_add_f64 v[60:61], v[54:55], v[60:61]
	v_add_f64 v[56:57], v[56:57], v[72:73]
	s_waitcnt lgkmcnt(3)
	v_mul_f64 v[106:107], v[14:15], v[24:25]
	s_waitcnt lgkmcnt(2)
	v_mul_f64 v[72:73], v[46:47], v[20:21]
	v_mul_f64 v[20:21], v[44:45], v[20:21]
	v_add_f64 v[58:59], v[84:85], v[58:59]
	v_add_f64 v[62:63], v[62:63], v[86:87]
	;; [unrolled: 1-line block ×5, first 2 shown]
	v_fma_f64 v[80:81], v[80:81], v[36:37], -v[104:105]
	v_fma_f64 v[82:83], v[82:83], v[36:37], v[108:109]
	v_fma_f64 v[96:97], v[40:41], v[4:5], -v[112:113]
	v_fma_f64 v[98:99], v[42:43], v[4:5], v[6:7]
	v_mul_f64 v[104:105], v[16:17], v[24:25]
	v_add_f64 v[64:65], v[64:65], v[52:53]
	v_mul_f64 v[86:87], v[46:47], v[24:25]
	v_mul_f64 v[24:25], v[44:45], v[24:25]
	v_fma_f64 v[40:41], v[40:41], v[36:37], -v[94:95]
	v_fma_f64 v[42:43], v[42:43], v[36:37], v[38:39]
	ds_read_b128 v[4:7], v28 offset:80
	ds_read_b128 v[52:55], v27 offset:2816
	v_add_f64 v[60:61], v[60:61], v[76:77]
	v_add_f64 v[56:57], v[66:67], v[56:57]
	v_fma_f64 v[90:91], v[14:15], v[18:19], -v[100:101]
	v_fma_f64 v[92:93], v[16:17], v[18:19], v[102:103]
	v_fma_f64 v[100:101], v[16:17], v[22:23], v[106:107]
	v_fma_f64 v[66:67], v[44:45], v[18:19], -v[72:73]
	v_add_f64 v[58:59], v[58:59], v[74:75]
	v_add_f64 v[62:63], v[78:79], v[62:63]
	v_fma_f64 v[72:73], v[46:47], v[18:19], v[20:21]
	v_add_f64 v[68:69], v[68:69], v[80:81]
	v_add_f64 v[70:71], v[82:83], v[70:71]
	;; [unrolled: 1-line block ×3, first 2 shown]
	s_waitcnt lgkmcnt(2)
	v_mul_f64 v[82:83], v[50:51], v[12:13]
	v_fma_f64 v[94:95], v[14:15], v[22:23], -v[104:105]
	v_add_f64 v[64:65], v[98:99], v[64:65]
	v_fma_f64 v[44:45], v[44:45], v[22:23], -v[86:87]
	v_fma_f64 v[46:47], v[46:47], v[22:23], v[24:25]
	s_waitcnt lgkmcnt(1)
	v_mul_f64 v[88:89], v[6:7], v[12:13]
	v_mul_f64 v[76:77], v[4:5], v[12:13]
	s_waitcnt lgkmcnt(0)
	v_mul_f64 v[78:79], v[6:7], v[54:55]
	v_mul_f64 v[80:81], v[4:5], v[54:55]
	;; [unrolled: 1-line block ×5, first 2 shown]
	v_add_f64 v[40:41], v[60:61], v[40:41]
	v_add_f64 v[42:43], v[42:43], v[56:57]
	ds_read_b128 v[14:17], v28 offset:96
	ds_read_b128 v[18:21], v27 offset:3072
	ds_read_b128 v[36:39], v27 offset:3328
	ds_read_b128 v[22:25], v28 offset:2144
	v_add_f64 v[56:57], v[58:59], v[90:91]
	v_add_f64 v[58:59], v[92:93], v[62:63]
	;; [unrolled: 1-line block ×3, first 2 shown]
	v_fma_f64 v[82:83], v[48:49], v[10:11], -v[82:83]
	v_add_f64 v[62:63], v[68:69], v[94:95]
	v_add_f64 v[68:69], v[100:101], v[70:71]
	;; [unrolled: 1-line block ×3, first 2 shown]
	v_fma_f64 v[60:61], v[4:5], v[10:11], -v[88:89]
	v_fma_f64 v[70:71], v[6:7], v[10:11], v[76:77]
	v_fma_f64 v[72:73], v[4:5], v[52:53], -v[78:79]
	v_fma_f64 v[74:75], v[6:7], v[52:53], v[80:81]
	ds_read_b128 v[4:7], v28 offset:112
	v_fma_f64 v[88:89], v[50:51], v[10:11], v[12:13]
	s_waitcnt lgkmcnt(3)
	v_mul_f64 v[76:77], v[16:17], v[20:21]
	v_mul_f64 v[78:79], v[14:15], v[20:21]
	s_waitcnt lgkmcnt(2)
	v_mul_f64 v[80:81], v[16:17], v[38:39]
	v_mul_f64 v[86:87], v[14:15], v[38:39]
	v_fma_f64 v[48:49], v[48:49], v[52:53], -v[84:85]
	v_fma_f64 v[50:51], v[50:51], v[52:53], v[54:55]
	v_add_f64 v[52:53], v[40:41], v[44:45]
	v_add_f64 v[46:47], v[46:47], v[42:43]
	s_waitcnt lgkmcnt(1)
	v_mul_f64 v[54:55], v[24:25], v[20:21]
	v_mul_f64 v[20:21], v[22:23], v[20:21]
	;; [unrolled: 1-line block ×4, first 2 shown]
	ds_read_b128 v[10:13], v28 offset:2160
	ds_read_b128 v[38:41], v27 offset:3584
	;; [unrolled: 1-line block ×3, first 2 shown]
	v_add_f64 v[66:67], v[66:67], v[82:83]
	s_waitcnt lgkmcnt(0)
	v_add_f64 v[56:57], v[56:57], v[60:61]
	v_add_f64 v[58:59], v[70:71], v[58:59]
	;; [unrolled: 1-line block ×4, first 2 shown]
	s_barrier
	v_add_f64 v[64:65], v[88:89], v[64:65]
	v_fma_f64 v[60:61], v[14:15], v[18:19], -v[76:77]
	v_fma_f64 v[70:71], v[16:17], v[18:19], v[78:79]
	v_fma_f64 v[14:15], v[14:15], v[36:37], -v[80:81]
	v_fma_f64 v[16:17], v[16:17], v[36:37], v[86:87]
	buffer_gl0_inv
	v_add_f64 v[48:49], v[52:53], v[48:49]
	v_add_f64 v[46:47], v[50:51], v[46:47]
	v_fma_f64 v[50:51], v[22:23], v[18:19], -v[54:55]
	v_fma_f64 v[18:19], v[24:25], v[18:19], v[20:21]
	v_fma_f64 v[20:21], v[22:23], v[36:37], -v[84:85]
	v_fma_f64 v[22:23], v[24:25], v[36:37], v[90:91]
	v_mul_f64 v[24:25], v[6:7], v[40:41]
	v_mul_f64 v[36:37], v[4:5], v[40:41]
	v_mul_f64 v[52:53], v[6:7], v[44:45]
	v_mul_f64 v[54:55], v[4:5], v[44:45]
	v_mul_f64 v[72:73], v[12:13], v[40:41]
	v_mul_f64 v[40:41], v[10:11], v[40:41]
	v_mul_f64 v[74:75], v[12:13], v[44:45]
	v_mul_f64 v[44:45], v[10:11], v[44:45]
	v_add_f64 v[56:57], v[56:57], v[60:61]
	v_add_f64 v[58:59], v[70:71], v[58:59]
	;; [unrolled: 1-line block ×8, first 2 shown]
	v_fma_f64 v[18:19], v[4:5], v[38:39], -v[24:25]
	v_fma_f64 v[20:21], v[6:7], v[38:39], v[36:37]
	v_fma_f64 v[4:5], v[4:5], v[42:43], -v[52:53]
	v_fma_f64 v[6:7], v[6:7], v[42:43], v[54:55]
	;; [unrolled: 2-line block ×4, first 2 shown]
	v_add_f64 v[22:23], v[56:57], v[18:19]
	v_add_f64 v[24:25], v[20:21], v[58:59]
	;; [unrolled: 1-line block ×8, first 2 shown]
	s_cbranch_vccz .LBB551_15
.LBB551_7:                              ; =>This Inner Loop Header: Depth=1
	s_mov_b32 s15, s9
	s_mov_b32 s11, 0
	s_and_saveexec_b32 s14, s0
	s_cbranch_execnz .LBB551_13
; %bb.8:                                ;   in Loop: Header=BB551_7 Depth=1
	s_or_b32 exec_lo, exec_lo, s14
	s_and_saveexec_b32 s14, s15
	s_xor_b32 s14, exec_lo, s14
	s_cbranch_execnz .LBB551_14
.LBB551_9:                              ;   in Loop: Header=BB551_7 Depth=1
	s_or_b32 exec_lo, exec_lo, s14
	s_and_saveexec_b32 s14, s11
	s_cbranch_execz .LBB551_11
.LBB551_10:                             ;   in Loop: Header=BB551_7 Depth=1
	v_mul_lo_u32 v2, s19, v8
	v_mul_lo_u32 v6, s18, v9
	v_mad_u64_u32 v[4:5], null, s18, v8, 0
	v_add3_u32 v5, v5, v6, v2
	v_lshlrev_b64 v[4:5], 4, v[4:5]
	v_add_co_u32 v4, vcc_lo, v34, v4
	v_add_co_ci_u32_e64 v5, null, v35, v5, vcc_lo
	flat_load_dwordx4 v[4:7], v[4:5]
	s_waitcnt vmcnt(0) lgkmcnt(0)
	ds_write2_b64 v30, v[4:5], v[6:7] offset1:1
.LBB551_11:                             ;   in Loop: Header=BB551_7 Depth=1
	s_or_b32 exec_lo, exec_lo, s14
	v_add_nc_u32_e32 v2, s4, v26
	v_mov_b32_e32 v4, 0
	v_mov_b32_e32 v6, 0
	;; [unrolled: 1-line block ×4, first 2 shown]
	v_cmp_gt_u64_e32 vcc_lo, s[12:13], v[2:3]
	s_and_b32 s14, vcc_lo, s1
	s_and_saveexec_b32 s11, s14
	s_cbranch_execz .LBB551_6
; %bb.12:                               ;   in Loop: Header=BB551_7 Depth=1
	v_mad_u64_u32 v[4:5], null, s24, v2, 0
	v_mad_u64_u32 v[5:6], null, s25, v2, v[5:6]
	v_lshlrev_b64 v[4:5], 4, v[4:5]
	v_add_co_u32 v4, vcc_lo, v32, v4
	v_add_co_ci_u32_e64 v5, null, v33, v5, vcc_lo
	flat_load_dwordx4 v[4:7], v[4:5]
	s_waitcnt vmcnt(0) lgkmcnt(0)
	v_xor_b32_e32 v7, 0x80000000, v7
	s_branch .LBB551_6
.LBB551_13:                             ;   in Loop: Header=BB551_7 Depth=1
	v_add_nc_u32_e32 v2, s4, v29
	v_mov_b32_e32 v9, v3
	s_andn2_b32 s15, s9, exec_lo
	s_mov_b32 s11, exec_lo
	v_cmp_le_u64_e32 vcc_lo, s[12:13], v[2:3]
	v_mov_b32_e32 v8, v2
	s_and_b32 s16, vcc_lo, exec_lo
	s_or_b32 s15, s15, s16
	s_or_b32 exec_lo, exec_lo, s14
	s_and_saveexec_b32 s14, s15
	s_xor_b32 s14, exec_lo, s14
	s_cbranch_execz .LBB551_9
.LBB551_14:                             ;   in Loop: Header=BB551_7 Depth=1
	v_mov_b32_e32 v2, v3
	v_mov_b32_e32 v4, v3
	;; [unrolled: 1-line block ×3, first 2 shown]
	s_andn2_b32 s11, s11, exec_lo
	ds_write_b128 v30, v[2:5]
	s_or_b32 exec_lo, exec_lo, s14
	s_and_saveexec_b32 s14, s11
	s_cbranch_execnz .LBB551_10
	s_branch .LBB551_11
.LBB551_15:
	v_add_nc_u32_e32 v27, s7, v1
	v_cmp_neq_f64_e64 s5, s[28:29], 0
	s_lshl_b64 s[0:1], s[42:43], 4
	s_waitcnt lgkmcnt(0)
	s_add_u32 s4, s2, s0
	v_ashrrev_i32_e32 v3, 31, v27
	v_mul_lo_u32 v4, s41, v27
	v_mad_u64_u32 v[1:2], null, s40, v27, 0
	s_addc_u32 s3, s3, s1
	v_mul_lo_u32 v3, s40, v3
	s_xor_b32 s2, s10, -1
	v_add3_u32 v2, v2, v3, v4
	v_add_nc_u32_e32 v4, s6, v0
	s_or_b32 s2, s5, s2
	v_lshlrev_b64 v[0:1], 4, v[1:2]
	v_cmp_le_i32_e32 vcc_lo, v27, v4
	v_cmp_gt_i32_e64 s0, s8, v4
	v_ashrrev_i32_e32 v5, 31, v4
	v_cndmask_b32_e64 v26, 0, 1, s2
	v_add_co_u32 v8, s1, s4, v0
	v_add_co_ci_u32_e64 v9, null, s3, v1, s1
	s_and_b32 s5, vcc_lo, s0
	s_and_saveexec_b32 s1, s5
	s_cbranch_execz .LBB551_19
; %bb.16:
	v_mul_f64 v[0:1], s[46:47], v[24:25]
	v_mul_f64 v[2:3], s[44:45], v[24:25]
	v_lshlrev_b64 v[6:7], 4, v[4:5]
	v_add_co_u32 v6, vcc_lo, v8, v6
	v_add_co_ci_u32_e64 v7, null, v9, v7, vcc_lo
	s_andn2_b32 vcc_lo, exec_lo, s2
	v_fma_f64 v[0:1], s[44:45], v[22:23], -v[0:1]
	v_fma_f64 v[2:3], s[46:47], v[22:23], v[2:3]
	s_cbranch_vccnz .LBB551_18
; %bb.17:
	flat_load_dwordx4 v[22:25], v[6:7]
	s_waitcnt vmcnt(0) lgkmcnt(0)
	v_mul_f64 v[28:29], s[30:31], v[24:25]
	v_mul_f64 v[24:25], s[28:29], v[24:25]
	v_fma_f64 v[28:29], s[28:29], v[22:23], -v[28:29]
	v_fma_f64 v[22:23], s[30:31], v[22:23], v[24:25]
	v_add_f64 v[0:1], v[0:1], v[28:29]
	v_add_f64 v[2:3], v[2:3], v[22:23]
.LBB551_18:
	flat_store_dwordx4 v[6:7], v[0:3]
.LBB551_19:
	s_or_b32 exec_lo, exec_lo, s1
	v_add_nc_u32_e32 v6, 16, v4
	v_cmp_le_i32_e32 vcc_lo, v27, v6
	v_cmp_gt_i32_e64 s1, s8, v6
	v_ashrrev_i32_e32 v7, 31, v6
	s_and_b32 s2, vcc_lo, s1
	s_and_saveexec_b32 s5, s2
	s_cbranch_execz .LBB551_23
; %bb.20:
	v_mul_f64 v[0:1], s[46:47], v[20:21]
	v_mul_f64 v[2:3], s[44:45], v[20:21]
	v_cmp_ne_u32_e32 vcc_lo, 1, v26
	s_and_b32 vcc_lo, exec_lo, vcc_lo
	v_fma_f64 v[0:1], s[44:45], v[18:19], -v[0:1]
	v_fma_f64 v[2:3], s[46:47], v[18:19], v[2:3]
	v_lshlrev_b64 v[18:19], 4, v[6:7]
	v_add_co_u32 v8, s2, v8, v18
	v_add_co_ci_u32_e64 v9, null, v9, v19, s2
	s_cbranch_vccnz .LBB551_22
; %bb.21:
	flat_load_dwordx4 v[18:21], v[8:9]
	s_waitcnt vmcnt(0) lgkmcnt(0)
	v_mul_f64 v[22:23], s[30:31], v[20:21]
	v_mul_f64 v[20:21], s[28:29], v[20:21]
	v_fma_f64 v[22:23], s[28:29], v[18:19], -v[22:23]
	v_fma_f64 v[18:19], s[30:31], v[18:19], v[20:21]
	v_add_f64 v[0:1], v[0:1], v[22:23]
	v_add_f64 v[2:3], v[2:3], v[18:19]
.LBB551_22:
	flat_store_dwordx4 v[8:9], v[0:3]
.LBB551_23:
	s_or_b32 exec_lo, exec_lo, s5
	v_add_nc_u32_e32 v18, 16, v27
	v_ashrrev_i32_e32 v2, 31, v18
	v_mul_lo_u32 v3, s41, v18
	v_mad_u64_u32 v[0:1], null, s40, v18, 0
	v_cmp_le_i32_e32 vcc_lo, v18, v4
	v_mul_lo_u32 v2, s40, v2
	s_and_b32 s0, vcc_lo, s0
	v_add3_u32 v1, v1, v2, v3
	v_lshlrev_b64 v[0:1], 4, v[0:1]
	v_add_co_u32 v8, s2, s4, v0
	v_add_co_ci_u32_e64 v9, null, s3, v1, s2
	s_and_saveexec_b32 s2, s0
	s_cbranch_execz .LBB551_27
; %bb.24:
	v_mul_f64 v[0:1], s[46:47], v[16:17]
	v_mul_f64 v[2:3], s[44:45], v[16:17]
	v_lshlrev_b64 v[4:5], 4, v[4:5]
	v_cmp_ne_u32_e32 vcc_lo, 1, v26
	s_and_b32 vcc_lo, exec_lo, vcc_lo
	v_add_co_u32 v4, s0, v8, v4
	v_add_co_ci_u32_e64 v5, null, v9, v5, s0
	v_fma_f64 v[0:1], s[44:45], v[14:15], -v[0:1]
	v_fma_f64 v[2:3], s[46:47], v[14:15], v[2:3]
	s_cbranch_vccnz .LBB551_26
; %bb.25:
	flat_load_dwordx4 v[14:17], v[4:5]
	s_waitcnt vmcnt(0) lgkmcnt(0)
	v_mul_f64 v[19:20], s[30:31], v[16:17]
	v_mul_f64 v[16:17], s[28:29], v[16:17]
	v_fma_f64 v[19:20], s[28:29], v[14:15], -v[19:20]
	v_fma_f64 v[14:15], s[30:31], v[14:15], v[16:17]
	v_add_f64 v[0:1], v[0:1], v[19:20]
	v_add_f64 v[2:3], v[2:3], v[14:15]
.LBB551_26:
	flat_store_dwordx4 v[4:5], v[0:3]
.LBB551_27:
	s_or_b32 exec_lo, exec_lo, s2
	v_cmp_le_i32_e32 vcc_lo, v18, v6
	s_and_b32 s0, vcc_lo, s1
	s_and_saveexec_b32 s1, s0
	s_cbranch_execz .LBB551_32
; %bb.28:
	v_mul_f64 v[0:1], s[46:47], v[10:11]
	v_mul_f64 v[2:3], s[44:45], v[10:11]
	v_lshlrev_b64 v[4:5], 4, v[6:7]
	v_cmp_ne_u32_e32 vcc_lo, 1, v26
	s_and_b32 vcc_lo, exec_lo, vcc_lo
	v_add_co_u32 v4, s0, v8, v4
	v_add_co_ci_u32_e64 v5, null, v9, v5, s0
	v_fma_f64 v[0:1], s[44:45], v[12:13], -v[0:1]
	v_fma_f64 v[2:3], s[46:47], v[12:13], v[2:3]
	s_cbranch_vccnz .LBB551_30
; %bb.29:
	flat_load_dwordx4 v[6:9], v[4:5]
	s_waitcnt vmcnt(0) lgkmcnt(0)
	v_mul_f64 v[10:11], s[30:31], v[8:9]
	v_mul_f64 v[8:9], s[28:29], v[8:9]
	v_fma_f64 v[10:11], s[28:29], v[6:7], -v[10:11]
	v_fma_f64 v[6:7], s[30:31], v[6:7], v[8:9]
	v_add_f64 v[0:1], v[0:1], v[10:11]
	v_add_f64 v[2:3], v[2:3], v[6:7]
.LBB551_30:
	flat_store_dwordx4 v[4:5], v[0:3]
	s_endpgm
.LBB551_31:
.LBB551_32:
	s_endpgm
	.section	.rodata,"a",@progbits
	.p2align	6, 0x0
	.amdhsa_kernel _ZL29rocblas_internal_gemmt_kernelIlLi16ELi32ELi8ELc78ELc67ELc76ELb0ELb1E19rocblas_complex_numIdEPKS1_PKS3_PKPS1_EviT_T9_T10_S9_lSB_S9_lSA_T11_S9_li
		.amdhsa_group_segment_fixed_size 8192
		.amdhsa_private_segment_fixed_size 0
		.amdhsa_kernarg_size 108
		.amdhsa_user_sgpr_count 6
		.amdhsa_user_sgpr_private_segment_buffer 1
		.amdhsa_user_sgpr_dispatch_ptr 0
		.amdhsa_user_sgpr_queue_ptr 0
		.amdhsa_user_sgpr_kernarg_segment_ptr 1
		.amdhsa_user_sgpr_dispatch_id 0
		.amdhsa_user_sgpr_flat_scratch_init 0
		.amdhsa_user_sgpr_private_segment_size 0
		.amdhsa_wavefront_size32 1
		.amdhsa_uses_dynamic_stack 0
		.amdhsa_system_sgpr_private_segment_wavefront_offset 0
		.amdhsa_system_sgpr_workgroup_id_x 1
		.amdhsa_system_sgpr_workgroup_id_y 1
		.amdhsa_system_sgpr_workgroup_id_z 1
		.amdhsa_system_sgpr_workgroup_info 0
		.amdhsa_system_vgpr_workitem_id 1
		.amdhsa_next_free_vgpr 120
		.amdhsa_next_free_sgpr 48
		.amdhsa_reserve_vcc 1
		.amdhsa_reserve_flat_scratch 0
		.amdhsa_float_round_mode_32 0
		.amdhsa_float_round_mode_16_64 0
		.amdhsa_float_denorm_mode_32 3
		.amdhsa_float_denorm_mode_16_64 3
		.amdhsa_dx10_clamp 1
		.amdhsa_ieee_mode 1
		.amdhsa_fp16_overflow 0
		.amdhsa_workgroup_processor_mode 1
		.amdhsa_memory_ordered 1
		.amdhsa_forward_progress 1
		.amdhsa_shared_vgpr_count 0
		.amdhsa_exception_fp_ieee_invalid_op 0
		.amdhsa_exception_fp_denorm_src 0
		.amdhsa_exception_fp_ieee_div_zero 0
		.amdhsa_exception_fp_ieee_overflow 0
		.amdhsa_exception_fp_ieee_underflow 0
		.amdhsa_exception_fp_ieee_inexact 0
		.amdhsa_exception_int_div_zero 0
	.end_amdhsa_kernel
	.section	.text._ZL29rocblas_internal_gemmt_kernelIlLi16ELi32ELi8ELc78ELc67ELc76ELb0ELb1E19rocblas_complex_numIdEPKS1_PKS3_PKPS1_EviT_T9_T10_S9_lSB_S9_lSA_T11_S9_li,"axG",@progbits,_ZL29rocblas_internal_gemmt_kernelIlLi16ELi32ELi8ELc78ELc67ELc76ELb0ELb1E19rocblas_complex_numIdEPKS1_PKS3_PKPS1_EviT_T9_T10_S9_lSB_S9_lSA_T11_S9_li,comdat
.Lfunc_end551:
	.size	_ZL29rocblas_internal_gemmt_kernelIlLi16ELi32ELi8ELc78ELc67ELc76ELb0ELb1E19rocblas_complex_numIdEPKS1_PKS3_PKPS1_EviT_T9_T10_S9_lSB_S9_lSA_T11_S9_li, .Lfunc_end551-_ZL29rocblas_internal_gemmt_kernelIlLi16ELi32ELi8ELc78ELc67ELc76ELb0ELb1E19rocblas_complex_numIdEPKS1_PKS3_PKPS1_EviT_T9_T10_S9_lSB_S9_lSA_T11_S9_li
                                        ; -- End function
	.set _ZL29rocblas_internal_gemmt_kernelIlLi16ELi32ELi8ELc78ELc67ELc76ELb0ELb1E19rocblas_complex_numIdEPKS1_PKS3_PKPS1_EviT_T9_T10_S9_lSB_S9_lSA_T11_S9_li.num_vgpr, 120
	.set _ZL29rocblas_internal_gemmt_kernelIlLi16ELi32ELi8ELc78ELc67ELc76ELb0ELb1E19rocblas_complex_numIdEPKS1_PKS3_PKPS1_EviT_T9_T10_S9_lSB_S9_lSA_T11_S9_li.num_agpr, 0
	.set _ZL29rocblas_internal_gemmt_kernelIlLi16ELi32ELi8ELc78ELc67ELc76ELb0ELb1E19rocblas_complex_numIdEPKS1_PKS3_PKPS1_EviT_T9_T10_S9_lSB_S9_lSA_T11_S9_li.numbered_sgpr, 48
	.set _ZL29rocblas_internal_gemmt_kernelIlLi16ELi32ELi8ELc78ELc67ELc76ELb0ELb1E19rocblas_complex_numIdEPKS1_PKS3_PKPS1_EviT_T9_T10_S9_lSB_S9_lSA_T11_S9_li.num_named_barrier, 0
	.set _ZL29rocblas_internal_gemmt_kernelIlLi16ELi32ELi8ELc78ELc67ELc76ELb0ELb1E19rocblas_complex_numIdEPKS1_PKS3_PKPS1_EviT_T9_T10_S9_lSB_S9_lSA_T11_S9_li.private_seg_size, 0
	.set _ZL29rocblas_internal_gemmt_kernelIlLi16ELi32ELi8ELc78ELc67ELc76ELb0ELb1E19rocblas_complex_numIdEPKS1_PKS3_PKPS1_EviT_T9_T10_S9_lSB_S9_lSA_T11_S9_li.uses_vcc, 1
	.set _ZL29rocblas_internal_gemmt_kernelIlLi16ELi32ELi8ELc78ELc67ELc76ELb0ELb1E19rocblas_complex_numIdEPKS1_PKS3_PKPS1_EviT_T9_T10_S9_lSB_S9_lSA_T11_S9_li.uses_flat_scratch, 0
	.set _ZL29rocblas_internal_gemmt_kernelIlLi16ELi32ELi8ELc78ELc67ELc76ELb0ELb1E19rocblas_complex_numIdEPKS1_PKS3_PKPS1_EviT_T9_T10_S9_lSB_S9_lSA_T11_S9_li.has_dyn_sized_stack, 0
	.set _ZL29rocblas_internal_gemmt_kernelIlLi16ELi32ELi8ELc78ELc67ELc76ELb0ELb1E19rocblas_complex_numIdEPKS1_PKS3_PKPS1_EviT_T9_T10_S9_lSB_S9_lSA_T11_S9_li.has_recursion, 0
	.set _ZL29rocblas_internal_gemmt_kernelIlLi16ELi32ELi8ELc78ELc67ELc76ELb0ELb1E19rocblas_complex_numIdEPKS1_PKS3_PKPS1_EviT_T9_T10_S9_lSB_S9_lSA_T11_S9_li.has_indirect_call, 0
	.section	.AMDGPU.csdata,"",@progbits
; Kernel info:
; codeLenInByte = 3640
; TotalNumSgprs: 50
; NumVgprs: 120
; ScratchSize: 0
; MemoryBound: 1
; FloatMode: 240
; IeeeMode: 1
; LDSByteSize: 8192 bytes/workgroup (compile time only)
; SGPRBlocks: 0
; VGPRBlocks: 14
; NumSGPRsForWavesPerEU: 50
; NumVGPRsForWavesPerEU: 120
; Occupancy: 8
; WaveLimiterHint : 1
; COMPUTE_PGM_RSRC2:SCRATCH_EN: 0
; COMPUTE_PGM_RSRC2:USER_SGPR: 6
; COMPUTE_PGM_RSRC2:TRAP_HANDLER: 0
; COMPUTE_PGM_RSRC2:TGID_X_EN: 1
; COMPUTE_PGM_RSRC2:TGID_Y_EN: 1
; COMPUTE_PGM_RSRC2:TGID_Z_EN: 1
; COMPUTE_PGM_RSRC2:TIDIG_COMP_CNT: 1
	.section	.text._ZL29rocblas_internal_gemmt_kernelIlLi16ELi32ELi8ELc84ELc78ELc76ELb0ELb0E19rocblas_complex_numIdEPKS1_PKS3_PKPS1_EviT_T9_T10_S9_lSB_S9_lSA_T11_S9_li,"axG",@progbits,_ZL29rocblas_internal_gemmt_kernelIlLi16ELi32ELi8ELc84ELc78ELc76ELb0ELb0E19rocblas_complex_numIdEPKS1_PKS3_PKPS1_EviT_T9_T10_S9_lSB_S9_lSA_T11_S9_li,comdat
	.globl	_ZL29rocblas_internal_gemmt_kernelIlLi16ELi32ELi8ELc84ELc78ELc76ELb0ELb0E19rocblas_complex_numIdEPKS1_PKS3_PKPS1_EviT_T9_T10_S9_lSB_S9_lSA_T11_S9_li ; -- Begin function _ZL29rocblas_internal_gemmt_kernelIlLi16ELi32ELi8ELc84ELc78ELc76ELb0ELb0E19rocblas_complex_numIdEPKS1_PKS3_PKPS1_EviT_T9_T10_S9_lSB_S9_lSA_T11_S9_li
	.p2align	8
	.type	_ZL29rocblas_internal_gemmt_kernelIlLi16ELi32ELi8ELc84ELc78ELc76ELb0ELb0E19rocblas_complex_numIdEPKS1_PKS3_PKPS1_EviT_T9_T10_S9_lSB_S9_lSA_T11_S9_li,@function
_ZL29rocblas_internal_gemmt_kernelIlLi16ELi32ELi8ELc84ELc78ELc76ELb0ELb0E19rocblas_complex_numIdEPKS1_PKS3_PKPS1_EviT_T9_T10_S9_lSB_S9_lSA_T11_S9_li: ; @_ZL29rocblas_internal_gemmt_kernelIlLi16ELi32ELi8ELc84ELc78ELc76ELb0ELb0E19rocblas_complex_numIdEPKS1_PKS3_PKPS1_EviT_T9_T10_S9_lSB_S9_lSA_T11_S9_li
; %bb.0:
	s_load_dwordx8 s[36:43], s[4:5], 0x48
	s_waitcnt lgkmcnt(0)
	s_load_dwordx4 s[28:31], s[36:37], 0x0
	s_load_dwordx16 s[12:27], s[4:5], 0x8
	s_waitcnt lgkmcnt(0)
	v_cmp_eq_f64_e64 s0, s[28:29], 1.0
	v_cmp_eq_f64_e64 s10, s[30:31], 0
	s_load_dwordx4 s[44:47], s[14:15], 0x0
	s_and_b32 s0, s0, s10
	s_andn2_b32 vcc_lo, exec_lo, s0
	s_mov_b32 s0, -1
	s_cbranch_vccnz .LBB552_3
; %bb.1:
	s_cmp_lg_u64 s[12:13], 0
	s_cbranch_scc0 .LBB552_33
; %bb.2:
	s_waitcnt lgkmcnt(0)
	v_cmp_neq_f64_e64 s0, s[44:45], 0
	v_cmp_neq_f64_e64 s1, s[46:47], 0
	s_or_b32 s0, s0, s1
.LBB552_3:
	s_and_b32 vcc_lo, exec_lo, s0
	s_cbranch_vccz .LBB552_34
; %bb.4:
	s_waitcnt lgkmcnt(0)
	v_cmp_eq_f64_e64 s11, s[44:45], 0
	v_cmp_eq_f64_e64 s14, s[46:47], 0
	s_mov_b32 s9, 0
	v_mov_b32_e32 v20, 0
	s_lshl_b64 s[0:1], s[8:9], 3
	v_mov_b32_e32 v22, 0
	s_add_u32 s2, s38, s0
	s_addc_u32 s3, s39, s1
	s_load_dword s8, s[4:5], 0x0
	s_load_dwordx2 s[2:3], s[2:3], 0x0
	v_cmp_lt_i64_e64 s4, s[12:13], 1
	v_mov_b32_e32 v18, 0
	v_mov_b32_e32 v16, 0
	v_mov_b32_e32 v14, 0
	v_mov_b32_e32 v12, 0
	v_mov_b32_e32 v8, 0
	v_mov_b32_e32 v6, 0
	v_mov_b32_e32 v21, 0
	v_mov_b32_e32 v23, 0
	v_mov_b32_e32 v19, 0
	v_mov_b32_e32 v17, 0
	v_mov_b32_e32 v15, 0
	v_mov_b32_e32 v13, 0
	v_mov_b32_e32 v9, 0
	s_and_b32 s5, s11, s14
	v_mov_b32_e32 v7, 0
	s_or_b32 s4, s5, s4
	s_lshl_b32 s6, s6, 5
	s_and_b32 vcc_lo, exec_lo, s4
	s_lshl_b32 s7, s7, 5
	s_cbranch_vccnz .LBB552_17
; %bb.5:
	s_add_u32 s4, s22, s0
	s_addc_u32 s5, s23, s1
	s_lshl_b64 s[14:15], s[26:27], 4
	s_load_dwordx2 s[4:5], s[4:5], 0x0
	v_lshl_add_u32 v4, v1, 4, v0
	v_and_b32_e32 v24, 7, v0
	v_mov_b32_e32 v6, 0
	v_mov_b32_e32 v8, 0
	;; [unrolled: 1-line block ×3, first 2 shown]
	v_lshrrev_b32_e32 v5, 3, v4
	v_and_b32_e32 v11, 31, v4
	v_lshlrev_b32_e32 v28, 4, v24
	v_mov_b32_e32 v14, 0
	v_mov_b32_e32 v16, 0
	v_add_nc_u32_e32 v10, s7, v5
	v_or_b32_e32 v29, s6, v11
	v_lshl_or_b32 v32, v5, 7, v28
	v_lshlrev_b32_e32 v11, 4, v11
	v_mov_b32_e32 v18, 0
	v_ashrrev_i32_e32 v27, 31, v10
	v_mul_lo_u32 v30, s25, v10
	v_mad_u64_u32 v[2:3], null, s24, v10, 0
	s_waitcnt lgkmcnt(0)
	s_add_u32 s11, s4, s14
	s_addc_u32 s14, s5, s15
	s_add_u32 s0, s16, s0
	s_addc_u32 s1, s17, s1
	v_mul_lo_u32 v31, s24, v27
	s_load_dwordx2 s[0:1], s[0:1], 0x0
	v_lshrrev_b32_e32 v27, 5, v4
	v_mul_lo_u32 v28, s19, v29
	v_mad_u64_u32 v[4:5], null, s18, v29, 0
	s_lshl_b64 s[4:5], s[20:21], 4
	v_cmp_le_i32_e64 s9, s8, v29
	v_add3_u32 v3, v3, v31, v30
	v_cmp_gt_i32_e32 vcc_lo, s8, v10
	v_mov_b32_e32 v22, 0
	v_mov_b32_e32 v20, 0
	v_lshlrev_b32_e32 v25, 4, v0
	v_lshlrev_b64 v[2:3], 4, v[2:3]
	v_lshl_add_u32 v26, v1, 7, 0x1000
	v_mov_b32_e32 v7, 0
	v_mov_b32_e32 v9, 0
	;; [unrolled: 1-line block ×6, first 2 shown]
	s_waitcnt lgkmcnt(0)
	s_add_u32 s4, s0, s4
	s_addc_u32 s5, s1, s5
	s_ashr_i32 s1, s6, 31
	v_cmp_gt_i32_e64 s0, s8, v29
	s_mul_i32 s1, s18, s1
	v_add_nc_u32_e32 v29, 0x1000, v32
	v_add3_u32 v5, v5, s1, v28
	v_add_co_u32 v30, s1, s11, v2
	v_add_co_ci_u32_e64 v31, null, s14, v3, s1
	v_lshlrev_b64 v[4:5], 4, v[4:5]
	v_mov_b32_e32 v23, 0
	v_mov_b32_e32 v21, 0
	v_lshl_or_b32 v28, v27, 9, v11
	v_mov_b32_e32 v3, 0
                                        ; implicit-def: $vgpr10_vgpr11
	v_add_co_u32 v32, s1, s4, v4
	v_add_co_ci_u32_e64 v33, null, s5, v5, s1
	s_mov_b64 s[4:5], 0
	s_xor_b32 s1, vcc_lo, -1
	s_branch .LBB552_7
.LBB552_6:                              ;   in Loop: Header=BB552_7 Depth=1
	s_or_b32 exec_lo, exec_lo, s11
	s_waitcnt lgkmcnt(0)
	s_barrier
	buffer_gl0_inv
	ds_read_b128 v[34:37], v26
	ds_read_b128 v[38:41], v25
	ds_read_b128 v[42:45], v25 offset:256
	ds_read_b128 v[46:49], v26 offset:2048
	;; [unrolled: 1-line block ×16, first 2 shown]
	s_add_u32 s4, s4, 8
	s_addc_u32 s5, s5, 0
	v_cmp_gt_i64_e64 s11, s[12:13], s[4:5]
	s_waitcnt lgkmcnt(16)
	v_mul_f64 v[4:5], v[36:37], v[40:41]
	v_mul_f64 v[106:107], v[34:35], v[40:41]
	s_waitcnt lgkmcnt(15)
	v_mul_f64 v[108:109], v[36:37], v[44:45]
	v_mul_f64 v[110:111], v[34:35], v[44:45]
	;; [unrolled: 3-line block ×3, first 2 shown]
	v_mul_f64 v[114:115], v[48:49], v[44:45]
	v_mul_f64 v[44:45], v[46:47], v[44:45]
	s_waitcnt lgkmcnt(12)
	v_mul_f64 v[116:117], v[52:53], v[56:57]
	v_mul_f64 v[118:119], v[50:51], v[56:57]
	s_waitcnt lgkmcnt(11)
	;; [unrolled: 3-line block ×3, first 2 shown]
	v_mul_f64 v[124:125], v[64:65], v[56:57]
	v_mul_f64 v[56:57], v[62:63], v[56:57]
	v_mul_f64 v[126:127], v[64:65], v[60:61]
	v_mul_f64 v[60:61], v[62:63], v[60:61]
	s_waitcnt lgkmcnt(7)
	v_mul_f64 v[132:133], v[76:77], v[68:69]
	v_mul_f64 v[134:135], v[74:75], v[68:69]
	;; [unrolled: 1-line block ×4, first 2 shown]
	s_and_b32 vcc_lo, exec_lo, s11
	v_fma_f64 v[4:5], v[34:35], v[38:39], -v[4:5]
	v_fma_f64 v[106:107], v[36:37], v[38:39], v[106:107]
	v_fma_f64 v[108:109], v[34:35], v[42:43], -v[108:109]
	v_fma_f64 v[110:111], v[36:37], v[42:43], v[110:111]
	;; [unrolled: 2-line block ×8, first 2 shown]
	s_waitcnt lgkmcnt(5)
	v_mul_f64 v[60:61], v[84:85], v[68:69]
	v_mul_f64 v[64:65], v[84:85], v[72:73]
	s_waitcnt lgkmcnt(3)
	v_mul_f64 v[126:127], v[88:89], v[92:93]
	ds_read_b128 v[34:37], v26 offset:64
	ds_read_b128 v[38:41], v26 offset:80
	;; [unrolled: 1-line block ×6, first 2 shown]
	v_add_f64 v[4:5], v[20:21], v[4:5]
	v_add_f64 v[20:21], v[106:107], v[22:23]
	;; [unrolled: 1-line block ×3, first 2 shown]
	v_mul_f64 v[22:23], v[82:83], v[68:69]
	v_add_f64 v[16:17], v[110:111], v[16:17]
	v_add_f64 v[14:15], v[14:15], v[112:113]
	v_mul_f64 v[68:69], v[82:83], v[72:73]
	v_add_f64 v[12:13], v[128:129], v[12:13]
	v_add_f64 v[8:9], v[8:9], v[114:115]
	;; [unrolled: 1-line block ×3, first 2 shown]
	v_mul_f64 v[72:73], v[80:81], v[92:93]
	v_mul_f64 v[106:107], v[78:79], v[92:93]
	s_waitcnt lgkmcnt(8)
	v_mul_f64 v[108:109], v[80:81], v[96:97]
	v_mul_f64 v[110:111], v[78:79], v[96:97]
	v_fma_f64 v[112:113], v[74:75], v[66:67], -v[132:133]
	v_fma_f64 v[114:115], v[76:77], v[66:67], v[134:135]
	v_fma_f64 v[74:75], v[74:75], v[70:71], -v[136:137]
	v_fma_f64 v[76:77], v[76:77], v[70:71], v[140:141]
	v_mul_f64 v[92:93], v[86:87], v[92:93]
	v_mul_f64 v[128:129], v[88:89], v[96:97]
	v_fma_f64 v[60:61], v[82:83], v[66:67], -v[60:61]
	v_mul_f64 v[96:97], v[86:87], v[96:97]
	v_add_f64 v[4:5], v[4:5], v[116:117]
	v_add_f64 v[20:21], v[118:119], v[20:21]
	;; [unrolled: 1-line block ×3, first 2 shown]
	v_fma_f64 v[22:23], v[84:85], v[66:67], v[22:23]
	v_add_f64 v[16:17], v[122:123], v[16:17]
	v_add_f64 v[14:15], v[14:15], v[124:125]
	v_fma_f64 v[64:65], v[82:83], v[70:71], -v[64:65]
	v_add_f64 v[12:13], v[138:139], v[12:13]
	v_add_f64 v[8:9], v[8:9], v[62:63]
	v_fma_f64 v[66:67], v[84:85], v[70:71], v[68:69]
	v_add_f64 v[6:7], v[58:59], v[6:7]
	s_waitcnt lgkmcnt(5)
	v_mul_f64 v[116:117], v[36:37], v[100:101]
	v_mul_f64 v[118:119], v[34:35], v[100:101]
	;; [unrolled: 1-line block ×4, first 2 shown]
	s_waitcnt lgkmcnt(1)
	v_mul_f64 v[62:63], v[52:53], v[100:101]
	v_fma_f64 v[68:69], v[78:79], v[90:91], -v[72:73]
	v_fma_f64 v[70:71], v[80:81], v[90:91], v[106:107]
	v_fma_f64 v[72:73], v[78:79], v[94:95], -v[108:109]
	v_fma_f64 v[78:79], v[80:81], v[94:95], v[110:111]
	;; [unrolled: 2-line block ×3, first 2 shown]
	v_add_f64 v[4:5], v[4:5], v[112:113]
	v_add_f64 v[20:21], v[114:115], v[20:21]
	;; [unrolled: 1-line block ×3, first 2 shown]
	v_mul_f64 v[74:75], v[52:53], v[104:105]
	v_add_f64 v[16:17], v[76:77], v[16:17]
	v_add_f64 v[14:15], v[14:15], v[60:61]
	v_mul_f64 v[60:61], v[50:51], v[100:101]
	v_mul_f64 v[76:77], v[50:51], v[104:105]
	v_fma_f64 v[86:87], v[86:87], v[94:95], -v[128:129]
	v_add_f64 v[12:13], v[22:23], v[12:13]
	v_add_f64 v[8:9], v[8:9], v[64:65]
	v_fma_f64 v[88:89], v[88:89], v[94:95], v[96:97]
	v_add_f64 v[66:67], v[66:67], v[6:7]
	v_mul_f64 v[80:81], v[40:41], v[44:45]
	v_mul_f64 v[82:83], v[38:39], v[44:45]
	v_mul_f64 v[64:65], v[40:41], v[48:49]
	v_fma_f64 v[90:91], v[34:35], v[98:99], -v[116:117]
	v_fma_f64 v[92:93], v[36:37], v[98:99], v[118:119]
	v_fma_f64 v[34:35], v[34:35], v[102:103], -v[120:121]
	v_fma_f64 v[36:37], v[36:37], v[102:103], v[122:123]
	v_fma_f64 v[62:63], v[50:51], v[98:99], -v[62:63]
	v_mul_f64 v[94:95], v[38:39], v[48:49]
	v_add_f64 v[68:69], v[4:5], v[68:69]
	v_add_f64 v[70:71], v[70:71], v[20:21]
	;; [unrolled: 1-line block ×3, first 2 shown]
	s_waitcnt lgkmcnt(0)
	v_mul_f64 v[96:97], v[56:57], v[44:45]
	v_add_f64 v[78:79], v[78:79], v[16:17]
	v_add_f64 v[58:59], v[14:15], v[58:59]
	v_mul_f64 v[44:45], v[54:55], v[44:45]
	v_mul_f64 v[100:101], v[56:57], v[48:49]
	;; [unrolled: 1-line block ×3, first 2 shown]
	v_fma_f64 v[60:61], v[52:53], v[98:99], v[60:61]
	v_fma_f64 v[50:51], v[50:51], v[102:103], -v[74:75]
	v_add_f64 v[74:75], v[84:85], v[12:13]
	v_add_f64 v[8:9], v[8:9], v[86:87]
	v_fma_f64 v[52:53], v[52:53], v[102:103], v[76:77]
	v_add_f64 v[66:67], v[88:89], v[66:67]
	ds_read_b128 v[4:7], v26 offset:96
	ds_read_b128 v[12:15], v25 offset:3072
	;; [unrolled: 1-line block ×4, first 2 shown]
	v_fma_f64 v[76:77], v[38:39], v[42:43], -v[80:81]
	v_fma_f64 v[64:65], v[38:39], v[46:47], -v[64:65]
	v_fma_f64 v[80:81], v[40:41], v[46:47], v[94:95]
	v_add_f64 v[68:69], v[68:69], v[90:91]
	v_add_f64 v[70:71], v[92:93], v[70:71]
	;; [unrolled: 1-line block ×5, first 2 shown]
	v_fma_f64 v[62:63], v[40:41], v[42:43], v[82:83]
	v_fma_f64 v[82:83], v[54:55], v[42:43], -v[96:97]
	v_fma_f64 v[84:85], v[56:57], v[42:43], v[44:45]
	v_fma_f64 v[54:55], v[54:55], v[46:47], -v[100:101]
	v_fma_f64 v[56:57], v[56:57], v[46:47], v[48:49]
	v_add_f64 v[60:61], v[60:61], v[74:75]
	v_add_f64 v[8:9], v[8:9], v[50:51]
	s_waitcnt lgkmcnt(2)
	v_mul_f64 v[50:51], v[6:7], v[14:15]
	v_mul_f64 v[74:75], v[4:5], v[14:15]
	s_waitcnt lgkmcnt(1)
	v_mul_f64 v[86:87], v[6:7], v[18:19]
	v_mul_f64 v[88:89], v[4:5], v[18:19]
	;; [unrolled: 3-line block ×3, first 2 shown]
	v_mul_f64 v[92:93], v[22:23], v[18:19]
	v_add_f64 v[52:53], v[52:53], v[66:67]
	v_mul_f64 v[18:19], v[20:21], v[18:19]
	ds_read_b128 v[34:37], v26 offset:112
	ds_read_b128 v[38:41], v26 offset:2160
	;; [unrolled: 1-line block ×4, first 2 shown]
	v_add_f64 v[66:67], v[68:69], v[76:77]
	v_add_f64 v[64:65], v[72:73], v[64:65]
	;; [unrolled: 1-line block ×5, first 2 shown]
	s_waitcnt lgkmcnt(0)
	s_barrier
	buffer_gl0_inv
	v_add_f64 v[60:61], v[84:85], v[60:61]
	v_add_f64 v[8:9], v[8:9], v[54:55]
	v_fma_f64 v[50:51], v[4:5], v[12:13], -v[50:51]
	v_fma_f64 v[54:55], v[6:7], v[12:13], v[74:75]
	v_fma_f64 v[4:5], v[4:5], v[16:17], -v[86:87]
	v_fma_f64 v[6:7], v[6:7], v[16:17], v[88:89]
	;; [unrolled: 2-line block ×3, first 2 shown]
	v_fma_f64 v[14:15], v[20:21], v[16:17], -v[92:93]
	v_add_f64 v[20:21], v[56:57], v[52:53]
	v_fma_f64 v[16:17], v[22:23], v[16:17], v[18:19]
	v_mul_f64 v[18:19], v[36:37], v[44:45]
	v_mul_f64 v[22:23], v[34:35], v[44:45]
	;; [unrolled: 1-line block ×8, first 2 shown]
	v_add_f64 v[50:51], v[66:67], v[50:51]
	v_add_f64 v[54:55], v[54:55], v[62:63]
	;; [unrolled: 1-line block ×8, first 2 shown]
	v_fma_f64 v[14:15], v[34:35], v[42:43], -v[18:19]
	v_fma_f64 v[16:17], v[36:37], v[42:43], v[22:23]
	v_fma_f64 v[18:19], v[34:35], v[46:47], -v[52:53]
	v_fma_f64 v[34:35], v[36:37], v[46:47], v[56:57]
	;; [unrolled: 2-line block ×4, first 2 shown]
	v_add_f64 v[20:21], v[50:51], v[14:15]
	v_add_f64 v[22:23], v[16:17], v[54:55]
	;; [unrolled: 1-line block ×8, first 2 shown]
	s_cbranch_vccz .LBB552_17
.LBB552_7:                              ; =>This Inner Loop Header: Depth=1
	s_mov_b32 s15, s9
	s_mov_b32 s11, 0
	s_and_saveexec_b32 s14, s0
	s_cbranch_execnz .LBB552_15
; %bb.8:                                ;   in Loop: Header=BB552_7 Depth=1
	s_or_b32 exec_lo, exec_lo, s14
	s_and_saveexec_b32 s14, s15
	s_xor_b32 s14, exec_lo, s14
	s_cbranch_execnz .LBB552_16
.LBB552_9:                              ;   in Loop: Header=BB552_7 Depth=1
	s_or_b32 exec_lo, exec_lo, s14
	s_and_saveexec_b32 s14, s11
	s_cbranch_execz .LBB552_11
.LBB552_10:                             ;   in Loop: Header=BB552_7 Depth=1
	v_lshlrev_b64 v[4:5], 4, v[10:11]
	v_add_co_u32 v4, vcc_lo, v32, v4
	v_add_co_ci_u32_e64 v5, null, v33, v5, vcc_lo
	flat_load_dwordx4 v[34:37], v[4:5]
	s_waitcnt vmcnt(0) lgkmcnt(0)
	ds_write2_b64 v28, v[34:35], v[36:37] offset1:1
.LBB552_11:                             ;   in Loop: Header=BB552_7 Depth=1
	s_or_b32 exec_lo, exec_lo, s14
	v_add_nc_u32_e32 v2, s4, v24
	v_cmp_le_u64_e32 vcc_lo, s[12:13], v[2:3]
	s_or_b32 s11, vcc_lo, s1
	s_and_saveexec_b32 s14, s11
	s_xor_b32 s11, exec_lo, s14
	s_cbranch_execz .LBB552_13
; %bb.12:                               ;   in Loop: Header=BB552_7 Depth=1
	v_mov_b32_e32 v2, v3
	v_mov_b32_e32 v4, v3
	;; [unrolled: 1-line block ×3, first 2 shown]
	ds_write_b128 v29, v[2:5]
.LBB552_13:                             ;   in Loop: Header=BB552_7 Depth=1
	s_andn2_saveexec_b32 s11, s11
	s_cbranch_execz .LBB552_6
; %bb.14:                               ;   in Loop: Header=BB552_7 Depth=1
	v_lshlrev_b64 v[4:5], 4, v[2:3]
	v_add_co_u32 v4, vcc_lo, v30, v4
	v_add_co_ci_u32_e64 v5, null, v31, v5, vcc_lo
	flat_load_dwordx4 v[34:37], v[4:5]
	s_waitcnt vmcnt(0) lgkmcnt(0)
	ds_write2_b64 v29, v[34:35], v[36:37] offset1:1
	s_branch .LBB552_6
.LBB552_15:                             ;   in Loop: Header=BB552_7 Depth=1
	v_add_nc_u32_e32 v2, s4, v27
	v_mov_b32_e32 v11, v3
	s_andn2_b32 s15, s9, exec_lo
	s_mov_b32 s11, exec_lo
	v_cmp_le_u64_e32 vcc_lo, s[12:13], v[2:3]
	v_mov_b32_e32 v10, v2
	s_and_b32 s16, vcc_lo, exec_lo
	s_or_b32 s15, s15, s16
	s_or_b32 exec_lo, exec_lo, s14
	s_and_saveexec_b32 s14, s15
	s_xor_b32 s14, exec_lo, s14
	s_cbranch_execz .LBB552_9
.LBB552_16:                             ;   in Loop: Header=BB552_7 Depth=1
	v_mov_b32_e32 v2, v3
	v_mov_b32_e32 v4, v3
	;; [unrolled: 1-line block ×3, first 2 shown]
	s_andn2_b32 s11, s11, exec_lo
	ds_write_b128 v28, v[2:5]
	s_or_b32 exec_lo, exec_lo, s14
	s_and_saveexec_b32 s14, s11
	s_cbranch_execnz .LBB552_10
	s_branch .LBB552_11
.LBB552_17:
	v_add_nc_u32_e32 v25, s7, v1
	v_cmp_neq_f64_e64 s5, s[28:29], 0
	s_lshl_b64 s[0:1], s[42:43], 4
	s_waitcnt lgkmcnt(0)
	s_add_u32 s4, s2, s0
	v_ashrrev_i32_e32 v3, 31, v25
	v_mul_lo_u32 v4, s41, v25
	v_mad_u64_u32 v[1:2], null, s40, v25, 0
	s_addc_u32 s3, s3, s1
	v_mul_lo_u32 v3, s40, v3
	s_xor_b32 s2, s10, -1
	v_add3_u32 v2, v2, v3, v4
	v_add_nc_u32_e32 v4, s6, v0
	s_or_b32 s2, s5, s2
	v_lshlrev_b64 v[0:1], 4, v[1:2]
	v_cmp_le_i32_e32 vcc_lo, v25, v4
	v_cmp_gt_i32_e64 s0, s8, v4
	v_ashrrev_i32_e32 v5, 31, v4
	v_cndmask_b32_e64 v24, 0, 1, s2
	v_add_co_u32 v26, s1, s4, v0
	v_add_co_ci_u32_e64 v27, null, s3, v1, s1
	s_and_b32 s5, vcc_lo, s0
	s_and_saveexec_b32 s1, s5
	s_cbranch_execz .LBB552_21
; %bb.18:
	v_mul_f64 v[0:1], s[46:47], v[22:23]
	v_mul_f64 v[2:3], s[44:45], v[22:23]
	v_lshlrev_b64 v[10:11], 4, v[4:5]
	v_add_co_u32 v10, vcc_lo, v26, v10
	v_add_co_ci_u32_e64 v11, null, v27, v11, vcc_lo
	s_andn2_b32 vcc_lo, exec_lo, s2
	v_fma_f64 v[0:1], s[44:45], v[20:21], -v[0:1]
	v_fma_f64 v[2:3], s[46:47], v[20:21], v[2:3]
	s_cbranch_vccnz .LBB552_20
; %bb.19:
	flat_load_dwordx4 v[20:23], v[10:11]
	s_waitcnt vmcnt(0) lgkmcnt(0)
	v_mul_f64 v[28:29], s[30:31], v[22:23]
	v_mul_f64 v[22:23], s[28:29], v[22:23]
	v_fma_f64 v[28:29], s[28:29], v[20:21], -v[28:29]
	v_fma_f64 v[20:21], s[30:31], v[20:21], v[22:23]
	v_add_f64 v[0:1], v[0:1], v[28:29]
	v_add_f64 v[2:3], v[2:3], v[20:21]
.LBB552_20:
	flat_store_dwordx4 v[10:11], v[0:3]
.LBB552_21:
	s_or_b32 exec_lo, exec_lo, s1
	v_add_nc_u32_e32 v10, 16, v4
	v_cmp_le_i32_e32 vcc_lo, v25, v10
	v_cmp_gt_i32_e64 s1, s8, v10
	v_ashrrev_i32_e32 v11, 31, v10
	s_and_b32 s2, vcc_lo, s1
	s_and_saveexec_b32 s5, s2
	s_cbranch_execz .LBB552_25
; %bb.22:
	v_mul_f64 v[0:1], s[46:47], v[16:17]
	v_mul_f64 v[2:3], s[44:45], v[16:17]
	v_lshlrev_b64 v[16:17], 4, v[10:11]
	v_cmp_ne_u32_e32 vcc_lo, 1, v24
	s_and_b32 vcc_lo, exec_lo, vcc_lo
	v_add_co_u32 v16, s2, v26, v16
	v_add_co_ci_u32_e64 v17, null, v27, v17, s2
	v_fma_f64 v[0:1], s[44:45], v[18:19], -v[0:1]
	v_fma_f64 v[2:3], s[46:47], v[18:19], v[2:3]
	s_cbranch_vccnz .LBB552_24
; %bb.23:
	flat_load_dwordx4 v[18:21], v[16:17]
	s_waitcnt vmcnt(0) lgkmcnt(0)
	v_mul_f64 v[22:23], s[30:31], v[20:21]
	v_mul_f64 v[20:21], s[28:29], v[20:21]
	v_fma_f64 v[22:23], s[28:29], v[18:19], -v[22:23]
	v_fma_f64 v[18:19], s[30:31], v[18:19], v[20:21]
	v_add_f64 v[0:1], v[0:1], v[22:23]
	v_add_f64 v[2:3], v[2:3], v[18:19]
.LBB552_24:
	flat_store_dwordx4 v[16:17], v[0:3]
.LBB552_25:
	s_or_b32 exec_lo, exec_lo, s5
	v_add_nc_u32_e32 v18, 16, v25
	v_ashrrev_i32_e32 v2, 31, v18
	v_mul_lo_u32 v3, s41, v18
	v_mad_u64_u32 v[0:1], null, s40, v18, 0
	v_cmp_le_i32_e32 vcc_lo, v18, v4
	v_mul_lo_u32 v2, s40, v2
	s_and_b32 s0, vcc_lo, s0
	v_add3_u32 v1, v1, v2, v3
	v_lshlrev_b64 v[0:1], 4, v[0:1]
	v_add_co_u32 v16, s2, s4, v0
	v_add_co_ci_u32_e64 v17, null, s3, v1, s2
	s_and_saveexec_b32 s2, s0
	s_cbranch_execz .LBB552_29
; %bb.26:
	v_mul_f64 v[0:1], s[46:47], v[12:13]
	v_mul_f64 v[2:3], s[44:45], v[12:13]
	v_lshlrev_b64 v[4:5], 4, v[4:5]
	v_cmp_ne_u32_e32 vcc_lo, 1, v24
	s_and_b32 vcc_lo, exec_lo, vcc_lo
	v_add_co_u32 v4, s0, v16, v4
	v_add_co_ci_u32_e64 v5, null, v17, v5, s0
	v_fma_f64 v[0:1], s[44:45], v[14:15], -v[0:1]
	v_fma_f64 v[2:3], s[46:47], v[14:15], v[2:3]
	s_cbranch_vccnz .LBB552_28
; %bb.27:
	flat_load_dwordx4 v[12:15], v[4:5]
	s_waitcnt vmcnt(0) lgkmcnt(0)
	v_mul_f64 v[19:20], s[30:31], v[14:15]
	v_mul_f64 v[14:15], s[28:29], v[14:15]
	v_fma_f64 v[19:20], s[28:29], v[12:13], -v[19:20]
	v_fma_f64 v[12:13], s[30:31], v[12:13], v[14:15]
	v_add_f64 v[0:1], v[0:1], v[19:20]
	v_add_f64 v[2:3], v[2:3], v[12:13]
.LBB552_28:
	flat_store_dwordx4 v[4:5], v[0:3]
.LBB552_29:
	s_or_b32 exec_lo, exec_lo, s2
	v_cmp_le_i32_e32 vcc_lo, v18, v10
	s_and_b32 s0, vcc_lo, s1
	s_and_saveexec_b32 s1, s0
	s_cbranch_execz .LBB552_34
; %bb.30:
	v_mul_f64 v[0:1], s[46:47], v[6:7]
	v_mul_f64 v[2:3], s[44:45], v[6:7]
	v_lshlrev_b64 v[4:5], 4, v[10:11]
	v_cmp_ne_u32_e32 vcc_lo, 1, v24
	s_and_b32 vcc_lo, exec_lo, vcc_lo
	v_add_co_u32 v4, s0, v16, v4
	v_add_co_ci_u32_e64 v5, null, v17, v5, s0
	v_fma_f64 v[0:1], s[44:45], v[8:9], -v[0:1]
	v_fma_f64 v[2:3], s[46:47], v[8:9], v[2:3]
	s_cbranch_vccnz .LBB552_32
; %bb.31:
	flat_load_dwordx4 v[6:9], v[4:5]
	s_waitcnt vmcnt(0) lgkmcnt(0)
	v_mul_f64 v[10:11], s[30:31], v[8:9]
	v_mul_f64 v[8:9], s[28:29], v[8:9]
	v_fma_f64 v[10:11], s[28:29], v[6:7], -v[10:11]
	v_fma_f64 v[6:7], s[30:31], v[6:7], v[8:9]
	v_add_f64 v[0:1], v[0:1], v[10:11]
	v_add_f64 v[2:3], v[2:3], v[6:7]
.LBB552_32:
	flat_store_dwordx4 v[4:5], v[0:3]
	s_endpgm
.LBB552_33:
.LBB552_34:
	s_endpgm
	.section	.rodata,"a",@progbits
	.p2align	6, 0x0
	.amdhsa_kernel _ZL29rocblas_internal_gemmt_kernelIlLi16ELi32ELi8ELc84ELc78ELc76ELb0ELb0E19rocblas_complex_numIdEPKS1_PKS3_PKPS1_EviT_T9_T10_S9_lSB_S9_lSA_T11_S9_li
		.amdhsa_group_segment_fixed_size 8192
		.amdhsa_private_segment_fixed_size 0
		.amdhsa_kernarg_size 108
		.amdhsa_user_sgpr_count 6
		.amdhsa_user_sgpr_private_segment_buffer 1
		.amdhsa_user_sgpr_dispatch_ptr 0
		.amdhsa_user_sgpr_queue_ptr 0
		.amdhsa_user_sgpr_kernarg_segment_ptr 1
		.amdhsa_user_sgpr_dispatch_id 0
		.amdhsa_user_sgpr_flat_scratch_init 0
		.amdhsa_user_sgpr_private_segment_size 0
		.amdhsa_wavefront_size32 1
		.amdhsa_uses_dynamic_stack 0
		.amdhsa_system_sgpr_private_segment_wavefront_offset 0
		.amdhsa_system_sgpr_workgroup_id_x 1
		.amdhsa_system_sgpr_workgroup_id_y 1
		.amdhsa_system_sgpr_workgroup_id_z 1
		.amdhsa_system_sgpr_workgroup_info 0
		.amdhsa_system_vgpr_workitem_id 1
		.amdhsa_next_free_vgpr 142
		.amdhsa_next_free_sgpr 48
		.amdhsa_reserve_vcc 1
		.amdhsa_reserve_flat_scratch 0
		.amdhsa_float_round_mode_32 0
		.amdhsa_float_round_mode_16_64 0
		.amdhsa_float_denorm_mode_32 3
		.amdhsa_float_denorm_mode_16_64 3
		.amdhsa_dx10_clamp 1
		.amdhsa_ieee_mode 1
		.amdhsa_fp16_overflow 0
		.amdhsa_workgroup_processor_mode 1
		.amdhsa_memory_ordered 1
		.amdhsa_forward_progress 1
		.amdhsa_shared_vgpr_count 0
		.amdhsa_exception_fp_ieee_invalid_op 0
		.amdhsa_exception_fp_denorm_src 0
		.amdhsa_exception_fp_ieee_div_zero 0
		.amdhsa_exception_fp_ieee_overflow 0
		.amdhsa_exception_fp_ieee_underflow 0
		.amdhsa_exception_fp_ieee_inexact 0
		.amdhsa_exception_int_div_zero 0
	.end_amdhsa_kernel
	.section	.text._ZL29rocblas_internal_gemmt_kernelIlLi16ELi32ELi8ELc84ELc78ELc76ELb0ELb0E19rocblas_complex_numIdEPKS1_PKS3_PKPS1_EviT_T9_T10_S9_lSB_S9_lSA_T11_S9_li,"axG",@progbits,_ZL29rocblas_internal_gemmt_kernelIlLi16ELi32ELi8ELc84ELc78ELc76ELb0ELb0E19rocblas_complex_numIdEPKS1_PKS3_PKPS1_EviT_T9_T10_S9_lSB_S9_lSA_T11_S9_li,comdat
.Lfunc_end552:
	.size	_ZL29rocblas_internal_gemmt_kernelIlLi16ELi32ELi8ELc84ELc78ELc76ELb0ELb0E19rocblas_complex_numIdEPKS1_PKS3_PKPS1_EviT_T9_T10_S9_lSB_S9_lSA_T11_S9_li, .Lfunc_end552-_ZL29rocblas_internal_gemmt_kernelIlLi16ELi32ELi8ELc84ELc78ELc76ELb0ELb0E19rocblas_complex_numIdEPKS1_PKS3_PKPS1_EviT_T9_T10_S9_lSB_S9_lSA_T11_S9_li
                                        ; -- End function
	.set _ZL29rocblas_internal_gemmt_kernelIlLi16ELi32ELi8ELc84ELc78ELc76ELb0ELb0E19rocblas_complex_numIdEPKS1_PKS3_PKPS1_EviT_T9_T10_S9_lSB_S9_lSA_T11_S9_li.num_vgpr, 142
	.set _ZL29rocblas_internal_gemmt_kernelIlLi16ELi32ELi8ELc84ELc78ELc76ELb0ELb0E19rocblas_complex_numIdEPKS1_PKS3_PKPS1_EviT_T9_T10_S9_lSB_S9_lSA_T11_S9_li.num_agpr, 0
	.set _ZL29rocblas_internal_gemmt_kernelIlLi16ELi32ELi8ELc84ELc78ELc76ELb0ELb0E19rocblas_complex_numIdEPKS1_PKS3_PKPS1_EviT_T9_T10_S9_lSB_S9_lSA_T11_S9_li.numbered_sgpr, 48
	.set _ZL29rocblas_internal_gemmt_kernelIlLi16ELi32ELi8ELc84ELc78ELc76ELb0ELb0E19rocblas_complex_numIdEPKS1_PKS3_PKPS1_EviT_T9_T10_S9_lSB_S9_lSA_T11_S9_li.num_named_barrier, 0
	.set _ZL29rocblas_internal_gemmt_kernelIlLi16ELi32ELi8ELc84ELc78ELc76ELb0ELb0E19rocblas_complex_numIdEPKS1_PKS3_PKPS1_EviT_T9_T10_S9_lSB_S9_lSA_T11_S9_li.private_seg_size, 0
	.set _ZL29rocblas_internal_gemmt_kernelIlLi16ELi32ELi8ELc84ELc78ELc76ELb0ELb0E19rocblas_complex_numIdEPKS1_PKS3_PKPS1_EviT_T9_T10_S9_lSB_S9_lSA_T11_S9_li.uses_vcc, 1
	.set _ZL29rocblas_internal_gemmt_kernelIlLi16ELi32ELi8ELc84ELc78ELc76ELb0ELb0E19rocblas_complex_numIdEPKS1_PKS3_PKPS1_EviT_T9_T10_S9_lSB_S9_lSA_T11_S9_li.uses_flat_scratch, 0
	.set _ZL29rocblas_internal_gemmt_kernelIlLi16ELi32ELi8ELc84ELc78ELc76ELb0ELb0E19rocblas_complex_numIdEPKS1_PKS3_PKPS1_EviT_T9_T10_S9_lSB_S9_lSA_T11_S9_li.has_dyn_sized_stack, 0
	.set _ZL29rocblas_internal_gemmt_kernelIlLi16ELi32ELi8ELc84ELc78ELc76ELb0ELb0E19rocblas_complex_numIdEPKS1_PKS3_PKPS1_EviT_T9_T10_S9_lSB_S9_lSA_T11_S9_li.has_recursion, 0
	.set _ZL29rocblas_internal_gemmt_kernelIlLi16ELi32ELi8ELc84ELc78ELc76ELb0ELb0E19rocblas_complex_numIdEPKS1_PKS3_PKPS1_EviT_T9_T10_S9_lSB_S9_lSA_T11_S9_li.has_indirect_call, 0
	.section	.AMDGPU.csdata,"",@progbits
; Kernel info:
; codeLenInByte = 3640
; TotalNumSgprs: 50
; NumVgprs: 142
; ScratchSize: 0
; MemoryBound: 0
; FloatMode: 240
; IeeeMode: 1
; LDSByteSize: 8192 bytes/workgroup (compile time only)
; SGPRBlocks: 0
; VGPRBlocks: 17
; NumSGPRsForWavesPerEU: 50
; NumVGPRsForWavesPerEU: 142
; Occupancy: 7
; WaveLimiterHint : 1
; COMPUTE_PGM_RSRC2:SCRATCH_EN: 0
; COMPUTE_PGM_RSRC2:USER_SGPR: 6
; COMPUTE_PGM_RSRC2:TRAP_HANDLER: 0
; COMPUTE_PGM_RSRC2:TGID_X_EN: 1
; COMPUTE_PGM_RSRC2:TGID_Y_EN: 1
; COMPUTE_PGM_RSRC2:TGID_Z_EN: 1
; COMPUTE_PGM_RSRC2:TIDIG_COMP_CNT: 1
	.section	.text._ZL29rocblas_internal_gemmt_kernelIlLi16ELi32ELi8ELc84ELc84ELc76ELb0ELb0E19rocblas_complex_numIdEPKS1_PKS3_PKPS1_EviT_T9_T10_S9_lSB_S9_lSA_T11_S9_li,"axG",@progbits,_ZL29rocblas_internal_gemmt_kernelIlLi16ELi32ELi8ELc84ELc84ELc76ELb0ELb0E19rocblas_complex_numIdEPKS1_PKS3_PKPS1_EviT_T9_T10_S9_lSB_S9_lSA_T11_S9_li,comdat
	.globl	_ZL29rocblas_internal_gemmt_kernelIlLi16ELi32ELi8ELc84ELc84ELc76ELb0ELb0E19rocblas_complex_numIdEPKS1_PKS3_PKPS1_EviT_T9_T10_S9_lSB_S9_lSA_T11_S9_li ; -- Begin function _ZL29rocblas_internal_gemmt_kernelIlLi16ELi32ELi8ELc84ELc84ELc76ELb0ELb0E19rocblas_complex_numIdEPKS1_PKS3_PKPS1_EviT_T9_T10_S9_lSB_S9_lSA_T11_S9_li
	.p2align	8
	.type	_ZL29rocblas_internal_gemmt_kernelIlLi16ELi32ELi8ELc84ELc84ELc76ELb0ELb0E19rocblas_complex_numIdEPKS1_PKS3_PKPS1_EviT_T9_T10_S9_lSB_S9_lSA_T11_S9_li,@function
_ZL29rocblas_internal_gemmt_kernelIlLi16ELi32ELi8ELc84ELc84ELc76ELb0ELb0E19rocblas_complex_numIdEPKS1_PKS3_PKPS1_EviT_T9_T10_S9_lSB_S9_lSA_T11_S9_li: ; @_ZL29rocblas_internal_gemmt_kernelIlLi16ELi32ELi8ELc84ELc84ELc76ELb0ELb0E19rocblas_complex_numIdEPKS1_PKS3_PKPS1_EviT_T9_T10_S9_lSB_S9_lSA_T11_S9_li
; %bb.0:
	s_load_dwordx8 s[36:43], s[4:5], 0x48
	s_waitcnt lgkmcnt(0)
	s_load_dwordx4 s[28:31], s[36:37], 0x0
	s_load_dwordx16 s[12:27], s[4:5], 0x8
	s_waitcnt lgkmcnt(0)
	v_cmp_eq_f64_e64 s0, s[28:29], 1.0
	v_cmp_eq_f64_e64 s10, s[30:31], 0
	s_load_dwordx4 s[44:47], s[14:15], 0x0
	s_and_b32 s0, s0, s10
	s_andn2_b32 vcc_lo, exec_lo, s0
	s_mov_b32 s0, -1
	s_cbranch_vccnz .LBB553_3
; %bb.1:
	s_cmp_lg_u64 s[12:13], 0
	s_cbranch_scc0 .LBB553_33
; %bb.2:
	s_waitcnt lgkmcnt(0)
	v_cmp_neq_f64_e64 s0, s[44:45], 0
	v_cmp_neq_f64_e64 s1, s[46:47], 0
	s_or_b32 s0, s0, s1
.LBB553_3:
	s_and_b32 vcc_lo, exec_lo, s0
	s_cbranch_vccz .LBB553_34
; %bb.4:
	s_waitcnt lgkmcnt(0)
	v_cmp_eq_f64_e64 s11, s[44:45], 0
	v_cmp_eq_f64_e64 s14, s[46:47], 0
	s_mov_b32 s9, 0
	v_mov_b32_e32 v20, 0
	s_lshl_b64 s[0:1], s[8:9], 3
	v_mov_b32_e32 v22, 0
	s_add_u32 s2, s38, s0
	s_addc_u32 s3, s39, s1
	s_load_dword s8, s[4:5], 0x0
	s_load_dwordx2 s[2:3], s[2:3], 0x0
	v_cmp_lt_i64_e64 s4, s[12:13], 1
	v_mov_b32_e32 v16, 0
	v_mov_b32_e32 v18, 0
	;; [unrolled: 1-line block ×13, first 2 shown]
	s_and_b32 s5, s11, s14
	v_mov_b32_e32 v7, 0
	s_or_b32 s4, s5, s4
	s_lshl_b32 s6, s6, 5
	s_and_b32 vcc_lo, exec_lo, s4
	s_lshl_b32 s7, s7, 5
	s_cbranch_vccnz .LBB553_17
; %bb.5:
	s_add_u32 s4, s22, s0
	s_addc_u32 s5, s23, s1
	s_lshl_b64 s[14:15], s[26:27], 4
	s_load_dwordx2 s[4:5], s[4:5], 0x0
	v_lshl_add_u32 v2, v1, 4, v0
	v_and_b32_e32 v24, 7, v0
	v_mov_b32_e32 v6, 0
	v_mov_b32_e32 v8, 0
	;; [unrolled: 1-line block ×3, first 2 shown]
	v_and_b32_e32 v3, 31, v2
	v_lshrrev_b32_e32 v4, 3, v2
	v_lshlrev_b32_e32 v5, 4, v24
	v_lshrrev_b32_e32 v27, 5, v2
	v_mov_b32_e32 v14, 0
	v_or_b32_e32 v10, s6, v3
	v_add_nc_u32_e32 v2, s7, v4
	v_lshl_or_b32 v29, v4, 7, v5
	v_lshlrev_b32_e32 v28, 4, v3
	v_mov_b32_e32 v18, 0
	v_mul_lo_u32 v11, s19, v10
	v_mad_u64_u32 v[4:5], null, s18, v10, 0
	v_ashrrev_i32_e32 v3, 31, v2
	s_waitcnt lgkmcnt(0)
	s_add_u32 s11, s4, s14
	s_addc_u32 s14, s5, s15
	s_add_u32 s0, s16, s0
	s_addc_u32 s1, s17, s1
	s_lshl_b64 s[4:5], s[20:21], 4
	s_load_dwordx2 s[0:1], s[0:1], 0x0
	v_cmp_le_i32_e64 s9, s8, v10
	v_cmp_gt_i32_e32 vcc_lo, s8, v2
	v_mov_b32_e32 v16, 0
	v_mov_b32_e32 v22, 0
	;; [unrolled: 1-line block ×3, first 2 shown]
	v_lshlrev_b32_e32 v25, 4, v0
	v_lshl_add_u32 v26, v1, 7, 0x1000
	v_mov_b32_e32 v7, 0
	v_mov_b32_e32 v9, 0
	;; [unrolled: 1-line block ×8, first 2 shown]
	v_lshl_or_b32 v28, v27, 9, v28
	v_add_nc_u32_e32 v29, 0x1000, v29
	s_waitcnt lgkmcnt(0)
	s_add_u32 s4, s0, s4
	s_addc_u32 s5, s1, s5
	s_ashr_i32 s1, s6, 31
	v_cmp_gt_i32_e64 s0, s8, v10
	s_mul_i32 s1, s18, s1
	v_add3_u32 v5, v5, s1, v11
	v_lshlrev_b64 v[10:11], 4, v[2:3]
	v_lshlrev_b64 v[2:3], 4, v[4:5]
	v_add_co_u32 v30, s1, s11, v10
	v_add_co_ci_u32_e64 v31, null, s14, v11, s1
	v_add_co_u32 v32, s1, s4, v2
	v_add_co_ci_u32_e64 v33, null, s5, v3, s1
	v_mov_b32_e32 v3, 0
	s_mov_b64 s[4:5], 0
	s_xor_b32 s1, vcc_lo, -1
                                        ; implicit-def: $vgpr10_vgpr11
	s_branch .LBB553_7
.LBB553_6:                              ;   in Loop: Header=BB553_7 Depth=1
	s_or_b32 exec_lo, exec_lo, s11
	s_waitcnt lgkmcnt(0)
	s_barrier
	buffer_gl0_inv
	ds_read_b128 v[34:37], v26
	ds_read_b128 v[38:41], v25
	ds_read_b128 v[42:45], v25 offset:256
	ds_read_b128 v[46:49], v26 offset:2048
	;; [unrolled: 1-line block ×16, first 2 shown]
	s_add_u32 s4, s4, 8
	s_addc_u32 s5, s5, 0
	v_cmp_gt_i64_e64 s11, s[12:13], s[4:5]
	s_waitcnt lgkmcnt(16)
	v_mul_f64 v[4:5], v[36:37], v[40:41]
	v_mul_f64 v[106:107], v[34:35], v[40:41]
	s_waitcnt lgkmcnt(15)
	v_mul_f64 v[108:109], v[36:37], v[44:45]
	v_mul_f64 v[110:111], v[34:35], v[44:45]
	;; [unrolled: 3-line block ×3, first 2 shown]
	v_mul_f64 v[114:115], v[48:49], v[44:45]
	v_mul_f64 v[44:45], v[46:47], v[44:45]
	s_waitcnt lgkmcnt(12)
	v_mul_f64 v[116:117], v[52:53], v[56:57]
	v_mul_f64 v[118:119], v[50:51], v[56:57]
	s_waitcnt lgkmcnt(11)
	;; [unrolled: 3-line block ×3, first 2 shown]
	v_mul_f64 v[124:125], v[64:65], v[56:57]
	v_mul_f64 v[56:57], v[62:63], v[56:57]
	;; [unrolled: 1-line block ×4, first 2 shown]
	s_waitcnt lgkmcnt(7)
	v_mul_f64 v[132:133], v[76:77], v[68:69]
	v_mul_f64 v[134:135], v[74:75], v[68:69]
	;; [unrolled: 1-line block ×4, first 2 shown]
	s_and_b32 vcc_lo, exec_lo, s11
	v_fma_f64 v[4:5], v[34:35], v[38:39], -v[4:5]
	v_fma_f64 v[106:107], v[36:37], v[38:39], v[106:107]
	v_fma_f64 v[108:109], v[34:35], v[42:43], -v[108:109]
	v_fma_f64 v[110:111], v[36:37], v[42:43], v[110:111]
	;; [unrolled: 2-line block ×8, first 2 shown]
	s_waitcnt lgkmcnt(5)
	v_mul_f64 v[60:61], v[84:85], v[68:69]
	v_mul_f64 v[64:65], v[84:85], v[72:73]
	s_waitcnt lgkmcnt(3)
	v_mul_f64 v[126:127], v[88:89], v[92:93]
	ds_read_b128 v[34:37], v26 offset:64
	ds_read_b128 v[38:41], v26 offset:80
	ds_read_b128 v[42:45], v25 offset:2560
	ds_read_b128 v[46:49], v25 offset:2816
	ds_read_b128 v[50:53], v26 offset:2112
	ds_read_b128 v[54:57], v26 offset:2128
	v_add_f64 v[4:5], v[20:21], v[4:5]
	v_add_f64 v[20:21], v[106:107], v[22:23]
	;; [unrolled: 1-line block ×3, first 2 shown]
	v_mul_f64 v[22:23], v[82:83], v[68:69]
	v_add_f64 v[18:19], v[110:111], v[18:19]
	v_add_f64 v[14:15], v[14:15], v[112:113]
	v_mul_f64 v[68:69], v[82:83], v[72:73]
	v_add_f64 v[12:13], v[128:129], v[12:13]
	v_add_f64 v[8:9], v[8:9], v[114:115]
	;; [unrolled: 1-line block ×3, first 2 shown]
	v_mul_f64 v[72:73], v[80:81], v[92:93]
	v_mul_f64 v[106:107], v[78:79], v[92:93]
	s_waitcnt lgkmcnt(8)
	v_mul_f64 v[108:109], v[80:81], v[96:97]
	v_mul_f64 v[110:111], v[78:79], v[96:97]
	v_fma_f64 v[112:113], v[74:75], v[66:67], -v[132:133]
	v_fma_f64 v[114:115], v[76:77], v[66:67], v[134:135]
	v_fma_f64 v[74:75], v[74:75], v[70:71], -v[136:137]
	v_fma_f64 v[76:77], v[76:77], v[70:71], v[140:141]
	v_mul_f64 v[92:93], v[86:87], v[92:93]
	v_mul_f64 v[128:129], v[88:89], v[96:97]
	v_fma_f64 v[60:61], v[82:83], v[66:67], -v[60:61]
	v_mul_f64 v[96:97], v[86:87], v[96:97]
	v_add_f64 v[4:5], v[4:5], v[116:117]
	v_add_f64 v[20:21], v[118:119], v[20:21]
	;; [unrolled: 1-line block ×3, first 2 shown]
	v_fma_f64 v[22:23], v[84:85], v[66:67], v[22:23]
	v_add_f64 v[18:19], v[122:123], v[18:19]
	v_add_f64 v[14:15], v[14:15], v[124:125]
	v_fma_f64 v[64:65], v[82:83], v[70:71], -v[64:65]
	v_add_f64 v[12:13], v[138:139], v[12:13]
	v_add_f64 v[8:9], v[8:9], v[62:63]
	v_fma_f64 v[66:67], v[84:85], v[70:71], v[68:69]
	v_add_f64 v[6:7], v[58:59], v[6:7]
	s_waitcnt lgkmcnt(5)
	v_mul_f64 v[116:117], v[36:37], v[100:101]
	v_mul_f64 v[118:119], v[34:35], v[100:101]
	;; [unrolled: 1-line block ×4, first 2 shown]
	s_waitcnt lgkmcnt(1)
	v_mul_f64 v[62:63], v[52:53], v[100:101]
	v_fma_f64 v[68:69], v[78:79], v[90:91], -v[72:73]
	v_fma_f64 v[70:71], v[80:81], v[90:91], v[106:107]
	v_fma_f64 v[72:73], v[78:79], v[94:95], -v[108:109]
	v_fma_f64 v[78:79], v[80:81], v[94:95], v[110:111]
	;; [unrolled: 2-line block ×3, first 2 shown]
	v_add_f64 v[4:5], v[4:5], v[112:113]
	v_add_f64 v[20:21], v[114:115], v[20:21]
	;; [unrolled: 1-line block ×3, first 2 shown]
	v_mul_f64 v[74:75], v[52:53], v[104:105]
	v_add_f64 v[18:19], v[76:77], v[18:19]
	v_add_f64 v[14:15], v[14:15], v[60:61]
	v_mul_f64 v[60:61], v[50:51], v[100:101]
	v_mul_f64 v[76:77], v[50:51], v[104:105]
	v_fma_f64 v[86:87], v[86:87], v[94:95], -v[128:129]
	v_add_f64 v[12:13], v[22:23], v[12:13]
	v_add_f64 v[8:9], v[8:9], v[64:65]
	v_fma_f64 v[88:89], v[88:89], v[94:95], v[96:97]
	v_add_f64 v[66:67], v[66:67], v[6:7]
	v_mul_f64 v[80:81], v[40:41], v[44:45]
	v_mul_f64 v[82:83], v[38:39], v[44:45]
	;; [unrolled: 1-line block ×3, first 2 shown]
	v_fma_f64 v[90:91], v[34:35], v[98:99], -v[116:117]
	v_fma_f64 v[92:93], v[36:37], v[98:99], v[118:119]
	v_fma_f64 v[34:35], v[34:35], v[102:103], -v[120:121]
	v_fma_f64 v[36:37], v[36:37], v[102:103], v[122:123]
	v_fma_f64 v[62:63], v[50:51], v[98:99], -v[62:63]
	v_mul_f64 v[94:95], v[38:39], v[48:49]
	v_add_f64 v[68:69], v[4:5], v[68:69]
	v_add_f64 v[70:71], v[70:71], v[20:21]
	;; [unrolled: 1-line block ×3, first 2 shown]
	s_waitcnt lgkmcnt(0)
	v_mul_f64 v[96:97], v[56:57], v[44:45]
	v_add_f64 v[78:79], v[78:79], v[18:19]
	v_add_f64 v[58:59], v[14:15], v[58:59]
	v_mul_f64 v[44:45], v[54:55], v[44:45]
	v_mul_f64 v[100:101], v[56:57], v[48:49]
	;; [unrolled: 1-line block ×3, first 2 shown]
	v_fma_f64 v[60:61], v[52:53], v[98:99], v[60:61]
	v_fma_f64 v[50:51], v[50:51], v[102:103], -v[74:75]
	v_add_f64 v[74:75], v[84:85], v[12:13]
	v_add_f64 v[8:9], v[8:9], v[86:87]
	v_fma_f64 v[52:53], v[52:53], v[102:103], v[76:77]
	v_add_f64 v[66:67], v[88:89], v[66:67]
	ds_read_b128 v[4:7], v26 offset:96
	ds_read_b128 v[12:15], v25 offset:3072
	;; [unrolled: 1-line block ×4, first 2 shown]
	v_fma_f64 v[76:77], v[38:39], v[42:43], -v[80:81]
	v_fma_f64 v[64:65], v[38:39], v[46:47], -v[64:65]
	v_fma_f64 v[80:81], v[40:41], v[46:47], v[94:95]
	v_add_f64 v[68:69], v[68:69], v[90:91]
	v_add_f64 v[70:71], v[92:93], v[70:71]
	;; [unrolled: 1-line block ×5, first 2 shown]
	v_fma_f64 v[62:63], v[40:41], v[42:43], v[82:83]
	v_fma_f64 v[82:83], v[54:55], v[42:43], -v[96:97]
	v_fma_f64 v[84:85], v[56:57], v[42:43], v[44:45]
	v_fma_f64 v[54:55], v[54:55], v[46:47], -v[100:101]
	v_fma_f64 v[56:57], v[56:57], v[46:47], v[48:49]
	v_add_f64 v[60:61], v[60:61], v[74:75]
	v_add_f64 v[8:9], v[8:9], v[50:51]
	s_waitcnt lgkmcnt(2)
	v_mul_f64 v[50:51], v[6:7], v[14:15]
	v_mul_f64 v[74:75], v[4:5], v[14:15]
	s_waitcnt lgkmcnt(1)
	v_mul_f64 v[86:87], v[6:7], v[18:19]
	v_mul_f64 v[88:89], v[4:5], v[18:19]
	;; [unrolled: 3-line block ×3, first 2 shown]
	v_mul_f64 v[92:93], v[22:23], v[18:19]
	v_add_f64 v[52:53], v[52:53], v[66:67]
	v_mul_f64 v[18:19], v[20:21], v[18:19]
	ds_read_b128 v[34:37], v26 offset:112
	ds_read_b128 v[38:41], v26 offset:2160
	;; [unrolled: 1-line block ×4, first 2 shown]
	v_add_f64 v[66:67], v[68:69], v[76:77]
	v_add_f64 v[64:65], v[72:73], v[64:65]
	;; [unrolled: 1-line block ×5, first 2 shown]
	s_waitcnt lgkmcnt(0)
	s_barrier
	buffer_gl0_inv
	v_add_f64 v[60:61], v[84:85], v[60:61]
	v_add_f64 v[8:9], v[8:9], v[54:55]
	v_fma_f64 v[50:51], v[4:5], v[12:13], -v[50:51]
	v_fma_f64 v[54:55], v[6:7], v[12:13], v[74:75]
	v_fma_f64 v[4:5], v[4:5], v[16:17], -v[86:87]
	v_fma_f64 v[6:7], v[6:7], v[16:17], v[88:89]
	;; [unrolled: 2-line block ×3, first 2 shown]
	v_fma_f64 v[14:15], v[20:21], v[16:17], -v[92:93]
	v_add_f64 v[20:21], v[56:57], v[52:53]
	v_fma_f64 v[16:17], v[22:23], v[16:17], v[18:19]
	v_mul_f64 v[18:19], v[36:37], v[44:45]
	v_mul_f64 v[22:23], v[34:35], v[44:45]
	;; [unrolled: 1-line block ×8, first 2 shown]
	v_add_f64 v[50:51], v[66:67], v[50:51]
	v_add_f64 v[54:55], v[54:55], v[62:63]
	;; [unrolled: 1-line block ×8, first 2 shown]
	v_fma_f64 v[14:15], v[34:35], v[42:43], -v[18:19]
	v_fma_f64 v[16:17], v[36:37], v[42:43], v[22:23]
	v_fma_f64 v[18:19], v[34:35], v[46:47], -v[52:53]
	v_fma_f64 v[34:35], v[36:37], v[46:47], v[56:57]
	;; [unrolled: 2-line block ×4, first 2 shown]
	v_add_f64 v[20:21], v[50:51], v[14:15]
	v_add_f64 v[22:23], v[16:17], v[54:55]
	;; [unrolled: 1-line block ×8, first 2 shown]
	s_cbranch_vccz .LBB553_17
.LBB553_7:                              ; =>This Inner Loop Header: Depth=1
	s_mov_b32 s15, s9
	s_mov_b32 s11, 0
	s_and_saveexec_b32 s14, s0
	s_cbranch_execnz .LBB553_15
; %bb.8:                                ;   in Loop: Header=BB553_7 Depth=1
	s_or_b32 exec_lo, exec_lo, s14
	s_and_saveexec_b32 s14, s15
	s_xor_b32 s14, exec_lo, s14
	s_cbranch_execnz .LBB553_16
.LBB553_9:                              ;   in Loop: Header=BB553_7 Depth=1
	s_or_b32 exec_lo, exec_lo, s14
	s_and_saveexec_b32 s14, s11
	s_cbranch_execz .LBB553_11
.LBB553_10:                             ;   in Loop: Header=BB553_7 Depth=1
	v_lshlrev_b64 v[4:5], 4, v[10:11]
	v_add_co_u32 v4, vcc_lo, v32, v4
	v_add_co_ci_u32_e64 v5, null, v33, v5, vcc_lo
	flat_load_dwordx4 v[34:37], v[4:5]
	s_waitcnt vmcnt(0) lgkmcnt(0)
	ds_write2_b64 v28, v[34:35], v[36:37] offset1:1
.LBB553_11:                             ;   in Loop: Header=BB553_7 Depth=1
	s_or_b32 exec_lo, exec_lo, s14
	v_add_nc_u32_e32 v2, s4, v24
	v_cmp_le_u64_e32 vcc_lo, s[12:13], v[2:3]
	s_or_b32 s11, vcc_lo, s1
	s_and_saveexec_b32 s14, s11
	s_xor_b32 s11, exec_lo, s14
	s_cbranch_execz .LBB553_13
; %bb.12:                               ;   in Loop: Header=BB553_7 Depth=1
	v_mov_b32_e32 v2, v3
	v_mov_b32_e32 v4, v3
	;; [unrolled: 1-line block ×3, first 2 shown]
	ds_write_b128 v29, v[2:5]
.LBB553_13:                             ;   in Loop: Header=BB553_7 Depth=1
	s_andn2_saveexec_b32 s11, s11
	s_cbranch_execz .LBB553_6
; %bb.14:                               ;   in Loop: Header=BB553_7 Depth=1
	v_mad_u64_u32 v[4:5], null, s24, v2, 0
	v_mad_u64_u32 v[34:35], null, s25, v2, v[5:6]
	v_mov_b32_e32 v5, v34
	v_lshlrev_b64 v[4:5], 4, v[4:5]
	v_add_co_u32 v4, vcc_lo, v30, v4
	v_add_co_ci_u32_e64 v5, null, v31, v5, vcc_lo
	flat_load_dwordx4 v[34:37], v[4:5]
	s_waitcnt vmcnt(0) lgkmcnt(0)
	ds_write2_b64 v29, v[34:35], v[36:37] offset1:1
	s_branch .LBB553_6
.LBB553_15:                             ;   in Loop: Header=BB553_7 Depth=1
	v_add_nc_u32_e32 v2, s4, v27
	v_mov_b32_e32 v11, v3
	s_andn2_b32 s15, s9, exec_lo
	s_mov_b32 s11, exec_lo
	v_cmp_le_u64_e32 vcc_lo, s[12:13], v[2:3]
	v_mov_b32_e32 v10, v2
	s_and_b32 s16, vcc_lo, exec_lo
	s_or_b32 s15, s15, s16
	s_or_b32 exec_lo, exec_lo, s14
	s_and_saveexec_b32 s14, s15
	s_xor_b32 s14, exec_lo, s14
	s_cbranch_execz .LBB553_9
.LBB553_16:                             ;   in Loop: Header=BB553_7 Depth=1
	v_mov_b32_e32 v2, v3
	v_mov_b32_e32 v4, v3
	;; [unrolled: 1-line block ×3, first 2 shown]
	s_andn2_b32 s11, s11, exec_lo
	ds_write_b128 v28, v[2:5]
	s_or_b32 exec_lo, exec_lo, s14
	s_and_saveexec_b32 s14, s11
	s_cbranch_execnz .LBB553_10
	s_branch .LBB553_11
.LBB553_17:
	v_add_nc_u32_e32 v25, s7, v1
	v_cmp_neq_f64_e64 s5, s[28:29], 0
	s_lshl_b64 s[0:1], s[42:43], 4
	s_waitcnt lgkmcnt(0)
	s_add_u32 s4, s2, s0
	v_ashrrev_i32_e32 v3, 31, v25
	v_mul_lo_u32 v4, s41, v25
	v_mad_u64_u32 v[1:2], null, s40, v25, 0
	s_addc_u32 s3, s3, s1
	v_mul_lo_u32 v3, s40, v3
	s_xor_b32 s2, s10, -1
	v_add3_u32 v2, v2, v3, v4
	v_add_nc_u32_e32 v4, s6, v0
	s_or_b32 s2, s5, s2
	v_lshlrev_b64 v[0:1], 4, v[1:2]
	v_cmp_le_i32_e32 vcc_lo, v25, v4
	v_cmp_gt_i32_e64 s0, s8, v4
	v_ashrrev_i32_e32 v5, 31, v4
	v_cndmask_b32_e64 v24, 0, 1, s2
	v_add_co_u32 v26, s1, s4, v0
	v_add_co_ci_u32_e64 v27, null, s3, v1, s1
	s_and_b32 s5, vcc_lo, s0
	s_and_saveexec_b32 s1, s5
	s_cbranch_execz .LBB553_21
; %bb.18:
	v_mul_f64 v[0:1], s[46:47], v[22:23]
	v_mul_f64 v[2:3], s[44:45], v[22:23]
	v_lshlrev_b64 v[10:11], 4, v[4:5]
	v_add_co_u32 v10, vcc_lo, v26, v10
	v_add_co_ci_u32_e64 v11, null, v27, v11, vcc_lo
	s_andn2_b32 vcc_lo, exec_lo, s2
	v_fma_f64 v[0:1], s[44:45], v[20:21], -v[0:1]
	v_fma_f64 v[2:3], s[46:47], v[20:21], v[2:3]
	s_cbranch_vccnz .LBB553_20
; %bb.19:
	flat_load_dwordx4 v[20:23], v[10:11]
	s_waitcnt vmcnt(0) lgkmcnt(0)
	v_mul_f64 v[28:29], s[30:31], v[22:23]
	v_mul_f64 v[22:23], s[28:29], v[22:23]
	v_fma_f64 v[28:29], s[28:29], v[20:21], -v[28:29]
	v_fma_f64 v[20:21], s[30:31], v[20:21], v[22:23]
	v_add_f64 v[0:1], v[0:1], v[28:29]
	v_add_f64 v[2:3], v[2:3], v[20:21]
.LBB553_20:
	flat_store_dwordx4 v[10:11], v[0:3]
.LBB553_21:
	s_or_b32 exec_lo, exec_lo, s1
	v_add_nc_u32_e32 v10, 16, v4
	v_cmp_le_i32_e32 vcc_lo, v25, v10
	v_cmp_gt_i32_e64 s1, s8, v10
	v_ashrrev_i32_e32 v11, 31, v10
	s_and_b32 s2, vcc_lo, s1
	s_and_saveexec_b32 s5, s2
	s_cbranch_execz .LBB553_25
; %bb.22:
	v_mul_f64 v[0:1], s[46:47], v[18:19]
	v_mul_f64 v[2:3], s[44:45], v[18:19]
	v_cmp_ne_u32_e32 vcc_lo, 1, v24
	s_and_b32 vcc_lo, exec_lo, vcc_lo
	v_fma_f64 v[0:1], s[44:45], v[16:17], -v[0:1]
	v_fma_f64 v[2:3], s[46:47], v[16:17], v[2:3]
	v_lshlrev_b64 v[16:17], 4, v[10:11]
	v_add_co_u32 v16, s2, v26, v16
	v_add_co_ci_u32_e64 v17, null, v27, v17, s2
	s_cbranch_vccnz .LBB553_24
; %bb.23:
	flat_load_dwordx4 v[18:21], v[16:17]
	s_waitcnt vmcnt(0) lgkmcnt(0)
	v_mul_f64 v[22:23], s[30:31], v[20:21]
	v_mul_f64 v[20:21], s[28:29], v[20:21]
	v_fma_f64 v[22:23], s[28:29], v[18:19], -v[22:23]
	v_fma_f64 v[18:19], s[30:31], v[18:19], v[20:21]
	v_add_f64 v[0:1], v[0:1], v[22:23]
	v_add_f64 v[2:3], v[2:3], v[18:19]
.LBB553_24:
	flat_store_dwordx4 v[16:17], v[0:3]
.LBB553_25:
	s_or_b32 exec_lo, exec_lo, s5
	v_add_nc_u32_e32 v18, 16, v25
	v_ashrrev_i32_e32 v2, 31, v18
	v_mul_lo_u32 v3, s41, v18
	v_mad_u64_u32 v[0:1], null, s40, v18, 0
	v_cmp_le_i32_e32 vcc_lo, v18, v4
	v_mul_lo_u32 v2, s40, v2
	s_and_b32 s0, vcc_lo, s0
	v_add3_u32 v1, v1, v2, v3
	v_lshlrev_b64 v[0:1], 4, v[0:1]
	v_add_co_u32 v16, s2, s4, v0
	v_add_co_ci_u32_e64 v17, null, s3, v1, s2
	s_and_saveexec_b32 s2, s0
	s_cbranch_execz .LBB553_29
; %bb.26:
	v_mul_f64 v[0:1], s[46:47], v[12:13]
	v_mul_f64 v[2:3], s[44:45], v[12:13]
	v_lshlrev_b64 v[4:5], 4, v[4:5]
	v_cmp_ne_u32_e32 vcc_lo, 1, v24
	s_and_b32 vcc_lo, exec_lo, vcc_lo
	v_add_co_u32 v4, s0, v16, v4
	v_add_co_ci_u32_e64 v5, null, v17, v5, s0
	v_fma_f64 v[0:1], s[44:45], v[14:15], -v[0:1]
	v_fma_f64 v[2:3], s[46:47], v[14:15], v[2:3]
	s_cbranch_vccnz .LBB553_28
; %bb.27:
	flat_load_dwordx4 v[12:15], v[4:5]
	s_waitcnt vmcnt(0) lgkmcnt(0)
	v_mul_f64 v[19:20], s[30:31], v[14:15]
	v_mul_f64 v[14:15], s[28:29], v[14:15]
	v_fma_f64 v[19:20], s[28:29], v[12:13], -v[19:20]
	v_fma_f64 v[12:13], s[30:31], v[12:13], v[14:15]
	v_add_f64 v[0:1], v[0:1], v[19:20]
	v_add_f64 v[2:3], v[2:3], v[12:13]
.LBB553_28:
	flat_store_dwordx4 v[4:5], v[0:3]
.LBB553_29:
	s_or_b32 exec_lo, exec_lo, s2
	v_cmp_le_i32_e32 vcc_lo, v18, v10
	s_and_b32 s0, vcc_lo, s1
	s_and_saveexec_b32 s1, s0
	s_cbranch_execz .LBB553_34
; %bb.30:
	v_mul_f64 v[0:1], s[46:47], v[6:7]
	v_mul_f64 v[2:3], s[44:45], v[6:7]
	v_lshlrev_b64 v[4:5], 4, v[10:11]
	v_cmp_ne_u32_e32 vcc_lo, 1, v24
	s_and_b32 vcc_lo, exec_lo, vcc_lo
	v_add_co_u32 v4, s0, v16, v4
	v_add_co_ci_u32_e64 v5, null, v17, v5, s0
	v_fma_f64 v[0:1], s[44:45], v[8:9], -v[0:1]
	v_fma_f64 v[2:3], s[46:47], v[8:9], v[2:3]
	s_cbranch_vccnz .LBB553_32
; %bb.31:
	flat_load_dwordx4 v[6:9], v[4:5]
	s_waitcnt vmcnt(0) lgkmcnt(0)
	v_mul_f64 v[10:11], s[30:31], v[8:9]
	v_mul_f64 v[8:9], s[28:29], v[8:9]
	v_fma_f64 v[10:11], s[28:29], v[6:7], -v[10:11]
	v_fma_f64 v[6:7], s[30:31], v[6:7], v[8:9]
	v_add_f64 v[0:1], v[0:1], v[10:11]
	v_add_f64 v[2:3], v[2:3], v[6:7]
.LBB553_32:
	flat_store_dwordx4 v[4:5], v[0:3]
	s_endpgm
.LBB553_33:
.LBB553_34:
	s_endpgm
	.section	.rodata,"a",@progbits
	.p2align	6, 0x0
	.amdhsa_kernel _ZL29rocblas_internal_gemmt_kernelIlLi16ELi32ELi8ELc84ELc84ELc76ELb0ELb0E19rocblas_complex_numIdEPKS1_PKS3_PKPS1_EviT_T9_T10_S9_lSB_S9_lSA_T11_S9_li
		.amdhsa_group_segment_fixed_size 8192
		.amdhsa_private_segment_fixed_size 0
		.amdhsa_kernarg_size 108
		.amdhsa_user_sgpr_count 6
		.amdhsa_user_sgpr_private_segment_buffer 1
		.amdhsa_user_sgpr_dispatch_ptr 0
		.amdhsa_user_sgpr_queue_ptr 0
		.amdhsa_user_sgpr_kernarg_segment_ptr 1
		.amdhsa_user_sgpr_dispatch_id 0
		.amdhsa_user_sgpr_flat_scratch_init 0
		.amdhsa_user_sgpr_private_segment_size 0
		.amdhsa_wavefront_size32 1
		.amdhsa_uses_dynamic_stack 0
		.amdhsa_system_sgpr_private_segment_wavefront_offset 0
		.amdhsa_system_sgpr_workgroup_id_x 1
		.amdhsa_system_sgpr_workgroup_id_y 1
		.amdhsa_system_sgpr_workgroup_id_z 1
		.amdhsa_system_sgpr_workgroup_info 0
		.amdhsa_system_vgpr_workitem_id 1
		.amdhsa_next_free_vgpr 142
		.amdhsa_next_free_sgpr 48
		.amdhsa_reserve_vcc 1
		.amdhsa_reserve_flat_scratch 0
		.amdhsa_float_round_mode_32 0
		.amdhsa_float_round_mode_16_64 0
		.amdhsa_float_denorm_mode_32 3
		.amdhsa_float_denorm_mode_16_64 3
		.amdhsa_dx10_clamp 1
		.amdhsa_ieee_mode 1
		.amdhsa_fp16_overflow 0
		.amdhsa_workgroup_processor_mode 1
		.amdhsa_memory_ordered 1
		.amdhsa_forward_progress 1
		.amdhsa_shared_vgpr_count 0
		.amdhsa_exception_fp_ieee_invalid_op 0
		.amdhsa_exception_fp_denorm_src 0
		.amdhsa_exception_fp_ieee_div_zero 0
		.amdhsa_exception_fp_ieee_overflow 0
		.amdhsa_exception_fp_ieee_underflow 0
		.amdhsa_exception_fp_ieee_inexact 0
		.amdhsa_exception_int_div_zero 0
	.end_amdhsa_kernel
	.section	.text._ZL29rocblas_internal_gemmt_kernelIlLi16ELi32ELi8ELc84ELc84ELc76ELb0ELb0E19rocblas_complex_numIdEPKS1_PKS3_PKPS1_EviT_T9_T10_S9_lSB_S9_lSA_T11_S9_li,"axG",@progbits,_ZL29rocblas_internal_gemmt_kernelIlLi16ELi32ELi8ELc84ELc84ELc76ELb0ELb0E19rocblas_complex_numIdEPKS1_PKS3_PKPS1_EviT_T9_T10_S9_lSB_S9_lSA_T11_S9_li,comdat
.Lfunc_end553:
	.size	_ZL29rocblas_internal_gemmt_kernelIlLi16ELi32ELi8ELc84ELc84ELc76ELb0ELb0E19rocblas_complex_numIdEPKS1_PKS3_PKPS1_EviT_T9_T10_S9_lSB_S9_lSA_T11_S9_li, .Lfunc_end553-_ZL29rocblas_internal_gemmt_kernelIlLi16ELi32ELi8ELc84ELc84ELc76ELb0ELb0E19rocblas_complex_numIdEPKS1_PKS3_PKPS1_EviT_T9_T10_S9_lSB_S9_lSA_T11_S9_li
                                        ; -- End function
	.set _ZL29rocblas_internal_gemmt_kernelIlLi16ELi32ELi8ELc84ELc84ELc76ELb0ELb0E19rocblas_complex_numIdEPKS1_PKS3_PKPS1_EviT_T9_T10_S9_lSB_S9_lSA_T11_S9_li.num_vgpr, 142
	.set _ZL29rocblas_internal_gemmt_kernelIlLi16ELi32ELi8ELc84ELc84ELc76ELb0ELb0E19rocblas_complex_numIdEPKS1_PKS3_PKPS1_EviT_T9_T10_S9_lSB_S9_lSA_T11_S9_li.num_agpr, 0
	.set _ZL29rocblas_internal_gemmt_kernelIlLi16ELi32ELi8ELc84ELc84ELc76ELb0ELb0E19rocblas_complex_numIdEPKS1_PKS3_PKPS1_EviT_T9_T10_S9_lSB_S9_lSA_T11_S9_li.numbered_sgpr, 48
	.set _ZL29rocblas_internal_gemmt_kernelIlLi16ELi32ELi8ELc84ELc84ELc76ELb0ELb0E19rocblas_complex_numIdEPKS1_PKS3_PKPS1_EviT_T9_T10_S9_lSB_S9_lSA_T11_S9_li.num_named_barrier, 0
	.set _ZL29rocblas_internal_gemmt_kernelIlLi16ELi32ELi8ELc84ELc84ELc76ELb0ELb0E19rocblas_complex_numIdEPKS1_PKS3_PKPS1_EviT_T9_T10_S9_lSB_S9_lSA_T11_S9_li.private_seg_size, 0
	.set _ZL29rocblas_internal_gemmt_kernelIlLi16ELi32ELi8ELc84ELc84ELc76ELb0ELb0E19rocblas_complex_numIdEPKS1_PKS3_PKPS1_EviT_T9_T10_S9_lSB_S9_lSA_T11_S9_li.uses_vcc, 1
	.set _ZL29rocblas_internal_gemmt_kernelIlLi16ELi32ELi8ELc84ELc84ELc76ELb0ELb0E19rocblas_complex_numIdEPKS1_PKS3_PKPS1_EviT_T9_T10_S9_lSB_S9_lSA_T11_S9_li.uses_flat_scratch, 0
	.set _ZL29rocblas_internal_gemmt_kernelIlLi16ELi32ELi8ELc84ELc84ELc76ELb0ELb0E19rocblas_complex_numIdEPKS1_PKS3_PKPS1_EviT_T9_T10_S9_lSB_S9_lSA_T11_S9_li.has_dyn_sized_stack, 0
	.set _ZL29rocblas_internal_gemmt_kernelIlLi16ELi32ELi8ELc84ELc84ELc76ELb0ELb0E19rocblas_complex_numIdEPKS1_PKS3_PKPS1_EviT_T9_T10_S9_lSB_S9_lSA_T11_S9_li.has_recursion, 0
	.set _ZL29rocblas_internal_gemmt_kernelIlLi16ELi32ELi8ELc84ELc84ELc76ELb0ELb0E19rocblas_complex_numIdEPKS1_PKS3_PKPS1_EviT_T9_T10_S9_lSB_S9_lSA_T11_S9_li.has_indirect_call, 0
	.section	.AMDGPU.csdata,"",@progbits
; Kernel info:
; codeLenInByte = 3628
; TotalNumSgprs: 50
; NumVgprs: 142
; ScratchSize: 0
; MemoryBound: 0
; FloatMode: 240
; IeeeMode: 1
; LDSByteSize: 8192 bytes/workgroup (compile time only)
; SGPRBlocks: 0
; VGPRBlocks: 17
; NumSGPRsForWavesPerEU: 50
; NumVGPRsForWavesPerEU: 142
; Occupancy: 7
; WaveLimiterHint : 1
; COMPUTE_PGM_RSRC2:SCRATCH_EN: 0
; COMPUTE_PGM_RSRC2:USER_SGPR: 6
; COMPUTE_PGM_RSRC2:TRAP_HANDLER: 0
; COMPUTE_PGM_RSRC2:TGID_X_EN: 1
; COMPUTE_PGM_RSRC2:TGID_Y_EN: 1
; COMPUTE_PGM_RSRC2:TGID_Z_EN: 1
; COMPUTE_PGM_RSRC2:TIDIG_COMP_CNT: 1
	.section	.text._ZL29rocblas_internal_gemmt_kernelIlLi16ELi32ELi8ELc84ELc67ELc76ELb0ELb1E19rocblas_complex_numIdEPKS1_PKS3_PKPS1_EviT_T9_T10_S9_lSB_S9_lSA_T11_S9_li,"axG",@progbits,_ZL29rocblas_internal_gemmt_kernelIlLi16ELi32ELi8ELc84ELc67ELc76ELb0ELb1E19rocblas_complex_numIdEPKS1_PKS3_PKPS1_EviT_T9_T10_S9_lSB_S9_lSA_T11_S9_li,comdat
	.globl	_ZL29rocblas_internal_gemmt_kernelIlLi16ELi32ELi8ELc84ELc67ELc76ELb0ELb1E19rocblas_complex_numIdEPKS1_PKS3_PKPS1_EviT_T9_T10_S9_lSB_S9_lSA_T11_S9_li ; -- Begin function _ZL29rocblas_internal_gemmt_kernelIlLi16ELi32ELi8ELc84ELc67ELc76ELb0ELb1E19rocblas_complex_numIdEPKS1_PKS3_PKPS1_EviT_T9_T10_S9_lSB_S9_lSA_T11_S9_li
	.p2align	8
	.type	_ZL29rocblas_internal_gemmt_kernelIlLi16ELi32ELi8ELc84ELc67ELc76ELb0ELb1E19rocblas_complex_numIdEPKS1_PKS3_PKPS1_EviT_T9_T10_S9_lSB_S9_lSA_T11_S9_li,@function
_ZL29rocblas_internal_gemmt_kernelIlLi16ELi32ELi8ELc84ELc67ELc76ELb0ELb1E19rocblas_complex_numIdEPKS1_PKS3_PKPS1_EviT_T9_T10_S9_lSB_S9_lSA_T11_S9_li: ; @_ZL29rocblas_internal_gemmt_kernelIlLi16ELi32ELi8ELc84ELc67ELc76ELb0ELb1E19rocblas_complex_numIdEPKS1_PKS3_PKPS1_EviT_T9_T10_S9_lSB_S9_lSA_T11_S9_li
; %bb.0:
	s_load_dwordx8 s[36:43], s[4:5], 0x48
	s_waitcnt lgkmcnt(0)
	s_load_dwordx4 s[28:31], s[36:37], 0x0
	s_load_dwordx16 s[12:27], s[4:5], 0x8
	s_waitcnt lgkmcnt(0)
	v_cmp_eq_f64_e64 s0, s[28:29], 1.0
	v_cmp_eq_f64_e64 s10, s[30:31], 0
	s_load_dwordx4 s[44:47], s[14:15], 0x0
	s_and_b32 s0, s0, s10
	s_andn2_b32 vcc_lo, exec_lo, s0
	s_mov_b32 s0, -1
	s_cbranch_vccnz .LBB554_3
; %bb.1:
	s_cmp_lg_u64 s[12:13], 0
	s_cbranch_scc0 .LBB554_31
; %bb.2:
	s_waitcnt lgkmcnt(0)
	v_cmp_neq_f64_e64 s0, s[44:45], 0
	v_cmp_neq_f64_e64 s1, s[46:47], 0
	s_or_b32 s0, s0, s1
.LBB554_3:
	s_and_b32 vcc_lo, exec_lo, s0
	s_cbranch_vccz .LBB554_32
; %bb.4:
	s_waitcnt lgkmcnt(0)
	v_cmp_eq_f64_e64 s11, s[44:45], 0
	v_cmp_eq_f64_e64 s14, s[46:47], 0
	s_mov_b32 s9, 0
	v_mov_b32_e32 v22, 0
	s_lshl_b64 s[0:1], s[8:9], 3
	v_mov_b32_e32 v24, 0
	s_add_u32 s2, s38, s0
	s_addc_u32 s3, s39, s1
	s_load_dword s8, s[4:5], 0x0
	s_load_dwordx2 s[2:3], s[2:3], 0x0
	v_cmp_lt_i64_e64 s4, s[12:13], 1
	v_mov_b32_e32 v18, 0
	v_mov_b32_e32 v20, 0
	;; [unrolled: 1-line block ×13, first 2 shown]
	s_and_b32 s5, s11, s14
	v_mov_b32_e32 v11, 0
	s_or_b32 s4, s5, s4
	s_lshl_b32 s6, s6, 5
	s_and_b32 vcc_lo, exec_lo, s4
	s_lshl_b32 s7, s7, 5
	s_cbranch_vccnz .LBB554_15
; %bb.5:
	s_add_u32 s4, s22, s0
	s_addc_u32 s5, s23, s1
	s_lshl_b64 s[14:15], s[26:27], 4
	s_load_dwordx2 s[4:5], s[4:5], 0x0
	v_lshl_add_u32 v2, v1, 4, v0
	v_and_b32_e32 v26, 7, v0
	v_mov_b32_e32 v10, 0
	v_mov_b32_e32 v12, 0
	;; [unrolled: 1-line block ×3, first 2 shown]
	v_and_b32_e32 v3, 31, v2
	v_lshrrev_b32_e32 v4, 3, v2
	v_lshlrev_b32_e32 v5, 4, v26
	v_lshrrev_b32_e32 v29, 5, v2
	v_mov_b32_e32 v14, 0
	v_or_b32_e32 v6, s6, v3
	v_add_nc_u32_e32 v2, s7, v4
	v_lshl_or_b32 v9, v4, 7, v5
	v_lshlrev_b32_e32 v8, 4, v3
	v_mov_b32_e32 v20, 0
	v_mul_lo_u32 v7, s19, v6
	v_mad_u64_u32 v[4:5], null, s18, v6, 0
	v_ashrrev_i32_e32 v3, 31, v2
	s_waitcnt lgkmcnt(0)
	s_add_u32 s11, s4, s14
	s_addc_u32 s14, s5, s15
	s_add_u32 s0, s16, s0
	s_addc_u32 s1, s17, s1
	s_lshl_b64 s[4:5], s[20:21], 4
	s_load_dwordx2 s[0:1], s[0:1], 0x0
	v_cmp_le_i32_e64 s9, s8, v6
	v_mov_b32_e32 v18, 0
	v_mov_b32_e32 v24, 0
	;; [unrolled: 1-line block ×3, first 2 shown]
	v_lshlrev_b32_e32 v27, 4, v0
	v_lshl_add_u32 v28, v1, 7, 0x1000
	v_mov_b32_e32 v11, 0
	v_mov_b32_e32 v13, 0
	;; [unrolled: 1-line block ×8, first 2 shown]
	v_lshl_or_b32 v30, v29, 9, v8
	v_add_nc_u32_e32 v31, 0x1000, v9
                                        ; implicit-def: $vgpr8_vgpr9
	s_waitcnt lgkmcnt(0)
	s_add_u32 s4, s0, s4
	s_addc_u32 s5, s1, s5
	s_ashr_i32 s1, s6, 31
	v_cmp_gt_i32_e64 s0, s8, v6
	s_mul_i32 s1, s18, s1
	v_add3_u32 v5, v5, s1, v7
	v_lshlrev_b64 v[6:7], 4, v[2:3]
	v_cmp_gt_i32_e64 s1, s8, v2
	v_lshlrev_b64 v[2:3], 4, v[4:5]
	v_add_co_u32 v32, vcc_lo, s11, v6
	v_add_co_ci_u32_e64 v33, null, s14, v7, vcc_lo
	v_add_co_u32 v34, vcc_lo, s4, v2
	v_add_co_ci_u32_e64 v35, null, s5, v3, vcc_lo
	v_mov_b32_e32 v3, 0
	s_mov_b64 s[4:5], 0
	s_branch .LBB554_7
.LBB554_6:                              ;   in Loop: Header=BB554_7 Depth=1
	s_or_b32 exec_lo, exec_lo, s11
	ds_write_b128 v31, v[4:7]
	s_waitcnt lgkmcnt(0)
	s_barrier
	buffer_gl0_inv
	ds_read_b128 v[4:7], v28
	ds_read_b128 v[36:39], v27
	ds_read_b128 v[40:43], v27 offset:256
	ds_read_b128 v[44:47], v28 offset:2048
	;; [unrolled: 1-line block ×11, first 2 shown]
	s_add_u32 s4, s4, 8
	s_addc_u32 s5, s5, 0
	v_cmp_gt_i64_e64 s11, s[12:13], s[4:5]
	s_waitcnt lgkmcnt(11)
	v_mul_f64 v[84:85], v[6:7], v[38:39]
	v_mul_f64 v[86:87], v[4:5], v[38:39]
	s_waitcnt lgkmcnt(10)
	v_mul_f64 v[88:89], v[6:7], v[42:43]
	v_mul_f64 v[90:91], v[4:5], v[42:43]
	;; [unrolled: 3-line block ×3, first 2 shown]
	v_mul_f64 v[94:95], v[46:47], v[42:43]
	v_mul_f64 v[42:43], v[44:45], v[42:43]
	s_waitcnt lgkmcnt(7)
	v_mul_f64 v[96:97], v[50:51], v[54:55]
	v_mul_f64 v[98:99], v[48:49], v[54:55]
	s_waitcnt lgkmcnt(6)
	v_mul_f64 v[100:101], v[50:51], v[58:59]
	s_waitcnt lgkmcnt(5)
	v_mul_f64 v[104:105], v[62:63], v[54:55]
	v_mul_f64 v[54:55], v[60:61], v[54:55]
	;; [unrolled: 1-line block ×5, first 2 shown]
	s_waitcnt lgkmcnt(3)
	v_mul_f64 v[108:109], v[70:71], v[66:67]
	v_mul_f64 v[110:111], v[68:69], v[66:67]
	s_and_b32 vcc_lo, exec_lo, s11
	v_fma_f64 v[84:85], v[4:5], v[36:37], -v[84:85]
	v_fma_f64 v[86:87], v[6:7], v[36:37], v[86:87]
	v_fma_f64 v[88:89], v[4:5], v[40:41], -v[88:89]
	v_fma_f64 v[90:91], v[6:7], v[40:41], v[90:91]
	;; [unrolled: 2-line block ×3, first 2 shown]
	v_fma_f64 v[94:95], v[44:45], v[40:41], -v[94:95]
	ds_read_b128 v[4:7], v27 offset:1536
	s_waitcnt lgkmcnt(3)
	v_mul_f64 v[112:113], v[70:71], v[74:75]
	v_mul_f64 v[114:115], v[68:69], v[74:75]
	v_fma_f64 v[118:119], v[46:47], v[40:41], v[42:43]
	v_fma_f64 v[96:97], v[48:49], v[52:53], -v[96:97]
	v_fma_f64 v[98:99], v[50:51], v[52:53], v[98:99]
	v_fma_f64 v[48:49], v[48:49], v[56:57], -v[100:101]
	s_waitcnt lgkmcnt(2)
	v_mul_f64 v[44:45], v[78:79], v[66:67]
	v_fma_f64 v[100:101], v[60:61], v[52:53], -v[104:105]
	v_fma_f64 v[52:53], v[62:63], v[52:53], v[54:55]
	v_mul_f64 v[46:47], v[76:77], v[66:67]
	v_mul_f64 v[54:55], v[78:79], v[74:75]
	;; [unrolled: 1-line block ×3, first 2 shown]
	v_fma_f64 v[50:51], v[50:51], v[56:57], v[102:103]
	v_fma_f64 v[60:61], v[60:61], v[56:57], -v[106:107]
	v_fma_f64 v[56:57], v[62:63], v[56:57], v[58:59]
	v_fma_f64 v[58:59], v[68:69], v[64:65], -v[108:109]
	v_fma_f64 v[62:63], v[70:71], v[64:65], v[110:111]
	v_add_f64 v[84:85], v[22:23], v[84:85]
	v_add_f64 v[86:87], v[86:87], v[24:25]
	;; [unrolled: 1-line block ×5, first 2 shown]
	v_fma_f64 v[68:69], v[68:69], v[72:73], -v[112:113]
	v_fma_f64 v[70:71], v[70:71], v[72:73], v[114:115]
	v_add_f64 v[106:107], v[116:117], v[16:17]
	ds_read_b128 v[36:39], v27 offset:1792
	ds_read_b128 v[40:43], v28 offset:2096
	s_waitcnt lgkmcnt(2)
	v_mul_f64 v[74:75], v[82:83], v[6:7]
	v_mul_f64 v[102:103], v[80:81], v[6:7]
	v_fma_f64 v[110:111], v[76:77], v[64:65], -v[44:45]
	ds_read_b128 v[14:17], v28 offset:64
	v_fma_f64 v[64:65], v[78:79], v[64:65], v[46:47]
	v_fma_f64 v[76:77], v[76:77], v[72:73], -v[54:55]
	v_fma_f64 v[66:67], v[78:79], v[72:73], v[66:67]
	v_add_f64 v[54:55], v[12:13], v[94:95]
	v_add_f64 v[72:73], v[118:119], v[10:11]
	ds_read_b128 v[18:21], v27 offset:2048
	ds_read_b128 v[22:25], v27 offset:2304
	;; [unrolled: 1-line block ×4, first 2 shown]
	v_add_f64 v[84:85], v[84:85], v[96:97]
	v_add_f64 v[86:87], v[98:99], v[86:87]
	;; [unrolled: 1-line block ×5, first 2 shown]
	s_waitcnt lgkmcnt(6)
	v_mul_f64 v[104:105], v[82:83], v[38:39]
	v_mul_f64 v[108:109], v[80:81], v[38:39]
	s_waitcnt lgkmcnt(5)
	v_mul_f64 v[112:113], v[42:43], v[6:7]
	v_mul_f64 v[6:7], v[40:41], v[6:7]
	v_add_f64 v[52:53], v[52:53], v[106:107]
	v_mul_f64 v[94:95], v[42:43], v[38:39]
	v_mul_f64 v[38:39], v[40:41], v[38:39]
	v_fma_f64 v[74:75], v[80:81], v[4:5], -v[74:75]
	v_fma_f64 v[78:79], v[82:83], v[4:5], v[102:103]
	ds_read_b128 v[48:51], v28 offset:2128
	s_waitcnt lgkmcnt(4)
	v_mul_f64 v[100:101], v[16:17], v[20:21]
	v_mul_f64 v[102:103], v[14:15], v[20:21]
	v_add_f64 v[60:61], v[54:55], v[60:61]
	v_add_f64 v[56:57], v[56:57], v[72:73]
	s_waitcnt lgkmcnt(3)
	v_mul_f64 v[106:107], v[14:15], v[24:25]
	s_waitcnt lgkmcnt(2)
	v_mul_f64 v[72:73], v[46:47], v[20:21]
	v_mul_f64 v[20:21], v[44:45], v[20:21]
	v_add_f64 v[58:59], v[84:85], v[58:59]
	v_add_f64 v[62:63], v[62:63], v[86:87]
	;; [unrolled: 1-line block ×5, first 2 shown]
	v_fma_f64 v[80:81], v[80:81], v[36:37], -v[104:105]
	v_fma_f64 v[82:83], v[82:83], v[36:37], v[108:109]
	v_fma_f64 v[96:97], v[40:41], v[4:5], -v[112:113]
	v_fma_f64 v[98:99], v[42:43], v[4:5], v[6:7]
	v_mul_f64 v[104:105], v[16:17], v[24:25]
	v_add_f64 v[64:65], v[64:65], v[52:53]
	v_mul_f64 v[86:87], v[46:47], v[24:25]
	v_mul_f64 v[24:25], v[44:45], v[24:25]
	v_fma_f64 v[40:41], v[40:41], v[36:37], -v[94:95]
	v_fma_f64 v[42:43], v[42:43], v[36:37], v[38:39]
	ds_read_b128 v[4:7], v28 offset:80
	ds_read_b128 v[52:55], v27 offset:2816
	v_add_f64 v[60:61], v[60:61], v[76:77]
	v_add_f64 v[56:57], v[66:67], v[56:57]
	v_fma_f64 v[90:91], v[14:15], v[18:19], -v[100:101]
	v_fma_f64 v[92:93], v[16:17], v[18:19], v[102:103]
	v_fma_f64 v[100:101], v[16:17], v[22:23], v[106:107]
	v_fma_f64 v[66:67], v[44:45], v[18:19], -v[72:73]
	v_add_f64 v[58:59], v[58:59], v[74:75]
	v_add_f64 v[62:63], v[78:79], v[62:63]
	v_fma_f64 v[72:73], v[46:47], v[18:19], v[20:21]
	v_add_f64 v[68:69], v[68:69], v[80:81]
	v_add_f64 v[70:71], v[82:83], v[70:71]
	v_add_f64 v[74:75], v[84:85], v[96:97]
	s_waitcnt lgkmcnt(2)
	v_mul_f64 v[82:83], v[50:51], v[12:13]
	v_fma_f64 v[94:95], v[14:15], v[22:23], -v[104:105]
	v_add_f64 v[64:65], v[98:99], v[64:65]
	v_fma_f64 v[44:45], v[44:45], v[22:23], -v[86:87]
	v_fma_f64 v[46:47], v[46:47], v[22:23], v[24:25]
	s_waitcnt lgkmcnt(1)
	v_mul_f64 v[88:89], v[6:7], v[12:13]
	v_mul_f64 v[76:77], v[4:5], v[12:13]
	s_waitcnt lgkmcnt(0)
	v_mul_f64 v[78:79], v[6:7], v[54:55]
	v_mul_f64 v[80:81], v[4:5], v[54:55]
	;; [unrolled: 1-line block ×5, first 2 shown]
	v_add_f64 v[40:41], v[60:61], v[40:41]
	v_add_f64 v[42:43], v[42:43], v[56:57]
	ds_read_b128 v[14:17], v28 offset:96
	ds_read_b128 v[18:21], v27 offset:3072
	;; [unrolled: 1-line block ×4, first 2 shown]
	v_add_f64 v[56:57], v[58:59], v[90:91]
	v_add_f64 v[58:59], v[92:93], v[62:63]
	;; [unrolled: 1-line block ×3, first 2 shown]
	v_fma_f64 v[82:83], v[48:49], v[10:11], -v[82:83]
	v_add_f64 v[62:63], v[68:69], v[94:95]
	v_add_f64 v[68:69], v[100:101], v[70:71]
	;; [unrolled: 1-line block ×3, first 2 shown]
	v_fma_f64 v[60:61], v[4:5], v[10:11], -v[88:89]
	v_fma_f64 v[70:71], v[6:7], v[10:11], v[76:77]
	v_fma_f64 v[72:73], v[4:5], v[52:53], -v[78:79]
	v_fma_f64 v[74:75], v[6:7], v[52:53], v[80:81]
	ds_read_b128 v[4:7], v28 offset:112
	v_fma_f64 v[88:89], v[50:51], v[10:11], v[12:13]
	s_waitcnt lgkmcnt(3)
	v_mul_f64 v[76:77], v[16:17], v[20:21]
	v_mul_f64 v[78:79], v[14:15], v[20:21]
	s_waitcnt lgkmcnt(2)
	v_mul_f64 v[80:81], v[16:17], v[38:39]
	v_mul_f64 v[86:87], v[14:15], v[38:39]
	v_fma_f64 v[48:49], v[48:49], v[52:53], -v[84:85]
	v_fma_f64 v[50:51], v[50:51], v[52:53], v[54:55]
	v_add_f64 v[52:53], v[40:41], v[44:45]
	v_add_f64 v[46:47], v[46:47], v[42:43]
	s_waitcnt lgkmcnt(1)
	v_mul_f64 v[54:55], v[24:25], v[20:21]
	v_mul_f64 v[20:21], v[22:23], v[20:21]
	;; [unrolled: 1-line block ×4, first 2 shown]
	ds_read_b128 v[10:13], v28 offset:2160
	ds_read_b128 v[38:41], v27 offset:3584
	;; [unrolled: 1-line block ×3, first 2 shown]
	v_add_f64 v[66:67], v[66:67], v[82:83]
	s_waitcnt lgkmcnt(0)
	v_add_f64 v[56:57], v[56:57], v[60:61]
	v_add_f64 v[58:59], v[70:71], v[58:59]
	;; [unrolled: 1-line block ×4, first 2 shown]
	s_barrier
	v_add_f64 v[64:65], v[88:89], v[64:65]
	v_fma_f64 v[60:61], v[14:15], v[18:19], -v[76:77]
	v_fma_f64 v[70:71], v[16:17], v[18:19], v[78:79]
	v_fma_f64 v[14:15], v[14:15], v[36:37], -v[80:81]
	v_fma_f64 v[16:17], v[16:17], v[36:37], v[86:87]
	buffer_gl0_inv
	v_add_f64 v[48:49], v[52:53], v[48:49]
	v_add_f64 v[46:47], v[50:51], v[46:47]
	v_fma_f64 v[50:51], v[22:23], v[18:19], -v[54:55]
	v_fma_f64 v[18:19], v[24:25], v[18:19], v[20:21]
	v_fma_f64 v[20:21], v[22:23], v[36:37], -v[84:85]
	v_fma_f64 v[22:23], v[24:25], v[36:37], v[90:91]
	v_mul_f64 v[24:25], v[6:7], v[40:41]
	v_mul_f64 v[36:37], v[4:5], v[40:41]
	;; [unrolled: 1-line block ×8, first 2 shown]
	v_add_f64 v[56:57], v[56:57], v[60:61]
	v_add_f64 v[58:59], v[70:71], v[58:59]
	;; [unrolled: 1-line block ×8, first 2 shown]
	v_fma_f64 v[18:19], v[4:5], v[38:39], -v[24:25]
	v_fma_f64 v[20:21], v[6:7], v[38:39], v[36:37]
	v_fma_f64 v[4:5], v[4:5], v[42:43], -v[52:53]
	v_fma_f64 v[6:7], v[6:7], v[42:43], v[54:55]
	;; [unrolled: 2-line block ×4, first 2 shown]
	v_add_f64 v[22:23], v[56:57], v[18:19]
	v_add_f64 v[24:25], v[20:21], v[58:59]
	;; [unrolled: 1-line block ×8, first 2 shown]
	s_cbranch_vccz .LBB554_15
.LBB554_7:                              ; =>This Inner Loop Header: Depth=1
	s_mov_b32 s15, s9
	s_mov_b32 s11, 0
	s_and_saveexec_b32 s14, s0
	s_cbranch_execnz .LBB554_13
; %bb.8:                                ;   in Loop: Header=BB554_7 Depth=1
	s_or_b32 exec_lo, exec_lo, s14
	s_and_saveexec_b32 s14, s15
	s_xor_b32 s14, exec_lo, s14
	s_cbranch_execnz .LBB554_14
.LBB554_9:                              ;   in Loop: Header=BB554_7 Depth=1
	s_or_b32 exec_lo, exec_lo, s14
	s_and_saveexec_b32 s14, s11
	s_cbranch_execz .LBB554_11
.LBB554_10:                             ;   in Loop: Header=BB554_7 Depth=1
	v_lshlrev_b64 v[4:5], 4, v[8:9]
	v_add_co_u32 v4, vcc_lo, v34, v4
	v_add_co_ci_u32_e64 v5, null, v35, v5, vcc_lo
	flat_load_dwordx4 v[4:7], v[4:5]
	s_waitcnt vmcnt(0) lgkmcnt(0)
	ds_write2_b64 v30, v[4:5], v[6:7] offset1:1
.LBB554_11:                             ;   in Loop: Header=BB554_7 Depth=1
	s_or_b32 exec_lo, exec_lo, s14
	v_add_nc_u32_e32 v2, s4, v26
	v_mov_b32_e32 v4, 0
	v_mov_b32_e32 v6, 0
	v_mov_b32_e32 v5, 0
	v_mov_b32_e32 v7, 0
	v_cmp_gt_u64_e32 vcc_lo, s[12:13], v[2:3]
	s_and_b32 s14, vcc_lo, s1
	s_and_saveexec_b32 s11, s14
	s_cbranch_execz .LBB554_6
; %bb.12:                               ;   in Loop: Header=BB554_7 Depth=1
	v_mad_u64_u32 v[4:5], null, s24, v2, 0
	v_mad_u64_u32 v[5:6], null, s25, v2, v[5:6]
	v_lshlrev_b64 v[4:5], 4, v[4:5]
	v_add_co_u32 v4, vcc_lo, v32, v4
	v_add_co_ci_u32_e64 v5, null, v33, v5, vcc_lo
	flat_load_dwordx4 v[4:7], v[4:5]
	s_waitcnt vmcnt(0) lgkmcnt(0)
	v_xor_b32_e32 v7, 0x80000000, v7
	s_branch .LBB554_6
.LBB554_13:                             ;   in Loop: Header=BB554_7 Depth=1
	v_add_nc_u32_e32 v2, s4, v29
	v_mov_b32_e32 v9, v3
	s_andn2_b32 s15, s9, exec_lo
	s_mov_b32 s11, exec_lo
	v_cmp_le_u64_e32 vcc_lo, s[12:13], v[2:3]
	v_mov_b32_e32 v8, v2
	s_and_b32 s16, vcc_lo, exec_lo
	s_or_b32 s15, s15, s16
	s_or_b32 exec_lo, exec_lo, s14
	s_and_saveexec_b32 s14, s15
	s_xor_b32 s14, exec_lo, s14
	s_cbranch_execz .LBB554_9
.LBB554_14:                             ;   in Loop: Header=BB554_7 Depth=1
	v_mov_b32_e32 v2, v3
	v_mov_b32_e32 v4, v3
	;; [unrolled: 1-line block ×3, first 2 shown]
	s_andn2_b32 s11, s11, exec_lo
	ds_write_b128 v30, v[2:5]
	s_or_b32 exec_lo, exec_lo, s14
	s_and_saveexec_b32 s14, s11
	s_cbranch_execnz .LBB554_10
	s_branch .LBB554_11
.LBB554_15:
	v_add_nc_u32_e32 v27, s7, v1
	v_cmp_neq_f64_e64 s5, s[28:29], 0
	s_lshl_b64 s[0:1], s[42:43], 4
	s_waitcnt lgkmcnt(0)
	s_add_u32 s4, s2, s0
	v_ashrrev_i32_e32 v3, 31, v27
	v_mul_lo_u32 v4, s41, v27
	v_mad_u64_u32 v[1:2], null, s40, v27, 0
	s_addc_u32 s3, s3, s1
	v_mul_lo_u32 v3, s40, v3
	s_xor_b32 s2, s10, -1
	v_add3_u32 v2, v2, v3, v4
	v_add_nc_u32_e32 v4, s6, v0
	s_or_b32 s2, s5, s2
	v_lshlrev_b64 v[0:1], 4, v[1:2]
	v_cmp_le_i32_e32 vcc_lo, v27, v4
	v_cmp_gt_i32_e64 s0, s8, v4
	v_ashrrev_i32_e32 v5, 31, v4
	v_cndmask_b32_e64 v26, 0, 1, s2
	v_add_co_u32 v8, s1, s4, v0
	v_add_co_ci_u32_e64 v9, null, s3, v1, s1
	s_and_b32 s5, vcc_lo, s0
	s_and_saveexec_b32 s1, s5
	s_cbranch_execz .LBB554_19
; %bb.16:
	v_mul_f64 v[0:1], s[46:47], v[24:25]
	v_mul_f64 v[2:3], s[44:45], v[24:25]
	v_lshlrev_b64 v[6:7], 4, v[4:5]
	v_add_co_u32 v6, vcc_lo, v8, v6
	v_add_co_ci_u32_e64 v7, null, v9, v7, vcc_lo
	s_andn2_b32 vcc_lo, exec_lo, s2
	v_fma_f64 v[0:1], s[44:45], v[22:23], -v[0:1]
	v_fma_f64 v[2:3], s[46:47], v[22:23], v[2:3]
	s_cbranch_vccnz .LBB554_18
; %bb.17:
	flat_load_dwordx4 v[22:25], v[6:7]
	s_waitcnt vmcnt(0) lgkmcnt(0)
	v_mul_f64 v[28:29], s[30:31], v[24:25]
	v_mul_f64 v[24:25], s[28:29], v[24:25]
	v_fma_f64 v[28:29], s[28:29], v[22:23], -v[28:29]
	v_fma_f64 v[22:23], s[30:31], v[22:23], v[24:25]
	v_add_f64 v[0:1], v[0:1], v[28:29]
	v_add_f64 v[2:3], v[2:3], v[22:23]
.LBB554_18:
	flat_store_dwordx4 v[6:7], v[0:3]
.LBB554_19:
	s_or_b32 exec_lo, exec_lo, s1
	v_add_nc_u32_e32 v6, 16, v4
	v_cmp_le_i32_e32 vcc_lo, v27, v6
	v_cmp_gt_i32_e64 s1, s8, v6
	v_ashrrev_i32_e32 v7, 31, v6
	s_and_b32 s2, vcc_lo, s1
	s_and_saveexec_b32 s5, s2
	s_cbranch_execz .LBB554_23
; %bb.20:
	v_mul_f64 v[0:1], s[46:47], v[20:21]
	v_mul_f64 v[2:3], s[44:45], v[20:21]
	v_cmp_ne_u32_e32 vcc_lo, 1, v26
	s_and_b32 vcc_lo, exec_lo, vcc_lo
	v_fma_f64 v[0:1], s[44:45], v[18:19], -v[0:1]
	v_fma_f64 v[2:3], s[46:47], v[18:19], v[2:3]
	v_lshlrev_b64 v[18:19], 4, v[6:7]
	v_add_co_u32 v8, s2, v8, v18
	v_add_co_ci_u32_e64 v9, null, v9, v19, s2
	s_cbranch_vccnz .LBB554_22
; %bb.21:
	flat_load_dwordx4 v[18:21], v[8:9]
	s_waitcnt vmcnt(0) lgkmcnt(0)
	v_mul_f64 v[22:23], s[30:31], v[20:21]
	v_mul_f64 v[20:21], s[28:29], v[20:21]
	v_fma_f64 v[22:23], s[28:29], v[18:19], -v[22:23]
	v_fma_f64 v[18:19], s[30:31], v[18:19], v[20:21]
	v_add_f64 v[0:1], v[0:1], v[22:23]
	v_add_f64 v[2:3], v[2:3], v[18:19]
.LBB554_22:
	flat_store_dwordx4 v[8:9], v[0:3]
.LBB554_23:
	s_or_b32 exec_lo, exec_lo, s5
	v_add_nc_u32_e32 v18, 16, v27
	v_ashrrev_i32_e32 v2, 31, v18
	v_mul_lo_u32 v3, s41, v18
	v_mad_u64_u32 v[0:1], null, s40, v18, 0
	v_cmp_le_i32_e32 vcc_lo, v18, v4
	v_mul_lo_u32 v2, s40, v2
	s_and_b32 s0, vcc_lo, s0
	v_add3_u32 v1, v1, v2, v3
	v_lshlrev_b64 v[0:1], 4, v[0:1]
	v_add_co_u32 v8, s2, s4, v0
	v_add_co_ci_u32_e64 v9, null, s3, v1, s2
	s_and_saveexec_b32 s2, s0
	s_cbranch_execz .LBB554_27
; %bb.24:
	v_mul_f64 v[0:1], s[46:47], v[16:17]
	v_mul_f64 v[2:3], s[44:45], v[16:17]
	v_lshlrev_b64 v[4:5], 4, v[4:5]
	v_cmp_ne_u32_e32 vcc_lo, 1, v26
	s_and_b32 vcc_lo, exec_lo, vcc_lo
	v_add_co_u32 v4, s0, v8, v4
	v_add_co_ci_u32_e64 v5, null, v9, v5, s0
	v_fma_f64 v[0:1], s[44:45], v[14:15], -v[0:1]
	v_fma_f64 v[2:3], s[46:47], v[14:15], v[2:3]
	s_cbranch_vccnz .LBB554_26
; %bb.25:
	flat_load_dwordx4 v[14:17], v[4:5]
	s_waitcnt vmcnt(0) lgkmcnt(0)
	v_mul_f64 v[19:20], s[30:31], v[16:17]
	v_mul_f64 v[16:17], s[28:29], v[16:17]
	v_fma_f64 v[19:20], s[28:29], v[14:15], -v[19:20]
	v_fma_f64 v[14:15], s[30:31], v[14:15], v[16:17]
	v_add_f64 v[0:1], v[0:1], v[19:20]
	v_add_f64 v[2:3], v[2:3], v[14:15]
.LBB554_26:
	flat_store_dwordx4 v[4:5], v[0:3]
.LBB554_27:
	s_or_b32 exec_lo, exec_lo, s2
	v_cmp_le_i32_e32 vcc_lo, v18, v6
	s_and_b32 s0, vcc_lo, s1
	s_and_saveexec_b32 s1, s0
	s_cbranch_execz .LBB554_32
; %bb.28:
	v_mul_f64 v[0:1], s[46:47], v[10:11]
	v_mul_f64 v[2:3], s[44:45], v[10:11]
	v_lshlrev_b64 v[4:5], 4, v[6:7]
	v_cmp_ne_u32_e32 vcc_lo, 1, v26
	s_and_b32 vcc_lo, exec_lo, vcc_lo
	v_add_co_u32 v4, s0, v8, v4
	v_add_co_ci_u32_e64 v5, null, v9, v5, s0
	v_fma_f64 v[0:1], s[44:45], v[12:13], -v[0:1]
	v_fma_f64 v[2:3], s[46:47], v[12:13], v[2:3]
	s_cbranch_vccnz .LBB554_30
; %bb.29:
	flat_load_dwordx4 v[6:9], v[4:5]
	s_waitcnt vmcnt(0) lgkmcnt(0)
	v_mul_f64 v[10:11], s[30:31], v[8:9]
	v_mul_f64 v[8:9], s[28:29], v[8:9]
	v_fma_f64 v[10:11], s[28:29], v[6:7], -v[10:11]
	v_fma_f64 v[6:7], s[30:31], v[6:7], v[8:9]
	v_add_f64 v[0:1], v[0:1], v[10:11]
	v_add_f64 v[2:3], v[2:3], v[6:7]
.LBB554_30:
	flat_store_dwordx4 v[4:5], v[0:3]
	s_endpgm
.LBB554_31:
.LBB554_32:
	s_endpgm
	.section	.rodata,"a",@progbits
	.p2align	6, 0x0
	.amdhsa_kernel _ZL29rocblas_internal_gemmt_kernelIlLi16ELi32ELi8ELc84ELc67ELc76ELb0ELb1E19rocblas_complex_numIdEPKS1_PKS3_PKPS1_EviT_T9_T10_S9_lSB_S9_lSA_T11_S9_li
		.amdhsa_group_segment_fixed_size 8192
		.amdhsa_private_segment_fixed_size 0
		.amdhsa_kernarg_size 108
		.amdhsa_user_sgpr_count 6
		.amdhsa_user_sgpr_private_segment_buffer 1
		.amdhsa_user_sgpr_dispatch_ptr 0
		.amdhsa_user_sgpr_queue_ptr 0
		.amdhsa_user_sgpr_kernarg_segment_ptr 1
		.amdhsa_user_sgpr_dispatch_id 0
		.amdhsa_user_sgpr_flat_scratch_init 0
		.amdhsa_user_sgpr_private_segment_size 0
		.amdhsa_wavefront_size32 1
		.amdhsa_uses_dynamic_stack 0
		.amdhsa_system_sgpr_private_segment_wavefront_offset 0
		.amdhsa_system_sgpr_workgroup_id_x 1
		.amdhsa_system_sgpr_workgroup_id_y 1
		.amdhsa_system_sgpr_workgroup_id_z 1
		.amdhsa_system_sgpr_workgroup_info 0
		.amdhsa_system_vgpr_workitem_id 1
		.amdhsa_next_free_vgpr 120
		.amdhsa_next_free_sgpr 48
		.amdhsa_reserve_vcc 1
		.amdhsa_reserve_flat_scratch 0
		.amdhsa_float_round_mode_32 0
		.amdhsa_float_round_mode_16_64 0
		.amdhsa_float_denorm_mode_32 3
		.amdhsa_float_denorm_mode_16_64 3
		.amdhsa_dx10_clamp 1
		.amdhsa_ieee_mode 1
		.amdhsa_fp16_overflow 0
		.amdhsa_workgroup_processor_mode 1
		.amdhsa_memory_ordered 1
		.amdhsa_forward_progress 1
		.amdhsa_shared_vgpr_count 0
		.amdhsa_exception_fp_ieee_invalid_op 0
		.amdhsa_exception_fp_denorm_src 0
		.amdhsa_exception_fp_ieee_div_zero 0
		.amdhsa_exception_fp_ieee_overflow 0
		.amdhsa_exception_fp_ieee_underflow 0
		.amdhsa_exception_fp_ieee_inexact 0
		.amdhsa_exception_int_div_zero 0
	.end_amdhsa_kernel
	.section	.text._ZL29rocblas_internal_gemmt_kernelIlLi16ELi32ELi8ELc84ELc67ELc76ELb0ELb1E19rocblas_complex_numIdEPKS1_PKS3_PKPS1_EviT_T9_T10_S9_lSB_S9_lSA_T11_S9_li,"axG",@progbits,_ZL29rocblas_internal_gemmt_kernelIlLi16ELi32ELi8ELc84ELc67ELc76ELb0ELb1E19rocblas_complex_numIdEPKS1_PKS3_PKPS1_EviT_T9_T10_S9_lSB_S9_lSA_T11_S9_li,comdat
.Lfunc_end554:
	.size	_ZL29rocblas_internal_gemmt_kernelIlLi16ELi32ELi8ELc84ELc67ELc76ELb0ELb1E19rocblas_complex_numIdEPKS1_PKS3_PKPS1_EviT_T9_T10_S9_lSB_S9_lSA_T11_S9_li, .Lfunc_end554-_ZL29rocblas_internal_gemmt_kernelIlLi16ELi32ELi8ELc84ELc67ELc76ELb0ELb1E19rocblas_complex_numIdEPKS1_PKS3_PKPS1_EviT_T9_T10_S9_lSB_S9_lSA_T11_S9_li
                                        ; -- End function
	.set _ZL29rocblas_internal_gemmt_kernelIlLi16ELi32ELi8ELc84ELc67ELc76ELb0ELb1E19rocblas_complex_numIdEPKS1_PKS3_PKPS1_EviT_T9_T10_S9_lSB_S9_lSA_T11_S9_li.num_vgpr, 120
	.set _ZL29rocblas_internal_gemmt_kernelIlLi16ELi32ELi8ELc84ELc67ELc76ELb0ELb1E19rocblas_complex_numIdEPKS1_PKS3_PKPS1_EviT_T9_T10_S9_lSB_S9_lSA_T11_S9_li.num_agpr, 0
	.set _ZL29rocblas_internal_gemmt_kernelIlLi16ELi32ELi8ELc84ELc67ELc76ELb0ELb1E19rocblas_complex_numIdEPKS1_PKS3_PKPS1_EviT_T9_T10_S9_lSB_S9_lSA_T11_S9_li.numbered_sgpr, 48
	.set _ZL29rocblas_internal_gemmt_kernelIlLi16ELi32ELi8ELc84ELc67ELc76ELb0ELb1E19rocblas_complex_numIdEPKS1_PKS3_PKPS1_EviT_T9_T10_S9_lSB_S9_lSA_T11_S9_li.num_named_barrier, 0
	.set _ZL29rocblas_internal_gemmt_kernelIlLi16ELi32ELi8ELc84ELc67ELc76ELb0ELb1E19rocblas_complex_numIdEPKS1_PKS3_PKPS1_EviT_T9_T10_S9_lSB_S9_lSA_T11_S9_li.private_seg_size, 0
	.set _ZL29rocblas_internal_gemmt_kernelIlLi16ELi32ELi8ELc84ELc67ELc76ELb0ELb1E19rocblas_complex_numIdEPKS1_PKS3_PKPS1_EviT_T9_T10_S9_lSB_S9_lSA_T11_S9_li.uses_vcc, 1
	.set _ZL29rocblas_internal_gemmt_kernelIlLi16ELi32ELi8ELc84ELc67ELc76ELb0ELb1E19rocblas_complex_numIdEPKS1_PKS3_PKPS1_EviT_T9_T10_S9_lSB_S9_lSA_T11_S9_li.uses_flat_scratch, 0
	.set _ZL29rocblas_internal_gemmt_kernelIlLi16ELi32ELi8ELc84ELc67ELc76ELb0ELb1E19rocblas_complex_numIdEPKS1_PKS3_PKPS1_EviT_T9_T10_S9_lSB_S9_lSA_T11_S9_li.has_dyn_sized_stack, 0
	.set _ZL29rocblas_internal_gemmt_kernelIlLi16ELi32ELi8ELc84ELc67ELc76ELb0ELb1E19rocblas_complex_numIdEPKS1_PKS3_PKPS1_EviT_T9_T10_S9_lSB_S9_lSA_T11_S9_li.has_recursion, 0
	.set _ZL29rocblas_internal_gemmt_kernelIlLi16ELi32ELi8ELc84ELc67ELc76ELb0ELb1E19rocblas_complex_numIdEPKS1_PKS3_PKPS1_EviT_T9_T10_S9_lSB_S9_lSA_T11_S9_li.has_indirect_call, 0
	.section	.AMDGPU.csdata,"",@progbits
; Kernel info:
; codeLenInByte = 3636
; TotalNumSgprs: 50
; NumVgprs: 120
; ScratchSize: 0
; MemoryBound: 1
; FloatMode: 240
; IeeeMode: 1
; LDSByteSize: 8192 bytes/workgroup (compile time only)
; SGPRBlocks: 0
; VGPRBlocks: 14
; NumSGPRsForWavesPerEU: 50
; NumVGPRsForWavesPerEU: 120
; Occupancy: 8
; WaveLimiterHint : 1
; COMPUTE_PGM_RSRC2:SCRATCH_EN: 0
; COMPUTE_PGM_RSRC2:USER_SGPR: 6
; COMPUTE_PGM_RSRC2:TRAP_HANDLER: 0
; COMPUTE_PGM_RSRC2:TGID_X_EN: 1
; COMPUTE_PGM_RSRC2:TGID_Y_EN: 1
; COMPUTE_PGM_RSRC2:TGID_Z_EN: 1
; COMPUTE_PGM_RSRC2:TIDIG_COMP_CNT: 1
	.section	.text._ZL29rocblas_internal_gemmt_kernelIlLi16ELi32ELi8ELc67ELc78ELc76ELb1ELb0E19rocblas_complex_numIdEPKS1_PKS3_PKPS1_EviT_T9_T10_S9_lSB_S9_lSA_T11_S9_li,"axG",@progbits,_ZL29rocblas_internal_gemmt_kernelIlLi16ELi32ELi8ELc67ELc78ELc76ELb1ELb0E19rocblas_complex_numIdEPKS1_PKS3_PKPS1_EviT_T9_T10_S9_lSB_S9_lSA_T11_S9_li,comdat
	.globl	_ZL29rocblas_internal_gemmt_kernelIlLi16ELi32ELi8ELc67ELc78ELc76ELb1ELb0E19rocblas_complex_numIdEPKS1_PKS3_PKPS1_EviT_T9_T10_S9_lSB_S9_lSA_T11_S9_li ; -- Begin function _ZL29rocblas_internal_gemmt_kernelIlLi16ELi32ELi8ELc67ELc78ELc76ELb1ELb0E19rocblas_complex_numIdEPKS1_PKS3_PKPS1_EviT_T9_T10_S9_lSB_S9_lSA_T11_S9_li
	.p2align	8
	.type	_ZL29rocblas_internal_gemmt_kernelIlLi16ELi32ELi8ELc67ELc78ELc76ELb1ELb0E19rocblas_complex_numIdEPKS1_PKS3_PKPS1_EviT_T9_T10_S9_lSB_S9_lSA_T11_S9_li,@function
_ZL29rocblas_internal_gemmt_kernelIlLi16ELi32ELi8ELc67ELc78ELc76ELb1ELb0E19rocblas_complex_numIdEPKS1_PKS3_PKPS1_EviT_T9_T10_S9_lSB_S9_lSA_T11_S9_li: ; @_ZL29rocblas_internal_gemmt_kernelIlLi16ELi32ELi8ELc67ELc78ELc76ELb1ELb0E19rocblas_complex_numIdEPKS1_PKS3_PKPS1_EviT_T9_T10_S9_lSB_S9_lSA_T11_S9_li
; %bb.0:
	s_load_dwordx8 s[36:43], s[4:5], 0x48
	s_waitcnt lgkmcnt(0)
	s_load_dwordx4 s[28:31], s[36:37], 0x0
	s_load_dwordx16 s[12:27], s[4:5], 0x8
	s_waitcnt lgkmcnt(0)
	v_cmp_eq_f64_e64 s0, s[28:29], 1.0
	v_cmp_eq_f64_e64 s10, s[30:31], 0
	s_load_dwordx4 s[44:47], s[14:15], 0x0
	s_and_b32 s0, s0, s10
	s_andn2_b32 vcc_lo, exec_lo, s0
	s_mov_b32 s0, -1
	s_cbranch_vccnz .LBB555_3
; %bb.1:
	s_cmp_lg_u64 s[12:13], 0
	s_cbranch_scc0 .LBB555_31
; %bb.2:
	s_waitcnt lgkmcnt(0)
	v_cmp_neq_f64_e64 s0, s[44:45], 0
	v_cmp_neq_f64_e64 s1, s[46:47], 0
	s_or_b32 s0, s0, s1
.LBB555_3:
	s_and_b32 vcc_lo, exec_lo, s0
	s_cbranch_vccz .LBB555_32
; %bb.4:
	s_waitcnt lgkmcnt(0)
	v_cmp_eq_f64_e64 s11, s[44:45], 0
	v_cmp_eq_f64_e64 s14, s[46:47], 0
	s_mov_b32 s9, 0
	v_mov_b32_e32 v20, 0
	s_lshl_b64 s[0:1], s[8:9], 3
	v_mov_b32_e32 v22, 0
	s_add_u32 s2, s38, s0
	s_addc_u32 s3, s39, s1
	s_load_dword s8, s[4:5], 0x0
	s_load_dwordx2 s[2:3], s[2:3], 0x0
	v_cmp_lt_i64_e64 s4, s[12:13], 1
	v_mov_b32_e32 v18, 0
	v_mov_b32_e32 v16, 0
	v_mov_b32_e32 v14, 0
	v_mov_b32_e32 v12, 0
	v_mov_b32_e32 v10, 0
	v_mov_b32_e32 v8, 0
	v_mov_b32_e32 v21, 0
	v_mov_b32_e32 v23, 0
	v_mov_b32_e32 v19, 0
	v_mov_b32_e32 v17, 0
	v_mov_b32_e32 v15, 0
	v_mov_b32_e32 v13, 0
	v_mov_b32_e32 v11, 0
	s_and_b32 s5, s11, s14
	v_mov_b32_e32 v9, 0
	s_or_b32 s4, s5, s4
	s_lshl_b32 s6, s6, 5
	s_and_b32 vcc_lo, exec_lo, s4
	s_lshl_b32 s7, s7, 5
	s_cbranch_vccnz .LBB555_15
; %bb.5:
	s_add_u32 s4, s22, s0
	s_addc_u32 s5, s23, s1
	s_lshl_b64 s[14:15], s[26:27], 4
	s_load_dwordx2 s[4:5], s[4:5], 0x0
	v_lshl_add_u32 v4, v1, 4, v0
	v_and_b32_e32 v24, 7, v0
	v_mov_b32_e32 v8, 0
	v_mov_b32_e32 v10, 0
	;; [unrolled: 1-line block ×3, first 2 shown]
	v_lshrrev_b32_e32 v6, 3, v4
	v_and_b32_e32 v5, 31, v4
	v_lshlrev_b32_e32 v31, 4, v24
	v_mov_b32_e32 v14, 0
	v_mov_b32_e32 v16, 0
	v_add_nc_u32_e32 v7, s7, v6
	v_or_b32_e32 v28, s6, v5
	v_lshlrev_b32_e32 v32, 4, v5
	v_lshl_or_b32 v6, v6, 7, v31
	v_mov_b32_e32 v18, 0
	v_ashrrev_i32_e32 v27, 31, v7
	v_mul_lo_u32 v29, s25, v7
	v_mad_u64_u32 v[2:3], null, s24, v7, 0
	s_waitcnt lgkmcnt(0)
	s_add_u32 s9, s4, s14
	s_addc_u32 s11, s5, s15
	s_add_u32 s0, s16, s0
	s_addc_u32 s1, s17, s1
	v_mul_lo_u32 v30, s24, v27
	s_load_dwordx2 s[0:1], s[0:1], 0x0
	v_lshrrev_b32_e32 v27, 5, v4
	v_mul_lo_u32 v33, s19, v28
	v_mad_u64_u32 v[4:5], null, s18, v28, 0
	s_lshl_b64 s[4:5], s[20:21], 4
	v_cmp_gt_i32_e32 vcc_lo, s8, v7
	v_add3_u32 v3, v3, v30, v29
	v_mov_b32_e32 v22, 0
	v_mov_b32_e32 v20, 0
	v_lshlrev_b32_e32 v25, 4, v0
	v_lshl_add_u32 v26, v1, 7, 0x1000
	v_lshlrev_b64 v[2:3], 4, v[2:3]
	v_mov_b32_e32 v9, 0
	v_mov_b32_e32 v11, 0
	;; [unrolled: 1-line block ×7, first 2 shown]
	s_waitcnt lgkmcnt(0)
	s_add_u32 s4, s0, s4
	s_addc_u32 s5, s1, s5
	s_ashr_i32 s0, s6, 31
	v_mov_b32_e32 v21, 0
	s_mul_i32 s1, s18, s0
	v_cmp_gt_i32_e64 s0, s8, v28
	v_add3_u32 v5, v5, s1, v33
	v_add_co_u32 v30, s1, s9, v2
	v_lshl_or_b32 v28, v27, 9, v32
	v_add_co_ci_u32_e64 v31, null, s11, v3, s1
	v_lshlrev_b64 v[4:5], 4, v[4:5]
	v_add_nc_u32_e32 v29, 0x1000, v6
	v_mov_b32_e32 v3, 0
	v_add_co_u32 v32, s1, s4, v4
	v_add_co_ci_u32_e64 v33, null, s5, v5, s1
	s_mov_b64 s[4:5], 0
	s_xor_b32 s1, vcc_lo, -1
	s_branch .LBB555_7
.LBB555_6:                              ;   in Loop: Header=BB555_7 Depth=1
	s_or_b32 exec_lo, exec_lo, s9
	s_waitcnt lgkmcnt(0)
	s_barrier
	buffer_gl0_inv
	ds_read_b128 v[4:7], v26
	ds_read_b128 v[34:37], v25
	ds_read_b128 v[38:41], v25 offset:256
	ds_read_b128 v[42:45], v26 offset:2048
	;; [unrolled: 1-line block ×12, first 2 shown]
	s_add_u32 s4, s4, 8
	s_addc_u32 s5, s5, 0
	v_cmp_gt_i64_e64 s9, s[12:13], s[4:5]
	s_and_b32 vcc_lo, exec_lo, s9
	s_waitcnt lgkmcnt(12)
	v_mul_f64 v[86:87], v[6:7], v[36:37]
	v_mul_f64 v[88:89], v[4:5], v[36:37]
	s_waitcnt lgkmcnt(11)
	v_mul_f64 v[90:91], v[6:7], v[40:41]
	v_mul_f64 v[92:93], v[4:5], v[40:41]
	s_waitcnt lgkmcnt(10)
	v_mul_f64 v[94:95], v[44:45], v[36:37]
	v_mul_f64 v[36:37], v[42:43], v[36:37]
	v_mul_f64 v[96:97], v[44:45], v[40:41]
	v_mul_f64 v[40:41], v[42:43], v[40:41]
	s_waitcnt lgkmcnt(8)
	v_mul_f64 v[98:99], v[48:49], v[52:53]
	v_mul_f64 v[100:101], v[46:47], v[52:53]
	s_waitcnt lgkmcnt(7)
	;; [unrolled: 3-line block ×3, first 2 shown]
	v_mul_f64 v[106:107], v[60:61], v[52:53]
	v_mul_f64 v[52:53], v[58:59], v[52:53]
	;; [unrolled: 1-line block ×4, first 2 shown]
	s_waitcnt lgkmcnt(3)
	v_mul_f64 v[112:113], v[72:73], v[64:65]
	v_mul_f64 v[116:117], v[70:71], v[64:65]
	;; [unrolled: 1-line block ×4, first 2 shown]
	s_waitcnt lgkmcnt(1)
	v_mul_f64 v[122:123], v[80:81], v[64:65]
	v_mul_f64 v[64:65], v[78:79], v[64:65]
	v_fma_f64 v[86:87], v[4:5], v[34:35], -v[86:87]
	v_fma_f64 v[88:89], v[6:7], v[34:35], v[88:89]
	v_fma_f64 v[90:91], v[4:5], v[38:39], -v[90:91]
	v_fma_f64 v[92:93], v[6:7], v[38:39], v[92:93]
	;; [unrolled: 2-line block ×8, first 2 shown]
	ds_read_b128 v[4:7], v25 offset:1536
	ds_read_b128 v[34:37], v25 offset:1792
	;; [unrolled: 1-line block ×6, first 2 shown]
	v_add_f64 v[54:55], v[20:21], v[86:87]
	v_add_f64 v[22:23], v[88:89], v[22:23]
	;; [unrolled: 1-line block ×3, first 2 shown]
	v_mul_f64 v[86:87], v[80:81], v[68:69]
	v_mul_f64 v[68:69], v[78:79], v[68:69]
	v_add_f64 v[88:89], v[92:93], v[16:17]
	v_add_f64 v[92:93], v[14:15], v[94:95]
	;; [unrolled: 1-line block ×5, first 2 shown]
	v_fma_f64 v[90:91], v[70:71], v[62:63], -v[112:113]
	v_fma_f64 v[94:95], v[72:73], v[62:63], v[116:117]
	v_fma_f64 v[70:71], v[70:71], v[66:67], -v[118:119]
	v_fma_f64 v[72:73], v[72:73], v[66:67], v[120:121]
	s_waitcnt lgkmcnt(5)
	v_mul_f64 v[108:109], v[76:77], v[6:7]
	v_mul_f64 v[110:111], v[74:75], v[6:7]
	v_fma_f64 v[112:113], v[78:79], v[62:63], -v[122:123]
	v_fma_f64 v[62:63], v[80:81], v[62:63], v[64:65]
	s_waitcnt lgkmcnt(4)
	v_mul_f64 v[64:65], v[76:77], v[36:37]
	v_mul_f64 v[116:117], v[74:75], v[36:37]
	ds_read_b128 v[14:17], v25 offset:2560
	ds_read_b128 v[18:21], v25 offset:2816
	v_add_f64 v[98:99], v[54:55], v[98:99]
	v_add_f64 v[22:23], v[100:101], v[22:23]
	;; [unrolled: 1-line block ×3, first 2 shown]
	v_mul_f64 v[102:103], v[84:85], v[6:7]
	v_mul_f64 v[6:7], v[82:83], v[6:7]
	v_add_f64 v[88:89], v[104:105], v[88:89]
	v_add_f64 v[92:93], v[92:93], v[106:107]
	v_fma_f64 v[78:79], v[78:79], v[66:67], -v[86:87]
	v_fma_f64 v[66:67], v[80:81], v[66:67], v[68:69]
	v_mul_f64 v[68:69], v[84:85], v[36:37]
	v_mul_f64 v[36:37], v[82:83], v[36:37]
	v_add_f64 v[12:13], v[124:125], v[12:13]
	v_add_f64 v[58:59], v[96:97], v[58:59]
	;; [unrolled: 1-line block ×3, first 2 shown]
	ds_read_b128 v[8:11], v26 offset:2112
	ds_read_b128 v[54:57], v26 offset:2128
	s_waitcnt lgkmcnt(5)
	v_mul_f64 v[80:81], v[48:49], v[40:41]
	v_mul_f64 v[86:87], v[46:47], v[40:41]
	;; [unrolled: 1-line block ×4, first 2 shown]
	v_fma_f64 v[106:107], v[74:75], v[4:5], -v[108:109]
	v_fma_f64 v[108:109], v[76:77], v[4:5], v[110:111]
	v_fma_f64 v[64:65], v[74:75], v[34:35], -v[64:65]
	v_fma_f64 v[74:75], v[76:77], v[34:35], v[116:117]
	v_add_f64 v[90:91], v[98:99], v[90:91]
	v_add_f64 v[22:23], v[94:95], v[22:23]
	;; [unrolled: 1-line block ×3, first 2 shown]
	v_fma_f64 v[94:95], v[82:83], v[4:5], -v[102:103]
	v_add_f64 v[72:73], v[72:73], v[88:89]
	v_add_f64 v[88:89], v[92:93], v[112:113]
	v_fma_f64 v[4:5], v[84:85], v[4:5], v[6:7]
	s_waitcnt lgkmcnt(3)
	v_mul_f64 v[98:99], v[52:53], v[16:17]
	v_fma_f64 v[6:7], v[82:83], v[34:35], -v[68:69]
	v_fma_f64 v[68:69], v[84:85], v[34:35], v[36:37]
	s_waitcnt lgkmcnt(1)
	v_mul_f64 v[76:77], v[10:11], v[40:41]
	v_mul_f64 v[40:41], v[8:9], v[40:41]
	;; [unrolled: 1-line block ×4, first 2 shown]
	v_add_f64 v[12:13], v[62:63], v[12:13]
	v_add_f64 v[58:59], v[58:59], v[78:79]
	;; [unrolled: 1-line block ×3, first 2 shown]
	v_mul_f64 v[100:101], v[50:51], v[16:17]
	v_mul_f64 v[62:63], v[52:53], v[20:21]
	v_fma_f64 v[78:79], v[46:47], v[38:39], -v[80:81]
	v_fma_f64 v[80:81], v[48:49], v[38:39], v[86:87]
	v_fma_f64 v[46:47], v[46:47], v[42:43], -v[104:105]
	v_fma_f64 v[48:49], v[48:49], v[42:43], v[96:97]
	v_add_f64 v[66:67], v[90:91], v[106:107]
	v_add_f64 v[82:83], v[108:109], v[22:23]
	;; [unrolled: 1-line block ×5, first 2 shown]
	s_waitcnt lgkmcnt(0)
	v_mul_f64 v[84:85], v[56:57], v[16:17]
	v_mul_f64 v[16:17], v[54:55], v[16:17]
	;; [unrolled: 1-line block ×4, first 2 shown]
	v_fma_f64 v[70:71], v[8:9], v[38:39], -v[76:77]
	v_mul_f64 v[76:77], v[50:51], v[20:21]
	v_fma_f64 v[90:91], v[10:11], v[38:39], v[40:41]
	v_fma_f64 v[8:9], v[8:9], v[42:43], -v[92:93]
	v_add_f64 v[12:13], v[4:5], v[12:13]
	v_add_f64 v[58:59], v[58:59], v[6:7]
	v_fma_f64 v[42:43], v[10:11], v[42:43], v[44:45]
	v_add_f64 v[44:45], v[68:69], v[60:61]
	ds_read_b128 v[4:7], v26 offset:96
	ds_read_b128 v[20:23], v25 offset:3072
	;; [unrolled: 1-line block ×4, first 2 shown]
	v_add_f64 v[60:61], v[66:67], v[78:79]
	v_add_f64 v[66:67], v[80:81], v[82:83]
	;; [unrolled: 1-line block ×3, first 2 shown]
	v_fma_f64 v[64:65], v[50:51], v[14:15], -v[98:99]
	v_add_f64 v[48:49], v[48:49], v[72:73]
	v_fma_f64 v[50:51], v[50:51], v[18:19], -v[62:63]
	v_fma_f64 v[62:63], v[54:55], v[14:15], -v[84:85]
	v_fma_f64 v[72:73], v[56:57], v[14:15], v[16:17]
	v_fma_f64 v[54:55], v[54:55], v[18:19], -v[86:87]
	v_add_f64 v[68:69], v[74:75], v[70:71]
	v_fma_f64 v[70:71], v[52:53], v[14:15], v[100:101]
	v_fma_f64 v[52:53], v[52:53], v[18:19], v[76:77]
	;; [unrolled: 1-line block ×3, first 2 shown]
	v_add_f64 v[74:75], v[90:91], v[12:13]
	v_add_f64 v[58:59], v[58:59], v[8:9]
	s_waitcnt lgkmcnt(2)
	v_mul_f64 v[76:77], v[6:7], v[22:23]
	v_mul_f64 v[78:79], v[4:5], v[22:23]
	s_waitcnt lgkmcnt(1)
	v_mul_f64 v[80:81], v[6:7], v[36:37]
	v_mul_f64 v[82:83], v[4:5], v[36:37]
	;; [unrolled: 3-line block ×3, first 2 shown]
	v_mul_f64 v[86:87], v[40:41], v[36:37]
	v_add_f64 v[88:89], v[42:43], v[44:45]
	v_mul_f64 v[36:37], v[38:39], v[36:37]
	ds_read_b128 v[8:11], v26 offset:112
	ds_read_b128 v[12:15], v26 offset:2160
	ds_read_b128 v[16:19], v25 offset:3584
	ds_read_b128 v[42:45], v25 offset:3840
	v_add_f64 v[60:61], v[60:61], v[64:65]
	v_add_f64 v[46:47], v[46:47], v[50:51]
	s_waitcnt lgkmcnt(0)
	s_barrier
	v_add_f64 v[50:51], v[68:69], v[62:63]
	v_add_f64 v[64:65], v[70:71], v[66:67]
	;; [unrolled: 1-line block ×3, first 2 shown]
	buffer_gl0_inv
	v_add_f64 v[52:53], v[72:73], v[74:75]
	v_add_f64 v[54:55], v[58:59], v[54:55]
	v_fma_f64 v[58:59], v[4:5], v[20:21], -v[76:77]
	v_fma_f64 v[62:63], v[6:7], v[20:21], v[78:79]
	v_fma_f64 v[4:5], v[4:5], v[34:35], -v[80:81]
	v_fma_f64 v[6:7], v[6:7], v[34:35], v[82:83]
	;; [unrolled: 2-line block ×3, first 2 shown]
	v_fma_f64 v[22:23], v[38:39], v[34:35], -v[86:87]
	v_add_f64 v[38:39], v[56:57], v[88:89]
	v_fma_f64 v[34:35], v[40:41], v[34:35], v[36:37]
	v_mul_f64 v[36:37], v[10:11], v[18:19]
	v_mul_f64 v[40:41], v[8:9], v[18:19]
	;; [unrolled: 1-line block ×8, first 2 shown]
	v_add_f64 v[58:59], v[60:61], v[58:59]
	v_add_f64 v[60:61], v[62:63], v[64:65]
	;; [unrolled: 1-line block ×8, first 2 shown]
	v_fma_f64 v[20:21], v[8:9], v[16:17], -v[36:37]
	v_fma_f64 v[22:23], v[10:11], v[16:17], v[40:41]
	v_fma_f64 v[8:9], v[8:9], v[42:43], -v[56:57]
	v_fma_f64 v[10:11], v[10:11], v[42:43], v[68:69]
	;; [unrolled: 2-line block ×4, first 2 shown]
	v_add_f64 v[20:21], v[58:59], v[20:21]
	v_add_f64 v[22:23], v[22:23], v[60:61]
	;; [unrolled: 1-line block ×8, first 2 shown]
	s_cbranch_vccz .LBB555_15
.LBB555_7:                              ; =>This Inner Loop Header: Depth=1
	v_mov_b32_e32 v4, 0
	v_mov_b32_e32 v6, 0
	;; [unrolled: 1-line block ×4, first 2 shown]
	s_and_saveexec_b32 s9, s0
	s_cbranch_execz .LBB555_11
; %bb.8:                                ;   in Loop: Header=BB555_7 Depth=1
	v_mov_b32_e32 v6, 0
	v_mov_b32_e32 v4, 0
	v_add_nc_u32_e32 v2, s4, v27
	v_mov_b32_e32 v7, 0
	v_mov_b32_e32 v5, 0
	s_mov_b32 s11, exec_lo
	v_cmpx_gt_u64_e64 s[12:13], v[2:3]
	s_cbranch_execz .LBB555_10
; %bb.9:                                ;   in Loop: Header=BB555_7 Depth=1
	v_lshlrev_b64 v[4:5], 4, v[2:3]
	v_add_co_u32 v4, vcc_lo, v32, v4
	v_add_co_ci_u32_e64 v5, null, v33, v5, vcc_lo
	flat_load_dwordx4 v[4:7], v[4:5]
	s_waitcnt vmcnt(0) lgkmcnt(0)
	v_xor_b32_e32 v7, 0x80000000, v7
.LBB555_10:                             ;   in Loop: Header=BB555_7 Depth=1
	s_or_b32 exec_lo, exec_lo, s11
.LBB555_11:                             ;   in Loop: Header=BB555_7 Depth=1
	s_or_b32 exec_lo, exec_lo, s9
	v_add_nc_u32_e32 v2, s4, v24
	ds_write_b128 v28, v[4:7]
	v_cmp_le_u64_e32 vcc_lo, s[12:13], v[2:3]
	s_or_b32 s9, vcc_lo, s1
	s_and_saveexec_b32 s11, s9
	s_xor_b32 s9, exec_lo, s11
	s_cbranch_execz .LBB555_13
; %bb.12:                               ;   in Loop: Header=BB555_7 Depth=1
	v_mov_b32_e32 v2, v3
	v_mov_b32_e32 v4, v3
	;; [unrolled: 1-line block ×3, first 2 shown]
	ds_write_b128 v29, v[2:5]
.LBB555_13:                             ;   in Loop: Header=BB555_7 Depth=1
	s_andn2_saveexec_b32 s9, s9
	s_cbranch_execz .LBB555_6
; %bb.14:                               ;   in Loop: Header=BB555_7 Depth=1
	v_lshlrev_b64 v[4:5], 4, v[2:3]
	v_add_co_u32 v4, vcc_lo, v30, v4
	v_add_co_ci_u32_e64 v5, null, v31, v5, vcc_lo
	flat_load_dwordx4 v[4:7], v[4:5]
	s_waitcnt vmcnt(0) lgkmcnt(0)
	ds_write2_b64 v29, v[4:5], v[6:7] offset1:1
	s_branch .LBB555_6
.LBB555_15:
	v_add_nc_u32_e32 v25, s7, v1
	v_cmp_neq_f64_e64 s5, s[28:29], 0
	s_lshl_b64 s[0:1], s[42:43], 4
	s_waitcnt lgkmcnt(0)
	s_add_u32 s4, s2, s0
	v_ashrrev_i32_e32 v3, 31, v25
	v_mul_lo_u32 v4, s41, v25
	v_mad_u64_u32 v[1:2], null, s40, v25, 0
	s_addc_u32 s3, s3, s1
	v_mul_lo_u32 v3, s40, v3
	s_xor_b32 s2, s10, -1
	v_add3_u32 v2, v2, v3, v4
	v_add_nc_u32_e32 v4, s6, v0
	s_or_b32 s2, s5, s2
	v_lshlrev_b64 v[0:1], 4, v[1:2]
	v_cmp_le_i32_e32 vcc_lo, v25, v4
	v_cmp_gt_i32_e64 s0, s8, v4
	v_ashrrev_i32_e32 v5, 31, v4
	v_cndmask_b32_e64 v24, 0, 1, s2
	v_add_co_u32 v26, s1, s4, v0
	v_add_co_ci_u32_e64 v27, null, s3, v1, s1
	s_and_b32 s5, vcc_lo, s0
	s_and_saveexec_b32 s1, s5
	s_cbranch_execz .LBB555_19
; %bb.16:
	v_mul_f64 v[0:1], s[46:47], v[22:23]
	v_mul_f64 v[2:3], s[44:45], v[22:23]
	v_lshlrev_b64 v[6:7], 4, v[4:5]
	v_add_co_u32 v6, vcc_lo, v26, v6
	v_add_co_ci_u32_e64 v7, null, v27, v7, vcc_lo
	s_andn2_b32 vcc_lo, exec_lo, s2
	v_fma_f64 v[0:1], s[44:45], v[20:21], -v[0:1]
	v_fma_f64 v[2:3], s[46:47], v[20:21], v[2:3]
	s_cbranch_vccnz .LBB555_18
; %bb.17:
	flat_load_dwordx4 v[20:23], v[6:7]
	s_waitcnt vmcnt(0) lgkmcnt(0)
	v_mul_f64 v[28:29], s[30:31], v[22:23]
	v_mul_f64 v[22:23], s[28:29], v[22:23]
	v_fma_f64 v[28:29], s[28:29], v[20:21], -v[28:29]
	v_fma_f64 v[20:21], s[30:31], v[20:21], v[22:23]
	v_add_f64 v[0:1], v[0:1], v[28:29]
	v_add_f64 v[2:3], v[2:3], v[20:21]
.LBB555_18:
	flat_store_dwordx4 v[6:7], v[0:3]
.LBB555_19:
	s_or_b32 exec_lo, exec_lo, s1
	v_add_nc_u32_e32 v6, 16, v4
	v_cmp_le_i32_e32 vcc_lo, v25, v6
	v_cmp_gt_i32_e64 s1, s8, v6
	v_ashrrev_i32_e32 v7, 31, v6
	s_and_b32 s2, vcc_lo, s1
	s_and_saveexec_b32 s5, s2
	s_cbranch_execz .LBB555_23
; %bb.20:
	v_mul_f64 v[0:1], s[46:47], v[16:17]
	v_mul_f64 v[2:3], s[44:45], v[16:17]
	v_lshlrev_b64 v[16:17], 4, v[6:7]
	v_cmp_ne_u32_e32 vcc_lo, 1, v24
	s_and_b32 vcc_lo, exec_lo, vcc_lo
	v_add_co_u32 v16, s2, v26, v16
	v_add_co_ci_u32_e64 v17, null, v27, v17, s2
	v_fma_f64 v[0:1], s[44:45], v[18:19], -v[0:1]
	v_fma_f64 v[2:3], s[46:47], v[18:19], v[2:3]
	s_cbranch_vccnz .LBB555_22
; %bb.21:
	flat_load_dwordx4 v[18:21], v[16:17]
	s_waitcnt vmcnt(0) lgkmcnt(0)
	v_mul_f64 v[22:23], s[30:31], v[20:21]
	v_mul_f64 v[20:21], s[28:29], v[20:21]
	v_fma_f64 v[22:23], s[28:29], v[18:19], -v[22:23]
	v_fma_f64 v[18:19], s[30:31], v[18:19], v[20:21]
	v_add_f64 v[0:1], v[0:1], v[22:23]
	v_add_f64 v[2:3], v[2:3], v[18:19]
.LBB555_22:
	flat_store_dwordx4 v[16:17], v[0:3]
.LBB555_23:
	s_or_b32 exec_lo, exec_lo, s5
	v_add_nc_u32_e32 v18, 16, v25
	v_ashrrev_i32_e32 v2, 31, v18
	v_mul_lo_u32 v3, s41, v18
	v_mad_u64_u32 v[0:1], null, s40, v18, 0
	v_cmp_le_i32_e32 vcc_lo, v18, v4
	v_mul_lo_u32 v2, s40, v2
	s_and_b32 s0, vcc_lo, s0
	v_add3_u32 v1, v1, v2, v3
	v_lshlrev_b64 v[0:1], 4, v[0:1]
	v_add_co_u32 v16, s2, s4, v0
	v_add_co_ci_u32_e64 v17, null, s3, v1, s2
	s_and_saveexec_b32 s2, s0
	s_cbranch_execz .LBB555_27
; %bb.24:
	v_mul_f64 v[0:1], s[46:47], v[12:13]
	v_mul_f64 v[2:3], s[44:45], v[12:13]
	v_lshlrev_b64 v[4:5], 4, v[4:5]
	v_cmp_ne_u32_e32 vcc_lo, 1, v24
	s_and_b32 vcc_lo, exec_lo, vcc_lo
	v_add_co_u32 v4, s0, v16, v4
	v_add_co_ci_u32_e64 v5, null, v17, v5, s0
	v_fma_f64 v[0:1], s[44:45], v[14:15], -v[0:1]
	v_fma_f64 v[2:3], s[46:47], v[14:15], v[2:3]
	s_cbranch_vccnz .LBB555_26
; %bb.25:
	flat_load_dwordx4 v[12:15], v[4:5]
	s_waitcnt vmcnt(0) lgkmcnt(0)
	v_mul_f64 v[19:20], s[30:31], v[14:15]
	v_mul_f64 v[14:15], s[28:29], v[14:15]
	v_fma_f64 v[19:20], s[28:29], v[12:13], -v[19:20]
	v_fma_f64 v[12:13], s[30:31], v[12:13], v[14:15]
	v_add_f64 v[0:1], v[0:1], v[19:20]
	v_add_f64 v[2:3], v[2:3], v[12:13]
.LBB555_26:
	flat_store_dwordx4 v[4:5], v[0:3]
.LBB555_27:
	s_or_b32 exec_lo, exec_lo, s2
	v_cmp_le_i32_e32 vcc_lo, v18, v6
	s_and_b32 s0, vcc_lo, s1
	s_and_saveexec_b32 s1, s0
	s_cbranch_execz .LBB555_32
; %bb.28:
	v_mul_f64 v[0:1], s[46:47], v[8:9]
	v_mul_f64 v[2:3], s[44:45], v[8:9]
	v_lshlrev_b64 v[4:5], 4, v[6:7]
	v_cmp_ne_u32_e32 vcc_lo, 1, v24
	s_and_b32 vcc_lo, exec_lo, vcc_lo
	v_add_co_u32 v4, s0, v16, v4
	v_add_co_ci_u32_e64 v5, null, v17, v5, s0
	v_fma_f64 v[0:1], s[44:45], v[10:11], -v[0:1]
	v_fma_f64 v[2:3], s[46:47], v[10:11], v[2:3]
	s_cbranch_vccnz .LBB555_30
; %bb.29:
	flat_load_dwordx4 v[6:9], v[4:5]
	s_waitcnt vmcnt(0) lgkmcnt(0)
	v_mul_f64 v[10:11], s[30:31], v[8:9]
	v_mul_f64 v[8:9], s[28:29], v[8:9]
	v_fma_f64 v[10:11], s[28:29], v[6:7], -v[10:11]
	v_fma_f64 v[6:7], s[30:31], v[6:7], v[8:9]
	v_add_f64 v[0:1], v[0:1], v[10:11]
	v_add_f64 v[2:3], v[2:3], v[6:7]
.LBB555_30:
	flat_store_dwordx4 v[4:5], v[0:3]
	s_endpgm
.LBB555_31:
.LBB555_32:
	s_endpgm
	.section	.rodata,"a",@progbits
	.p2align	6, 0x0
	.amdhsa_kernel _ZL29rocblas_internal_gemmt_kernelIlLi16ELi32ELi8ELc67ELc78ELc76ELb1ELb0E19rocblas_complex_numIdEPKS1_PKS3_PKPS1_EviT_T9_T10_S9_lSB_S9_lSA_T11_S9_li
		.amdhsa_group_segment_fixed_size 8192
		.amdhsa_private_segment_fixed_size 0
		.amdhsa_kernarg_size 108
		.amdhsa_user_sgpr_count 6
		.amdhsa_user_sgpr_private_segment_buffer 1
		.amdhsa_user_sgpr_dispatch_ptr 0
		.amdhsa_user_sgpr_queue_ptr 0
		.amdhsa_user_sgpr_kernarg_segment_ptr 1
		.amdhsa_user_sgpr_dispatch_id 0
		.amdhsa_user_sgpr_flat_scratch_init 0
		.amdhsa_user_sgpr_private_segment_size 0
		.amdhsa_wavefront_size32 1
		.amdhsa_uses_dynamic_stack 0
		.amdhsa_system_sgpr_private_segment_wavefront_offset 0
		.amdhsa_system_sgpr_workgroup_id_x 1
		.amdhsa_system_sgpr_workgroup_id_y 1
		.amdhsa_system_sgpr_workgroup_id_z 1
		.amdhsa_system_sgpr_workgroup_info 0
		.amdhsa_system_vgpr_workitem_id 1
		.amdhsa_next_free_vgpr 126
		.amdhsa_next_free_sgpr 48
		.amdhsa_reserve_vcc 1
		.amdhsa_reserve_flat_scratch 0
		.amdhsa_float_round_mode_32 0
		.amdhsa_float_round_mode_16_64 0
		.amdhsa_float_denorm_mode_32 3
		.amdhsa_float_denorm_mode_16_64 3
		.amdhsa_dx10_clamp 1
		.amdhsa_ieee_mode 1
		.amdhsa_fp16_overflow 0
		.amdhsa_workgroup_processor_mode 1
		.amdhsa_memory_ordered 1
		.amdhsa_forward_progress 1
		.amdhsa_shared_vgpr_count 0
		.amdhsa_exception_fp_ieee_invalid_op 0
		.amdhsa_exception_fp_denorm_src 0
		.amdhsa_exception_fp_ieee_div_zero 0
		.amdhsa_exception_fp_ieee_overflow 0
		.amdhsa_exception_fp_ieee_underflow 0
		.amdhsa_exception_fp_ieee_inexact 0
		.amdhsa_exception_int_div_zero 0
	.end_amdhsa_kernel
	.section	.text._ZL29rocblas_internal_gemmt_kernelIlLi16ELi32ELi8ELc67ELc78ELc76ELb1ELb0E19rocblas_complex_numIdEPKS1_PKS3_PKPS1_EviT_T9_T10_S9_lSB_S9_lSA_T11_S9_li,"axG",@progbits,_ZL29rocblas_internal_gemmt_kernelIlLi16ELi32ELi8ELc67ELc78ELc76ELb1ELb0E19rocblas_complex_numIdEPKS1_PKS3_PKPS1_EviT_T9_T10_S9_lSB_S9_lSA_T11_S9_li,comdat
.Lfunc_end555:
	.size	_ZL29rocblas_internal_gemmt_kernelIlLi16ELi32ELi8ELc67ELc78ELc76ELb1ELb0E19rocblas_complex_numIdEPKS1_PKS3_PKPS1_EviT_T9_T10_S9_lSB_S9_lSA_T11_S9_li, .Lfunc_end555-_ZL29rocblas_internal_gemmt_kernelIlLi16ELi32ELi8ELc67ELc78ELc76ELb1ELb0E19rocblas_complex_numIdEPKS1_PKS3_PKPS1_EviT_T9_T10_S9_lSB_S9_lSA_T11_S9_li
                                        ; -- End function
	.set _ZL29rocblas_internal_gemmt_kernelIlLi16ELi32ELi8ELc67ELc78ELc76ELb1ELb0E19rocblas_complex_numIdEPKS1_PKS3_PKPS1_EviT_T9_T10_S9_lSB_S9_lSA_T11_S9_li.num_vgpr, 126
	.set _ZL29rocblas_internal_gemmt_kernelIlLi16ELi32ELi8ELc67ELc78ELc76ELb1ELb0E19rocblas_complex_numIdEPKS1_PKS3_PKPS1_EviT_T9_T10_S9_lSB_S9_lSA_T11_S9_li.num_agpr, 0
	.set _ZL29rocblas_internal_gemmt_kernelIlLi16ELi32ELi8ELc67ELc78ELc76ELb1ELb0E19rocblas_complex_numIdEPKS1_PKS3_PKPS1_EviT_T9_T10_S9_lSB_S9_lSA_T11_S9_li.numbered_sgpr, 48
	.set _ZL29rocblas_internal_gemmt_kernelIlLi16ELi32ELi8ELc67ELc78ELc76ELb1ELb0E19rocblas_complex_numIdEPKS1_PKS3_PKPS1_EviT_T9_T10_S9_lSB_S9_lSA_T11_S9_li.num_named_barrier, 0
	.set _ZL29rocblas_internal_gemmt_kernelIlLi16ELi32ELi8ELc67ELc78ELc76ELb1ELb0E19rocblas_complex_numIdEPKS1_PKS3_PKPS1_EviT_T9_T10_S9_lSB_S9_lSA_T11_S9_li.private_seg_size, 0
	.set _ZL29rocblas_internal_gemmt_kernelIlLi16ELi32ELi8ELc67ELc78ELc76ELb1ELb0E19rocblas_complex_numIdEPKS1_PKS3_PKPS1_EviT_T9_T10_S9_lSB_S9_lSA_T11_S9_li.uses_vcc, 1
	.set _ZL29rocblas_internal_gemmt_kernelIlLi16ELi32ELi8ELc67ELc78ELc76ELb1ELb0E19rocblas_complex_numIdEPKS1_PKS3_PKPS1_EviT_T9_T10_S9_lSB_S9_lSA_T11_S9_li.uses_flat_scratch, 0
	.set _ZL29rocblas_internal_gemmt_kernelIlLi16ELi32ELi8ELc67ELc78ELc76ELb1ELb0E19rocblas_complex_numIdEPKS1_PKS3_PKPS1_EviT_T9_T10_S9_lSB_S9_lSA_T11_S9_li.has_dyn_sized_stack, 0
	.set _ZL29rocblas_internal_gemmt_kernelIlLi16ELi32ELi8ELc67ELc78ELc76ELb1ELb0E19rocblas_complex_numIdEPKS1_PKS3_PKPS1_EviT_T9_T10_S9_lSB_S9_lSA_T11_S9_li.has_recursion, 0
	.set _ZL29rocblas_internal_gemmt_kernelIlLi16ELi32ELi8ELc67ELc78ELc76ELb1ELb0E19rocblas_complex_numIdEPKS1_PKS3_PKPS1_EviT_T9_T10_S9_lSB_S9_lSA_T11_S9_li.has_indirect_call, 0
	.section	.AMDGPU.csdata,"",@progbits
; Kernel info:
; codeLenInByte = 3576
; TotalNumSgprs: 50
; NumVgprs: 126
; ScratchSize: 0
; MemoryBound: 1
; FloatMode: 240
; IeeeMode: 1
; LDSByteSize: 8192 bytes/workgroup (compile time only)
; SGPRBlocks: 0
; VGPRBlocks: 15
; NumSGPRsForWavesPerEU: 50
; NumVGPRsForWavesPerEU: 126
; Occupancy: 8
; WaveLimiterHint : 1
; COMPUTE_PGM_RSRC2:SCRATCH_EN: 0
; COMPUTE_PGM_RSRC2:USER_SGPR: 6
; COMPUTE_PGM_RSRC2:TRAP_HANDLER: 0
; COMPUTE_PGM_RSRC2:TGID_X_EN: 1
; COMPUTE_PGM_RSRC2:TGID_Y_EN: 1
; COMPUTE_PGM_RSRC2:TGID_Z_EN: 1
; COMPUTE_PGM_RSRC2:TIDIG_COMP_CNT: 1
	.section	.text._ZL29rocblas_internal_gemmt_kernelIlLi16ELi32ELi8ELc67ELc84ELc76ELb1ELb0E19rocblas_complex_numIdEPKS1_PKS3_PKPS1_EviT_T9_T10_S9_lSB_S9_lSA_T11_S9_li,"axG",@progbits,_ZL29rocblas_internal_gemmt_kernelIlLi16ELi32ELi8ELc67ELc84ELc76ELb1ELb0E19rocblas_complex_numIdEPKS1_PKS3_PKPS1_EviT_T9_T10_S9_lSB_S9_lSA_T11_S9_li,comdat
	.globl	_ZL29rocblas_internal_gemmt_kernelIlLi16ELi32ELi8ELc67ELc84ELc76ELb1ELb0E19rocblas_complex_numIdEPKS1_PKS3_PKPS1_EviT_T9_T10_S9_lSB_S9_lSA_T11_S9_li ; -- Begin function _ZL29rocblas_internal_gemmt_kernelIlLi16ELi32ELi8ELc67ELc84ELc76ELb1ELb0E19rocblas_complex_numIdEPKS1_PKS3_PKPS1_EviT_T9_T10_S9_lSB_S9_lSA_T11_S9_li
	.p2align	8
	.type	_ZL29rocblas_internal_gemmt_kernelIlLi16ELi32ELi8ELc67ELc84ELc76ELb1ELb0E19rocblas_complex_numIdEPKS1_PKS3_PKPS1_EviT_T9_T10_S9_lSB_S9_lSA_T11_S9_li,@function
_ZL29rocblas_internal_gemmt_kernelIlLi16ELi32ELi8ELc67ELc84ELc76ELb1ELb0E19rocblas_complex_numIdEPKS1_PKS3_PKPS1_EviT_T9_T10_S9_lSB_S9_lSA_T11_S9_li: ; @_ZL29rocblas_internal_gemmt_kernelIlLi16ELi32ELi8ELc67ELc84ELc76ELb1ELb0E19rocblas_complex_numIdEPKS1_PKS3_PKPS1_EviT_T9_T10_S9_lSB_S9_lSA_T11_S9_li
; %bb.0:
	s_load_dwordx8 s[36:43], s[4:5], 0x48
	s_waitcnt lgkmcnt(0)
	s_load_dwordx4 s[28:31], s[36:37], 0x0
	s_load_dwordx16 s[12:27], s[4:5], 0x8
	s_waitcnt lgkmcnt(0)
	v_cmp_eq_f64_e64 s0, s[28:29], 1.0
	v_cmp_eq_f64_e64 s10, s[30:31], 0
	s_load_dwordx4 s[44:47], s[14:15], 0x0
	s_and_b32 s0, s0, s10
	s_andn2_b32 vcc_lo, exec_lo, s0
	s_mov_b32 s0, -1
	s_cbranch_vccnz .LBB556_3
; %bb.1:
	s_cmp_lg_u64 s[12:13], 0
	s_cbranch_scc0 .LBB556_31
; %bb.2:
	s_waitcnt lgkmcnt(0)
	v_cmp_neq_f64_e64 s0, s[44:45], 0
	v_cmp_neq_f64_e64 s1, s[46:47], 0
	s_or_b32 s0, s0, s1
.LBB556_3:
	s_and_b32 vcc_lo, exec_lo, s0
	s_cbranch_vccz .LBB556_32
; %bb.4:
	s_waitcnt lgkmcnt(0)
	v_cmp_eq_f64_e64 s11, s[44:45], 0
	v_cmp_eq_f64_e64 s14, s[46:47], 0
	s_mov_b32 s9, 0
	v_mov_b32_e32 v20, 0
	s_lshl_b64 s[0:1], s[8:9], 3
	v_mov_b32_e32 v22, 0
	s_add_u32 s2, s38, s0
	s_addc_u32 s3, s39, s1
	s_load_dword s8, s[4:5], 0x0
	s_load_dwordx2 s[2:3], s[2:3], 0x0
	v_cmp_lt_i64_e64 s4, s[12:13], 1
	v_mov_b32_e32 v18, 0
	v_mov_b32_e32 v16, 0
	;; [unrolled: 1-line block ×13, first 2 shown]
	s_and_b32 s5, s11, s14
	v_mov_b32_e32 v9, 0
	s_or_b32 s4, s5, s4
	s_lshl_b32 s6, s6, 5
	s_and_b32 vcc_lo, exec_lo, s4
	s_lshl_b32 s7, s7, 5
	s_cbranch_vccnz .LBB556_15
; %bb.5:
	s_add_u32 s4, s22, s0
	s_addc_u32 s5, s23, s1
	s_lshl_b64 s[14:15], s[26:27], 4
	s_load_dwordx2 s[4:5], s[4:5], 0x0
	v_lshl_add_u32 v2, v1, 4, v0
	v_and_b32_e32 v24, 7, v0
	v_mov_b32_e32 v8, 0
	v_mov_b32_e32 v10, 0
	v_mov_b32_e32 v12, 0
	v_and_b32_e32 v3, 31, v2
	v_lshrrev_b32_e32 v6, 3, v2
	v_lshrrev_b32_e32 v27, 5, v2
	v_lshlrev_b32_e32 v28, 4, v24
	v_mov_b32_e32 v14, 0
	v_or_b32_e32 v7, s6, v3
	v_add_nc_u32_e32 v2, s7, v6
	v_lshlrev_b32_e32 v29, 4, v3
	v_lshl_or_b32 v31, v6, 7, v28
	v_mov_b32_e32 v16, 0
	v_mul_lo_u32 v30, s19, v7
	v_mad_u64_u32 v[4:5], null, s18, v7, 0
	v_ashrrev_i32_e32 v3, 31, v2
	s_waitcnt lgkmcnt(0)
	s_add_u32 s9, s4, s14
	s_addc_u32 s11, s5, s15
	s_add_u32 s0, s16, s0
	s_addc_u32 s1, s17, s1
	s_lshl_b64 s[4:5], s[20:21], 4
	s_load_dwordx2 s[0:1], s[0:1], 0x0
	v_cmp_gt_i32_e32 vcc_lo, s8, v2
	v_lshl_or_b32 v28, v27, 9, v29
	v_add_nc_u32_e32 v29, 0x1000, v31
	v_mov_b32_e32 v18, 0
	v_mov_b32_e32 v22, 0
	;; [unrolled: 1-line block ×3, first 2 shown]
	v_lshlrev_b32_e32 v25, 4, v0
	v_lshl_add_u32 v26, v1, 7, 0x1000
	v_mov_b32_e32 v9, 0
	v_mov_b32_e32 v11, 0
	;; [unrolled: 1-line block ×8, first 2 shown]
	s_waitcnt lgkmcnt(0)
	s_add_u32 s4, s0, s4
	s_addc_u32 s5, s1, s5
	s_ashr_i32 s0, s6, 31
	s_mul_i32 s1, s18, s0
	v_cmp_gt_i32_e64 s0, s8, v7
	v_add3_u32 v5, v5, s1, v30
	v_lshlrev_b64 v[6:7], 4, v[2:3]
	v_lshlrev_b64 v[2:3], 4, v[4:5]
	v_add_co_u32 v30, s1, s9, v6
	v_add_co_ci_u32_e64 v31, null, s11, v7, s1
	v_add_co_u32 v32, s1, s4, v2
	v_add_co_ci_u32_e64 v33, null, s5, v3, s1
	v_mov_b32_e32 v3, 0
	s_mov_b64 s[4:5], 0
	s_xor_b32 s1, vcc_lo, -1
	s_branch .LBB556_7
.LBB556_6:                              ;   in Loop: Header=BB556_7 Depth=1
	s_or_b32 exec_lo, exec_lo, s9
	s_waitcnt lgkmcnt(0)
	s_barrier
	buffer_gl0_inv
	ds_read_b128 v[4:7], v26
	ds_read_b128 v[34:37], v25
	ds_read_b128 v[38:41], v25 offset:256
	ds_read_b128 v[42:45], v26 offset:2048
	;; [unrolled: 1-line block ×12, first 2 shown]
	s_add_u32 s4, s4, 8
	s_addc_u32 s5, s5, 0
	v_cmp_gt_i64_e64 s9, s[12:13], s[4:5]
	s_and_b32 vcc_lo, exec_lo, s9
	s_waitcnt lgkmcnt(12)
	v_mul_f64 v[86:87], v[6:7], v[36:37]
	v_mul_f64 v[88:89], v[4:5], v[36:37]
	s_waitcnt lgkmcnt(11)
	v_mul_f64 v[90:91], v[6:7], v[40:41]
	v_mul_f64 v[92:93], v[4:5], v[40:41]
	;; [unrolled: 3-line block ×3, first 2 shown]
	v_mul_f64 v[96:97], v[44:45], v[40:41]
	v_mul_f64 v[40:41], v[42:43], v[40:41]
	s_waitcnt lgkmcnt(8)
	v_mul_f64 v[98:99], v[48:49], v[52:53]
	v_mul_f64 v[100:101], v[46:47], v[52:53]
	s_waitcnt lgkmcnt(7)
	;; [unrolled: 3-line block ×3, first 2 shown]
	v_mul_f64 v[106:107], v[60:61], v[52:53]
	v_mul_f64 v[52:53], v[58:59], v[52:53]
	;; [unrolled: 1-line block ×4, first 2 shown]
	s_waitcnt lgkmcnt(3)
	v_mul_f64 v[112:113], v[72:73], v[64:65]
	v_mul_f64 v[116:117], v[70:71], v[64:65]
	;; [unrolled: 1-line block ×4, first 2 shown]
	s_waitcnt lgkmcnt(1)
	v_mul_f64 v[122:123], v[80:81], v[64:65]
	v_mul_f64 v[64:65], v[78:79], v[64:65]
	v_fma_f64 v[86:87], v[4:5], v[34:35], -v[86:87]
	v_fma_f64 v[88:89], v[6:7], v[34:35], v[88:89]
	v_fma_f64 v[90:91], v[4:5], v[38:39], -v[90:91]
	v_fma_f64 v[92:93], v[6:7], v[38:39], v[92:93]
	;; [unrolled: 2-line block ×8, first 2 shown]
	ds_read_b128 v[4:7], v25 offset:1536
	ds_read_b128 v[34:37], v25 offset:1792
	;; [unrolled: 1-line block ×6, first 2 shown]
	v_add_f64 v[54:55], v[20:21], v[86:87]
	v_add_f64 v[22:23], v[88:89], v[22:23]
	v_add_f64 v[56:57], v[18:19], v[90:91]
	v_mul_f64 v[86:87], v[80:81], v[68:69]
	v_mul_f64 v[68:69], v[78:79], v[68:69]
	v_add_f64 v[88:89], v[92:93], v[16:17]
	v_add_f64 v[92:93], v[14:15], v[94:95]
	;; [unrolled: 1-line block ×5, first 2 shown]
	v_fma_f64 v[90:91], v[70:71], v[62:63], -v[112:113]
	v_fma_f64 v[94:95], v[72:73], v[62:63], v[116:117]
	v_fma_f64 v[70:71], v[70:71], v[66:67], -v[118:119]
	v_fma_f64 v[72:73], v[72:73], v[66:67], v[120:121]
	s_waitcnt lgkmcnt(5)
	v_mul_f64 v[108:109], v[76:77], v[6:7]
	v_mul_f64 v[110:111], v[74:75], v[6:7]
	v_fma_f64 v[112:113], v[78:79], v[62:63], -v[122:123]
	v_fma_f64 v[62:63], v[80:81], v[62:63], v[64:65]
	s_waitcnt lgkmcnt(4)
	v_mul_f64 v[64:65], v[76:77], v[36:37]
	v_mul_f64 v[116:117], v[74:75], v[36:37]
	ds_read_b128 v[14:17], v25 offset:2560
	ds_read_b128 v[18:21], v25 offset:2816
	v_add_f64 v[98:99], v[54:55], v[98:99]
	v_add_f64 v[22:23], v[100:101], v[22:23]
	;; [unrolled: 1-line block ×3, first 2 shown]
	v_mul_f64 v[102:103], v[84:85], v[6:7]
	v_mul_f64 v[6:7], v[82:83], v[6:7]
	v_add_f64 v[88:89], v[104:105], v[88:89]
	v_add_f64 v[92:93], v[92:93], v[106:107]
	v_fma_f64 v[78:79], v[78:79], v[66:67], -v[86:87]
	v_fma_f64 v[66:67], v[80:81], v[66:67], v[68:69]
	v_mul_f64 v[68:69], v[84:85], v[36:37]
	v_mul_f64 v[36:37], v[82:83], v[36:37]
	v_add_f64 v[12:13], v[124:125], v[12:13]
	v_add_f64 v[58:59], v[96:97], v[58:59]
	v_add_f64 v[60:61], v[60:61], v[114:115]
	ds_read_b128 v[8:11], v26 offset:2112
	ds_read_b128 v[54:57], v26 offset:2128
	s_waitcnt lgkmcnt(5)
	v_mul_f64 v[80:81], v[48:49], v[40:41]
	v_mul_f64 v[86:87], v[46:47], v[40:41]
	;; [unrolled: 1-line block ×4, first 2 shown]
	v_fma_f64 v[106:107], v[74:75], v[4:5], -v[108:109]
	v_fma_f64 v[108:109], v[76:77], v[4:5], v[110:111]
	v_fma_f64 v[64:65], v[74:75], v[34:35], -v[64:65]
	v_fma_f64 v[74:75], v[76:77], v[34:35], v[116:117]
	v_add_f64 v[90:91], v[98:99], v[90:91]
	v_add_f64 v[22:23], v[94:95], v[22:23]
	;; [unrolled: 1-line block ×3, first 2 shown]
	v_fma_f64 v[94:95], v[82:83], v[4:5], -v[102:103]
	v_add_f64 v[72:73], v[72:73], v[88:89]
	v_add_f64 v[88:89], v[92:93], v[112:113]
	v_fma_f64 v[4:5], v[84:85], v[4:5], v[6:7]
	s_waitcnt lgkmcnt(3)
	v_mul_f64 v[98:99], v[52:53], v[16:17]
	v_fma_f64 v[6:7], v[82:83], v[34:35], -v[68:69]
	v_fma_f64 v[68:69], v[84:85], v[34:35], v[36:37]
	s_waitcnt lgkmcnt(1)
	v_mul_f64 v[76:77], v[10:11], v[40:41]
	v_mul_f64 v[40:41], v[8:9], v[40:41]
	;; [unrolled: 1-line block ×4, first 2 shown]
	v_add_f64 v[12:13], v[62:63], v[12:13]
	v_add_f64 v[58:59], v[58:59], v[78:79]
	;; [unrolled: 1-line block ×3, first 2 shown]
	v_mul_f64 v[100:101], v[50:51], v[16:17]
	v_mul_f64 v[62:63], v[52:53], v[20:21]
	v_fma_f64 v[78:79], v[46:47], v[38:39], -v[80:81]
	v_fma_f64 v[80:81], v[48:49], v[38:39], v[86:87]
	v_fma_f64 v[46:47], v[46:47], v[42:43], -v[104:105]
	v_fma_f64 v[48:49], v[48:49], v[42:43], v[96:97]
	v_add_f64 v[66:67], v[90:91], v[106:107]
	v_add_f64 v[82:83], v[108:109], v[22:23]
	;; [unrolled: 1-line block ×5, first 2 shown]
	s_waitcnt lgkmcnt(0)
	v_mul_f64 v[84:85], v[56:57], v[16:17]
	v_mul_f64 v[16:17], v[54:55], v[16:17]
	;; [unrolled: 1-line block ×4, first 2 shown]
	v_fma_f64 v[70:71], v[8:9], v[38:39], -v[76:77]
	v_mul_f64 v[76:77], v[50:51], v[20:21]
	v_fma_f64 v[90:91], v[10:11], v[38:39], v[40:41]
	v_fma_f64 v[8:9], v[8:9], v[42:43], -v[92:93]
	v_add_f64 v[12:13], v[4:5], v[12:13]
	v_add_f64 v[58:59], v[58:59], v[6:7]
	v_fma_f64 v[42:43], v[10:11], v[42:43], v[44:45]
	v_add_f64 v[44:45], v[68:69], v[60:61]
	ds_read_b128 v[4:7], v26 offset:96
	ds_read_b128 v[20:23], v25 offset:3072
	;; [unrolled: 1-line block ×4, first 2 shown]
	v_add_f64 v[60:61], v[66:67], v[78:79]
	v_add_f64 v[66:67], v[80:81], v[82:83]
	;; [unrolled: 1-line block ×3, first 2 shown]
	v_fma_f64 v[64:65], v[50:51], v[14:15], -v[98:99]
	v_add_f64 v[48:49], v[48:49], v[72:73]
	v_fma_f64 v[50:51], v[50:51], v[18:19], -v[62:63]
	v_fma_f64 v[62:63], v[54:55], v[14:15], -v[84:85]
	v_fma_f64 v[72:73], v[56:57], v[14:15], v[16:17]
	v_fma_f64 v[54:55], v[54:55], v[18:19], -v[86:87]
	v_add_f64 v[68:69], v[74:75], v[70:71]
	v_fma_f64 v[70:71], v[52:53], v[14:15], v[100:101]
	v_fma_f64 v[52:53], v[52:53], v[18:19], v[76:77]
	;; [unrolled: 1-line block ×3, first 2 shown]
	v_add_f64 v[74:75], v[90:91], v[12:13]
	v_add_f64 v[58:59], v[58:59], v[8:9]
	s_waitcnt lgkmcnt(2)
	v_mul_f64 v[76:77], v[6:7], v[22:23]
	v_mul_f64 v[78:79], v[4:5], v[22:23]
	s_waitcnt lgkmcnt(1)
	v_mul_f64 v[80:81], v[6:7], v[36:37]
	v_mul_f64 v[82:83], v[4:5], v[36:37]
	s_waitcnt lgkmcnt(0)
	v_mul_f64 v[84:85], v[40:41], v[22:23]
	v_mul_f64 v[22:23], v[38:39], v[22:23]
	v_mul_f64 v[86:87], v[40:41], v[36:37]
	v_add_f64 v[88:89], v[42:43], v[44:45]
	v_mul_f64 v[36:37], v[38:39], v[36:37]
	ds_read_b128 v[8:11], v26 offset:112
	ds_read_b128 v[12:15], v26 offset:2160
	;; [unrolled: 1-line block ×4, first 2 shown]
	v_add_f64 v[60:61], v[60:61], v[64:65]
	v_add_f64 v[46:47], v[46:47], v[50:51]
	s_waitcnt lgkmcnt(0)
	s_barrier
	v_add_f64 v[50:51], v[68:69], v[62:63]
	v_add_f64 v[64:65], v[70:71], v[66:67]
	;; [unrolled: 1-line block ×3, first 2 shown]
	buffer_gl0_inv
	v_add_f64 v[52:53], v[72:73], v[74:75]
	v_add_f64 v[54:55], v[58:59], v[54:55]
	v_fma_f64 v[58:59], v[4:5], v[20:21], -v[76:77]
	v_fma_f64 v[62:63], v[6:7], v[20:21], v[78:79]
	v_fma_f64 v[4:5], v[4:5], v[34:35], -v[80:81]
	v_fma_f64 v[6:7], v[6:7], v[34:35], v[82:83]
	;; [unrolled: 2-line block ×3, first 2 shown]
	v_fma_f64 v[22:23], v[38:39], v[34:35], -v[86:87]
	v_add_f64 v[38:39], v[56:57], v[88:89]
	v_fma_f64 v[34:35], v[40:41], v[34:35], v[36:37]
	v_mul_f64 v[36:37], v[10:11], v[18:19]
	v_mul_f64 v[40:41], v[8:9], v[18:19]
	;; [unrolled: 1-line block ×8, first 2 shown]
	v_add_f64 v[58:59], v[60:61], v[58:59]
	v_add_f64 v[60:61], v[62:63], v[64:65]
	;; [unrolled: 1-line block ×8, first 2 shown]
	v_fma_f64 v[20:21], v[8:9], v[16:17], -v[36:37]
	v_fma_f64 v[22:23], v[10:11], v[16:17], v[40:41]
	v_fma_f64 v[8:9], v[8:9], v[42:43], -v[56:57]
	v_fma_f64 v[10:11], v[10:11], v[42:43], v[68:69]
	;; [unrolled: 2-line block ×4, first 2 shown]
	v_add_f64 v[20:21], v[58:59], v[20:21]
	v_add_f64 v[22:23], v[22:23], v[60:61]
	v_add_f64 v[18:19], v[4:5], v[8:9]
	v_add_f64 v[16:17], v[10:11], v[6:7]
	v_add_f64 v[14:15], v[46:47], v[36:37]
	v_add_f64 v[12:13], v[38:39], v[48:49]
	v_add_f64 v[10:11], v[50:51], v[40:41]
	v_add_f64 v[8:9], v[42:43], v[34:35]
	s_cbranch_vccz .LBB556_15
.LBB556_7:                              ; =>This Inner Loop Header: Depth=1
	v_mov_b32_e32 v4, 0
	v_mov_b32_e32 v6, 0
	;; [unrolled: 1-line block ×4, first 2 shown]
	s_and_saveexec_b32 s9, s0
	s_cbranch_execz .LBB556_11
; %bb.8:                                ;   in Loop: Header=BB556_7 Depth=1
	v_mov_b32_e32 v6, 0
	v_mov_b32_e32 v4, 0
	v_add_nc_u32_e32 v2, s4, v27
	v_mov_b32_e32 v7, 0
	v_mov_b32_e32 v5, 0
	s_mov_b32 s11, exec_lo
	v_cmpx_gt_u64_e64 s[12:13], v[2:3]
	s_cbranch_execz .LBB556_10
; %bb.9:                                ;   in Loop: Header=BB556_7 Depth=1
	v_lshlrev_b64 v[4:5], 4, v[2:3]
	v_add_co_u32 v4, vcc_lo, v32, v4
	v_add_co_ci_u32_e64 v5, null, v33, v5, vcc_lo
	flat_load_dwordx4 v[4:7], v[4:5]
	s_waitcnt vmcnt(0) lgkmcnt(0)
	v_xor_b32_e32 v7, 0x80000000, v7
.LBB556_10:                             ;   in Loop: Header=BB556_7 Depth=1
	s_or_b32 exec_lo, exec_lo, s11
.LBB556_11:                             ;   in Loop: Header=BB556_7 Depth=1
	s_or_b32 exec_lo, exec_lo, s9
	v_add_nc_u32_e32 v2, s4, v24
	ds_write_b128 v28, v[4:7]
	v_cmp_le_u64_e32 vcc_lo, s[12:13], v[2:3]
	s_or_b32 s9, vcc_lo, s1
	s_and_saveexec_b32 s11, s9
	s_xor_b32 s9, exec_lo, s11
	s_cbranch_execz .LBB556_13
; %bb.12:                               ;   in Loop: Header=BB556_7 Depth=1
	v_mov_b32_e32 v2, v3
	v_mov_b32_e32 v4, v3
	;; [unrolled: 1-line block ×3, first 2 shown]
	ds_write_b128 v29, v[2:5]
.LBB556_13:                             ;   in Loop: Header=BB556_7 Depth=1
	s_andn2_saveexec_b32 s9, s9
	s_cbranch_execz .LBB556_6
; %bb.14:                               ;   in Loop: Header=BB556_7 Depth=1
	v_mad_u64_u32 v[4:5], null, s24, v2, 0
	v_mad_u64_u32 v[5:6], null, s25, v2, v[5:6]
	v_lshlrev_b64 v[4:5], 4, v[4:5]
	v_add_co_u32 v4, vcc_lo, v30, v4
	v_add_co_ci_u32_e64 v5, null, v31, v5, vcc_lo
	flat_load_dwordx4 v[4:7], v[4:5]
	s_waitcnt vmcnt(0) lgkmcnt(0)
	ds_write2_b64 v29, v[4:5], v[6:7] offset1:1
	s_branch .LBB556_6
.LBB556_15:
	v_add_nc_u32_e32 v25, s7, v1
	v_cmp_neq_f64_e64 s5, s[28:29], 0
	s_lshl_b64 s[0:1], s[42:43], 4
	s_waitcnt lgkmcnt(0)
	s_add_u32 s4, s2, s0
	v_ashrrev_i32_e32 v3, 31, v25
	v_mul_lo_u32 v4, s41, v25
	v_mad_u64_u32 v[1:2], null, s40, v25, 0
	s_addc_u32 s3, s3, s1
	v_mul_lo_u32 v3, s40, v3
	s_xor_b32 s2, s10, -1
	v_add3_u32 v2, v2, v3, v4
	v_add_nc_u32_e32 v4, s6, v0
	s_or_b32 s2, s5, s2
	v_lshlrev_b64 v[0:1], 4, v[1:2]
	v_cmp_le_i32_e32 vcc_lo, v25, v4
	v_cmp_gt_i32_e64 s0, s8, v4
	v_ashrrev_i32_e32 v5, 31, v4
	v_cndmask_b32_e64 v24, 0, 1, s2
	v_add_co_u32 v26, s1, s4, v0
	v_add_co_ci_u32_e64 v27, null, s3, v1, s1
	s_and_b32 s5, vcc_lo, s0
	s_and_saveexec_b32 s1, s5
	s_cbranch_execz .LBB556_19
; %bb.16:
	v_mul_f64 v[0:1], s[46:47], v[22:23]
	v_mul_f64 v[2:3], s[44:45], v[22:23]
	v_lshlrev_b64 v[6:7], 4, v[4:5]
	v_add_co_u32 v6, vcc_lo, v26, v6
	v_add_co_ci_u32_e64 v7, null, v27, v7, vcc_lo
	s_andn2_b32 vcc_lo, exec_lo, s2
	v_fma_f64 v[0:1], s[44:45], v[20:21], -v[0:1]
	v_fma_f64 v[2:3], s[46:47], v[20:21], v[2:3]
	s_cbranch_vccnz .LBB556_18
; %bb.17:
	flat_load_dwordx4 v[20:23], v[6:7]
	s_waitcnt vmcnt(0) lgkmcnt(0)
	v_mul_f64 v[28:29], s[30:31], v[22:23]
	v_mul_f64 v[22:23], s[28:29], v[22:23]
	v_fma_f64 v[28:29], s[28:29], v[20:21], -v[28:29]
	v_fma_f64 v[20:21], s[30:31], v[20:21], v[22:23]
	v_add_f64 v[0:1], v[0:1], v[28:29]
	v_add_f64 v[2:3], v[2:3], v[20:21]
.LBB556_18:
	flat_store_dwordx4 v[6:7], v[0:3]
.LBB556_19:
	s_or_b32 exec_lo, exec_lo, s1
	v_add_nc_u32_e32 v6, 16, v4
	v_cmp_le_i32_e32 vcc_lo, v25, v6
	v_cmp_gt_i32_e64 s1, s8, v6
	v_ashrrev_i32_e32 v7, 31, v6
	s_and_b32 s2, vcc_lo, s1
	s_and_saveexec_b32 s5, s2
	s_cbranch_execz .LBB556_23
; %bb.20:
	v_mul_f64 v[0:1], s[46:47], v[16:17]
	v_mul_f64 v[2:3], s[44:45], v[16:17]
	v_lshlrev_b64 v[16:17], 4, v[6:7]
	v_cmp_ne_u32_e32 vcc_lo, 1, v24
	s_and_b32 vcc_lo, exec_lo, vcc_lo
	v_add_co_u32 v16, s2, v26, v16
	v_add_co_ci_u32_e64 v17, null, v27, v17, s2
	v_fma_f64 v[0:1], s[44:45], v[18:19], -v[0:1]
	v_fma_f64 v[2:3], s[46:47], v[18:19], v[2:3]
	s_cbranch_vccnz .LBB556_22
; %bb.21:
	flat_load_dwordx4 v[18:21], v[16:17]
	s_waitcnt vmcnt(0) lgkmcnt(0)
	v_mul_f64 v[22:23], s[30:31], v[20:21]
	v_mul_f64 v[20:21], s[28:29], v[20:21]
	v_fma_f64 v[22:23], s[28:29], v[18:19], -v[22:23]
	v_fma_f64 v[18:19], s[30:31], v[18:19], v[20:21]
	v_add_f64 v[0:1], v[0:1], v[22:23]
	v_add_f64 v[2:3], v[2:3], v[18:19]
.LBB556_22:
	flat_store_dwordx4 v[16:17], v[0:3]
.LBB556_23:
	s_or_b32 exec_lo, exec_lo, s5
	v_add_nc_u32_e32 v18, 16, v25
	v_ashrrev_i32_e32 v2, 31, v18
	v_mul_lo_u32 v3, s41, v18
	v_mad_u64_u32 v[0:1], null, s40, v18, 0
	v_cmp_le_i32_e32 vcc_lo, v18, v4
	v_mul_lo_u32 v2, s40, v2
	s_and_b32 s0, vcc_lo, s0
	v_add3_u32 v1, v1, v2, v3
	v_lshlrev_b64 v[0:1], 4, v[0:1]
	v_add_co_u32 v16, s2, s4, v0
	v_add_co_ci_u32_e64 v17, null, s3, v1, s2
	s_and_saveexec_b32 s2, s0
	s_cbranch_execz .LBB556_27
; %bb.24:
	v_mul_f64 v[0:1], s[46:47], v[12:13]
	v_mul_f64 v[2:3], s[44:45], v[12:13]
	v_lshlrev_b64 v[4:5], 4, v[4:5]
	v_cmp_ne_u32_e32 vcc_lo, 1, v24
	s_and_b32 vcc_lo, exec_lo, vcc_lo
	v_add_co_u32 v4, s0, v16, v4
	v_add_co_ci_u32_e64 v5, null, v17, v5, s0
	v_fma_f64 v[0:1], s[44:45], v[14:15], -v[0:1]
	v_fma_f64 v[2:3], s[46:47], v[14:15], v[2:3]
	s_cbranch_vccnz .LBB556_26
; %bb.25:
	flat_load_dwordx4 v[12:15], v[4:5]
	s_waitcnt vmcnt(0) lgkmcnt(0)
	v_mul_f64 v[19:20], s[30:31], v[14:15]
	v_mul_f64 v[14:15], s[28:29], v[14:15]
	v_fma_f64 v[19:20], s[28:29], v[12:13], -v[19:20]
	v_fma_f64 v[12:13], s[30:31], v[12:13], v[14:15]
	v_add_f64 v[0:1], v[0:1], v[19:20]
	v_add_f64 v[2:3], v[2:3], v[12:13]
.LBB556_26:
	flat_store_dwordx4 v[4:5], v[0:3]
.LBB556_27:
	s_or_b32 exec_lo, exec_lo, s2
	v_cmp_le_i32_e32 vcc_lo, v18, v6
	s_and_b32 s0, vcc_lo, s1
	s_and_saveexec_b32 s1, s0
	s_cbranch_execz .LBB556_32
; %bb.28:
	v_mul_f64 v[0:1], s[46:47], v[8:9]
	v_mul_f64 v[2:3], s[44:45], v[8:9]
	v_lshlrev_b64 v[4:5], 4, v[6:7]
	v_cmp_ne_u32_e32 vcc_lo, 1, v24
	s_and_b32 vcc_lo, exec_lo, vcc_lo
	v_add_co_u32 v4, s0, v16, v4
	v_add_co_ci_u32_e64 v5, null, v17, v5, s0
	v_fma_f64 v[0:1], s[44:45], v[10:11], -v[0:1]
	v_fma_f64 v[2:3], s[46:47], v[10:11], v[2:3]
	s_cbranch_vccnz .LBB556_30
; %bb.29:
	flat_load_dwordx4 v[6:9], v[4:5]
	s_waitcnt vmcnt(0) lgkmcnt(0)
	v_mul_f64 v[10:11], s[30:31], v[8:9]
	v_mul_f64 v[8:9], s[28:29], v[8:9]
	v_fma_f64 v[10:11], s[28:29], v[6:7], -v[10:11]
	v_fma_f64 v[6:7], s[30:31], v[6:7], v[8:9]
	v_add_f64 v[0:1], v[0:1], v[10:11]
	v_add_f64 v[2:3], v[2:3], v[6:7]
.LBB556_30:
	flat_store_dwordx4 v[4:5], v[0:3]
	s_endpgm
.LBB556_31:
.LBB556_32:
	s_endpgm
	.section	.rodata,"a",@progbits
	.p2align	6, 0x0
	.amdhsa_kernel _ZL29rocblas_internal_gemmt_kernelIlLi16ELi32ELi8ELc67ELc84ELc76ELb1ELb0E19rocblas_complex_numIdEPKS1_PKS3_PKPS1_EviT_T9_T10_S9_lSB_S9_lSA_T11_S9_li
		.amdhsa_group_segment_fixed_size 8192
		.amdhsa_private_segment_fixed_size 0
		.amdhsa_kernarg_size 108
		.amdhsa_user_sgpr_count 6
		.amdhsa_user_sgpr_private_segment_buffer 1
		.amdhsa_user_sgpr_dispatch_ptr 0
		.amdhsa_user_sgpr_queue_ptr 0
		.amdhsa_user_sgpr_kernarg_segment_ptr 1
		.amdhsa_user_sgpr_dispatch_id 0
		.amdhsa_user_sgpr_flat_scratch_init 0
		.amdhsa_user_sgpr_private_segment_size 0
		.amdhsa_wavefront_size32 1
		.amdhsa_uses_dynamic_stack 0
		.amdhsa_system_sgpr_private_segment_wavefront_offset 0
		.amdhsa_system_sgpr_workgroup_id_x 1
		.amdhsa_system_sgpr_workgroup_id_y 1
		.amdhsa_system_sgpr_workgroup_id_z 1
		.amdhsa_system_sgpr_workgroup_info 0
		.amdhsa_system_vgpr_workitem_id 1
		.amdhsa_next_free_vgpr 126
		.amdhsa_next_free_sgpr 48
		.amdhsa_reserve_vcc 1
		.amdhsa_reserve_flat_scratch 0
		.amdhsa_float_round_mode_32 0
		.amdhsa_float_round_mode_16_64 0
		.amdhsa_float_denorm_mode_32 3
		.amdhsa_float_denorm_mode_16_64 3
		.amdhsa_dx10_clamp 1
		.amdhsa_ieee_mode 1
		.amdhsa_fp16_overflow 0
		.amdhsa_workgroup_processor_mode 1
		.amdhsa_memory_ordered 1
		.amdhsa_forward_progress 1
		.amdhsa_shared_vgpr_count 0
		.amdhsa_exception_fp_ieee_invalid_op 0
		.amdhsa_exception_fp_denorm_src 0
		.amdhsa_exception_fp_ieee_div_zero 0
		.amdhsa_exception_fp_ieee_overflow 0
		.amdhsa_exception_fp_ieee_underflow 0
		.amdhsa_exception_fp_ieee_inexact 0
		.amdhsa_exception_int_div_zero 0
	.end_amdhsa_kernel
	.section	.text._ZL29rocblas_internal_gemmt_kernelIlLi16ELi32ELi8ELc67ELc84ELc76ELb1ELb0E19rocblas_complex_numIdEPKS1_PKS3_PKPS1_EviT_T9_T10_S9_lSB_S9_lSA_T11_S9_li,"axG",@progbits,_ZL29rocblas_internal_gemmt_kernelIlLi16ELi32ELi8ELc67ELc84ELc76ELb1ELb0E19rocblas_complex_numIdEPKS1_PKS3_PKPS1_EviT_T9_T10_S9_lSB_S9_lSA_T11_S9_li,comdat
.Lfunc_end556:
	.size	_ZL29rocblas_internal_gemmt_kernelIlLi16ELi32ELi8ELc67ELc84ELc76ELb1ELb0E19rocblas_complex_numIdEPKS1_PKS3_PKPS1_EviT_T9_T10_S9_lSB_S9_lSA_T11_S9_li, .Lfunc_end556-_ZL29rocblas_internal_gemmt_kernelIlLi16ELi32ELi8ELc67ELc84ELc76ELb1ELb0E19rocblas_complex_numIdEPKS1_PKS3_PKPS1_EviT_T9_T10_S9_lSB_S9_lSA_T11_S9_li
                                        ; -- End function
	.set _ZL29rocblas_internal_gemmt_kernelIlLi16ELi32ELi8ELc67ELc84ELc76ELb1ELb0E19rocblas_complex_numIdEPKS1_PKS3_PKPS1_EviT_T9_T10_S9_lSB_S9_lSA_T11_S9_li.num_vgpr, 126
	.set _ZL29rocblas_internal_gemmt_kernelIlLi16ELi32ELi8ELc67ELc84ELc76ELb1ELb0E19rocblas_complex_numIdEPKS1_PKS3_PKPS1_EviT_T9_T10_S9_lSB_S9_lSA_T11_S9_li.num_agpr, 0
	.set _ZL29rocblas_internal_gemmt_kernelIlLi16ELi32ELi8ELc67ELc84ELc76ELb1ELb0E19rocblas_complex_numIdEPKS1_PKS3_PKPS1_EviT_T9_T10_S9_lSB_S9_lSA_T11_S9_li.numbered_sgpr, 48
	.set _ZL29rocblas_internal_gemmt_kernelIlLi16ELi32ELi8ELc67ELc84ELc76ELb1ELb0E19rocblas_complex_numIdEPKS1_PKS3_PKPS1_EviT_T9_T10_S9_lSB_S9_lSA_T11_S9_li.num_named_barrier, 0
	.set _ZL29rocblas_internal_gemmt_kernelIlLi16ELi32ELi8ELc67ELc84ELc76ELb1ELb0E19rocblas_complex_numIdEPKS1_PKS3_PKPS1_EviT_T9_T10_S9_lSB_S9_lSA_T11_S9_li.private_seg_size, 0
	.set _ZL29rocblas_internal_gemmt_kernelIlLi16ELi32ELi8ELc67ELc84ELc76ELb1ELb0E19rocblas_complex_numIdEPKS1_PKS3_PKPS1_EviT_T9_T10_S9_lSB_S9_lSA_T11_S9_li.uses_vcc, 1
	.set _ZL29rocblas_internal_gemmt_kernelIlLi16ELi32ELi8ELc67ELc84ELc76ELb1ELb0E19rocblas_complex_numIdEPKS1_PKS3_PKPS1_EviT_T9_T10_S9_lSB_S9_lSA_T11_S9_li.uses_flat_scratch, 0
	.set _ZL29rocblas_internal_gemmt_kernelIlLi16ELi32ELi8ELc67ELc84ELc76ELb1ELb0E19rocblas_complex_numIdEPKS1_PKS3_PKPS1_EviT_T9_T10_S9_lSB_S9_lSA_T11_S9_li.has_dyn_sized_stack, 0
	.set _ZL29rocblas_internal_gemmt_kernelIlLi16ELi32ELi8ELc67ELc84ELc76ELb1ELb0E19rocblas_complex_numIdEPKS1_PKS3_PKPS1_EviT_T9_T10_S9_lSB_S9_lSA_T11_S9_li.has_recursion, 0
	.set _ZL29rocblas_internal_gemmt_kernelIlLi16ELi32ELi8ELc67ELc84ELc76ELb1ELb0E19rocblas_complex_numIdEPKS1_PKS3_PKPS1_EviT_T9_T10_S9_lSB_S9_lSA_T11_S9_li.has_indirect_call, 0
	.section	.AMDGPU.csdata,"",@progbits
; Kernel info:
; codeLenInByte = 3560
; TotalNumSgprs: 50
; NumVgprs: 126
; ScratchSize: 0
; MemoryBound: 1
; FloatMode: 240
; IeeeMode: 1
; LDSByteSize: 8192 bytes/workgroup (compile time only)
; SGPRBlocks: 0
; VGPRBlocks: 15
; NumSGPRsForWavesPerEU: 50
; NumVGPRsForWavesPerEU: 126
; Occupancy: 8
; WaveLimiterHint : 1
; COMPUTE_PGM_RSRC2:SCRATCH_EN: 0
; COMPUTE_PGM_RSRC2:USER_SGPR: 6
; COMPUTE_PGM_RSRC2:TRAP_HANDLER: 0
; COMPUTE_PGM_RSRC2:TGID_X_EN: 1
; COMPUTE_PGM_RSRC2:TGID_Y_EN: 1
; COMPUTE_PGM_RSRC2:TGID_Z_EN: 1
; COMPUTE_PGM_RSRC2:TIDIG_COMP_CNT: 1
	.section	.text._ZL29rocblas_internal_gemmt_kernelIlLi16ELi32ELi8ELc67ELc67ELc76ELb1ELb1E19rocblas_complex_numIdEPKS1_PKS3_PKPS1_EviT_T9_T10_S9_lSB_S9_lSA_T11_S9_li,"axG",@progbits,_ZL29rocblas_internal_gemmt_kernelIlLi16ELi32ELi8ELc67ELc67ELc76ELb1ELb1E19rocblas_complex_numIdEPKS1_PKS3_PKPS1_EviT_T9_T10_S9_lSB_S9_lSA_T11_S9_li,comdat
	.globl	_ZL29rocblas_internal_gemmt_kernelIlLi16ELi32ELi8ELc67ELc67ELc76ELb1ELb1E19rocblas_complex_numIdEPKS1_PKS3_PKPS1_EviT_T9_T10_S9_lSB_S9_lSA_T11_S9_li ; -- Begin function _ZL29rocblas_internal_gemmt_kernelIlLi16ELi32ELi8ELc67ELc67ELc76ELb1ELb1E19rocblas_complex_numIdEPKS1_PKS3_PKPS1_EviT_T9_T10_S9_lSB_S9_lSA_T11_S9_li
	.p2align	8
	.type	_ZL29rocblas_internal_gemmt_kernelIlLi16ELi32ELi8ELc67ELc67ELc76ELb1ELb1E19rocblas_complex_numIdEPKS1_PKS3_PKPS1_EviT_T9_T10_S9_lSB_S9_lSA_T11_S9_li,@function
_ZL29rocblas_internal_gemmt_kernelIlLi16ELi32ELi8ELc67ELc67ELc76ELb1ELb1E19rocblas_complex_numIdEPKS1_PKS3_PKPS1_EviT_T9_T10_S9_lSB_S9_lSA_T11_S9_li: ; @_ZL29rocblas_internal_gemmt_kernelIlLi16ELi32ELi8ELc67ELc67ELc76ELb1ELb1E19rocblas_complex_numIdEPKS1_PKS3_PKPS1_EviT_T9_T10_S9_lSB_S9_lSA_T11_S9_li
; %bb.0:
	s_load_dwordx8 s[36:43], s[4:5], 0x48
	s_waitcnt lgkmcnt(0)
	s_load_dwordx4 s[28:31], s[36:37], 0x0
	s_load_dwordx16 s[12:27], s[4:5], 0x8
	s_waitcnt lgkmcnt(0)
	v_cmp_eq_f64_e64 s0, s[28:29], 1.0
	v_cmp_eq_f64_e64 s10, s[30:31], 0
	s_load_dwordx4 s[44:47], s[14:15], 0x0
	s_and_b32 s0, s0, s10
	s_andn2_b32 vcc_lo, exec_lo, s0
	s_mov_b32 s0, -1
	s_cbranch_vccnz .LBB557_3
; %bb.1:
	s_cmp_lg_u64 s[12:13], 0
	s_cbranch_scc0 .LBB557_29
; %bb.2:
	s_waitcnt lgkmcnt(0)
	v_cmp_neq_f64_e64 s0, s[44:45], 0
	v_cmp_neq_f64_e64 s1, s[46:47], 0
	s_or_b32 s0, s0, s1
.LBB557_3:
	s_and_b32 vcc_lo, exec_lo, s0
	s_cbranch_vccz .LBB557_30
; %bb.4:
	s_waitcnt lgkmcnt(0)
	v_cmp_eq_f64_e64 s11, s[44:45], 0
	v_cmp_eq_f64_e64 s14, s[46:47], 0
	s_mov_b32 s9, 0
	v_mov_b32_e32 v24, 0
	s_lshl_b64 s[0:1], s[8:9], 3
	v_mov_b32_e32 v26, 0
	s_add_u32 s2, s38, s0
	s_addc_u32 s3, s39, s1
	s_load_dword s8, s[4:5], 0x0
	s_load_dwordx2 s[2:3], s[2:3], 0x0
	v_cmp_lt_i64_e64 s4, s[12:13], 1
	v_mov_b32_e32 v20, 0
	v_mov_b32_e32 v22, 0
	;; [unrolled: 1-line block ×13, first 2 shown]
	s_and_b32 s5, s11, s14
	v_mov_b32_e32 v13, 0
	s_or_b32 s4, s5, s4
	s_lshl_b32 s6, s6, 5
	s_and_b32 vcc_lo, exec_lo, s4
	s_lshl_b32 s7, s7, 5
	s_cbranch_vccnz .LBB557_13
; %bb.5:
	s_add_u32 s4, s22, s0
	s_addc_u32 s5, s23, s1
	s_lshl_b64 s[14:15], s[26:27], 4
	s_load_dwordx2 s[4:5], s[4:5], 0x0
	v_lshl_add_u32 v2, v1, 4, v0
	v_and_b32_e32 v28, 7, v0
	v_mov_b32_e32 v12, 0
	v_mov_b32_e32 v14, 0
	;; [unrolled: 1-line block ×3, first 2 shown]
	v_and_b32_e32 v3, 31, v2
	v_lshrrev_b32_e32 v6, 3, v2
	v_lshrrev_b32_e32 v31, 5, v2
	v_lshlrev_b32_e32 v8, 4, v28
	v_mov_b32_e32 v16, 0
	v_or_b32_e32 v7, s6, v3
	v_add_nc_u32_e32 v2, s7, v6
	v_lshlrev_b32_e32 v9, 4, v3
	v_lshl_or_b32 v8, v6, 7, v8
	v_mov_b32_e32 v22, 0
	v_mul_lo_u32 v10, s19, v7
	v_mad_u64_u32 v[4:5], null, s18, v7, 0
	v_ashrrev_i32_e32 v3, 31, v2
	s_waitcnt lgkmcnt(0)
	s_add_u32 s9, s4, s14
	s_addc_u32 s11, s5, s15
	s_add_u32 s0, s16, s0
	s_addc_u32 s1, s17, s1
	s_lshl_b64 s[4:5], s[20:21], 4
	s_load_dwordx2 s[0:1], s[0:1], 0x0
	v_mov_b32_e32 v20, 0
	v_mov_b32_e32 v26, 0
	;; [unrolled: 1-line block ×3, first 2 shown]
	v_lshlrev_b32_e32 v29, 4, v0
	v_lshl_add_u32 v30, v1, 7, 0x1000
	v_mov_b32_e32 v13, 0
	v_mov_b32_e32 v15, 0
	;; [unrolled: 1-line block ×8, first 2 shown]
	v_lshl_or_b32 v32, v31, 9, v9
	v_add_nc_u32_e32 v33, 0x1000, v8
	v_mov_b32_e32 v11, 0
	s_waitcnt lgkmcnt(0)
	s_add_u32 s4, s0, s4
	s_addc_u32 s5, s1, s5
	s_ashr_i32 s0, s6, 31
	s_mul_i32 s1, s18, s0
	v_cmp_gt_i32_e64 s0, s8, v7
	v_add3_u32 v5, v5, s1, v10
	v_lshlrev_b64 v[6:7], 4, v[2:3]
	v_cmp_gt_i32_e64 s1, s8, v2
	v_lshlrev_b64 v[2:3], 4, v[4:5]
	v_add_co_u32 v34, vcc_lo, s9, v6
	v_add_co_ci_u32_e64 v35, null, s11, v7, vcc_lo
	v_add_co_u32 v36, vcc_lo, s4, v2
	v_add_co_ci_u32_e64 v37, null, s5, v3, vcc_lo
	s_mov_b64 s[4:5], 0
	s_branch .LBB557_7
.LBB557_6:                              ;   in Loop: Header=BB557_7 Depth=1
	s_or_b32 exec_lo, exec_lo, s9
	ds_write_b128 v33, v[6:9]
	s_waitcnt lgkmcnt(0)
	s_barrier
	buffer_gl0_inv
	ds_read_b128 v[2:5], v30
	ds_read_b128 v[6:9], v29
	ds_read_b128 v[38:41], v29 offset:256
	ds_read_b128 v[42:45], v30 offset:2048
	;; [unrolled: 1-line block ×11, first 2 shown]
	s_add_u32 s4, s4, 8
	s_addc_u32 s5, s5, 0
	v_cmp_gt_i64_e64 s9, s[12:13], s[4:5]
	s_waitcnt lgkmcnt(11)
	v_mul_f64 v[82:83], v[4:5], v[8:9]
	v_mul_f64 v[84:85], v[2:3], v[8:9]
	s_waitcnt lgkmcnt(10)
	v_mul_f64 v[86:87], v[4:5], v[40:41]
	v_mul_f64 v[88:89], v[2:3], v[40:41]
	;; [unrolled: 3-line block ×3, first 2 shown]
	v_mul_f64 v[92:93], v[44:45], v[40:41]
	v_mul_f64 v[40:41], v[42:43], v[40:41]
	s_waitcnt lgkmcnt(7)
	v_mul_f64 v[94:95], v[48:49], v[52:53]
	v_mul_f64 v[96:97], v[46:47], v[52:53]
	s_waitcnt lgkmcnt(6)
	v_mul_f64 v[98:99], v[48:49], v[56:57]
	s_waitcnt lgkmcnt(5)
	v_mul_f64 v[102:103], v[60:61], v[52:53]
	v_mul_f64 v[52:53], v[58:59], v[52:53]
	;; [unrolled: 1-line block ×5, first 2 shown]
	s_waitcnt lgkmcnt(3)
	v_mul_f64 v[106:107], v[68:69], v[64:65]
	v_mul_f64 v[108:109], v[66:67], v[64:65]
	s_and_b32 vcc_lo, exec_lo, s9
	v_fma_f64 v[82:83], v[2:3], v[6:7], -v[82:83]
	v_fma_f64 v[84:85], v[4:5], v[6:7], v[84:85]
	v_fma_f64 v[86:87], v[2:3], v[38:39], -v[86:87]
	v_fma_f64 v[88:89], v[4:5], v[38:39], v[88:89]
	;; [unrolled: 2-line block ×3, first 2 shown]
	v_fma_f64 v[92:93], v[42:43], v[38:39], -v[92:93]
	ds_read_b128 v[2:5], v29 offset:1536
	s_waitcnt lgkmcnt(3)
	v_mul_f64 v[110:111], v[68:69], v[72:73]
	v_mul_f64 v[112:113], v[66:67], v[72:73]
	v_fma_f64 v[116:117], v[44:45], v[38:39], v[40:41]
	v_fma_f64 v[94:95], v[46:47], v[50:51], -v[94:95]
	v_fma_f64 v[96:97], v[48:49], v[50:51], v[96:97]
	v_fma_f64 v[46:47], v[46:47], v[54:55], -v[98:99]
	s_waitcnt lgkmcnt(2)
	v_mul_f64 v[42:43], v[76:77], v[64:65]
	v_fma_f64 v[98:99], v[58:59], v[50:51], -v[102:103]
	v_fma_f64 v[50:51], v[60:61], v[50:51], v[52:53]
	v_mul_f64 v[44:45], v[74:75], v[64:65]
	v_mul_f64 v[52:53], v[76:77], v[72:73]
	;; [unrolled: 1-line block ×3, first 2 shown]
	v_fma_f64 v[48:49], v[48:49], v[54:55], v[100:101]
	v_fma_f64 v[58:59], v[58:59], v[54:55], -v[104:105]
	v_fma_f64 v[54:55], v[60:61], v[54:55], v[56:57]
	v_fma_f64 v[56:57], v[66:67], v[62:63], -v[106:107]
	v_fma_f64 v[60:61], v[68:69], v[62:63], v[108:109]
	v_add_f64 v[82:83], v[24:25], v[82:83]
	v_add_f64 v[84:85], v[84:85], v[26:27]
	;; [unrolled: 1-line block ×5, first 2 shown]
	v_fma_f64 v[66:67], v[66:67], v[70:71], -v[110:111]
	v_fma_f64 v[68:69], v[68:69], v[70:71], v[112:113]
	v_add_f64 v[104:105], v[114:115], v[18:19]
	ds_read_b128 v[6:9], v29 offset:1792
	ds_read_b128 v[38:41], v30 offset:2096
	s_waitcnt lgkmcnt(2)
	v_mul_f64 v[72:73], v[80:81], v[4:5]
	v_mul_f64 v[100:101], v[78:79], v[4:5]
	v_fma_f64 v[108:109], v[74:75], v[62:63], -v[42:43]
	ds_read_b128 v[16:19], v30 offset:64
	v_fma_f64 v[62:63], v[76:77], v[62:63], v[44:45]
	v_fma_f64 v[74:75], v[74:75], v[70:71], -v[52:53]
	v_fma_f64 v[64:65], v[76:77], v[70:71], v[64:65]
	v_add_f64 v[52:53], v[14:15], v[92:93]
	v_add_f64 v[70:71], v[116:117], v[12:13]
	ds_read_b128 v[20:23], v29 offset:2048
	ds_read_b128 v[24:27], v29 offset:2304
	;; [unrolled: 1-line block ×4, first 2 shown]
	v_add_f64 v[82:83], v[82:83], v[94:95]
	v_add_f64 v[84:85], v[96:97], v[84:85]
	;; [unrolled: 1-line block ×5, first 2 shown]
	s_waitcnt lgkmcnt(6)
	v_mul_f64 v[102:103], v[80:81], v[8:9]
	v_mul_f64 v[106:107], v[78:79], v[8:9]
	s_waitcnt lgkmcnt(5)
	v_mul_f64 v[110:111], v[40:41], v[4:5]
	v_mul_f64 v[4:5], v[38:39], v[4:5]
	v_add_f64 v[50:51], v[50:51], v[104:105]
	v_mul_f64 v[92:93], v[40:41], v[8:9]
	v_mul_f64 v[8:9], v[38:39], v[8:9]
	v_fma_f64 v[72:73], v[78:79], v[2:3], -v[72:73]
	v_fma_f64 v[76:77], v[80:81], v[2:3], v[100:101]
	ds_read_b128 v[46:49], v30 offset:2128
	s_waitcnt lgkmcnt(4)
	v_mul_f64 v[98:99], v[18:19], v[22:23]
	v_mul_f64 v[100:101], v[16:17], v[22:23]
	v_add_f64 v[58:59], v[52:53], v[58:59]
	v_add_f64 v[54:55], v[54:55], v[70:71]
	s_waitcnt lgkmcnt(3)
	v_mul_f64 v[104:105], v[16:17], v[26:27]
	s_waitcnt lgkmcnt(2)
	v_mul_f64 v[70:71], v[44:45], v[22:23]
	v_mul_f64 v[22:23], v[42:43], v[22:23]
	v_add_f64 v[56:57], v[82:83], v[56:57]
	v_add_f64 v[60:61], v[60:61], v[84:85]
	;; [unrolled: 1-line block ×5, first 2 shown]
	v_fma_f64 v[78:79], v[78:79], v[6:7], -v[102:103]
	v_fma_f64 v[80:81], v[80:81], v[6:7], v[106:107]
	v_fma_f64 v[94:95], v[38:39], v[2:3], -v[110:111]
	v_fma_f64 v[96:97], v[40:41], v[2:3], v[4:5]
	v_mul_f64 v[102:103], v[18:19], v[26:27]
	v_add_f64 v[62:63], v[62:63], v[50:51]
	v_mul_f64 v[84:85], v[44:45], v[26:27]
	v_mul_f64 v[26:27], v[42:43], v[26:27]
	v_fma_f64 v[38:39], v[38:39], v[6:7], -v[92:93]
	v_fma_f64 v[40:41], v[40:41], v[6:7], v[8:9]
	ds_read_b128 v[2:5], v30 offset:80
	ds_read_b128 v[50:53], v29 offset:2816
	v_add_f64 v[58:59], v[58:59], v[74:75]
	v_add_f64 v[54:55], v[64:65], v[54:55]
	v_fma_f64 v[88:89], v[16:17], v[20:21], -v[98:99]
	v_fma_f64 v[90:91], v[18:19], v[20:21], v[100:101]
	v_fma_f64 v[98:99], v[18:19], v[24:25], v[104:105]
	v_fma_f64 v[64:65], v[42:43], v[20:21], -v[70:71]
	v_add_f64 v[56:57], v[56:57], v[72:73]
	v_add_f64 v[60:61], v[76:77], v[60:61]
	v_fma_f64 v[70:71], v[44:45], v[20:21], v[22:23]
	v_add_f64 v[66:67], v[66:67], v[78:79]
	v_add_f64 v[68:69], v[80:81], v[68:69]
	;; [unrolled: 1-line block ×3, first 2 shown]
	s_waitcnt lgkmcnt(2)
	v_mul_f64 v[80:81], v[48:49], v[14:15]
	v_fma_f64 v[92:93], v[16:17], v[24:25], -v[102:103]
	v_add_f64 v[62:63], v[96:97], v[62:63]
	v_fma_f64 v[42:43], v[42:43], v[24:25], -v[84:85]
	v_fma_f64 v[44:45], v[44:45], v[24:25], v[26:27]
	s_waitcnt lgkmcnt(1)
	v_mul_f64 v[86:87], v[4:5], v[14:15]
	v_mul_f64 v[74:75], v[2:3], v[14:15]
	s_waitcnt lgkmcnt(0)
	v_mul_f64 v[76:77], v[4:5], v[52:53]
	v_mul_f64 v[78:79], v[2:3], v[52:53]
	;; [unrolled: 1-line block ×5, first 2 shown]
	v_add_f64 v[38:39], v[58:59], v[38:39]
	v_add_f64 v[40:41], v[40:41], v[54:55]
	ds_read_b128 v[6:9], v30 offset:96
	ds_read_b128 v[16:19], v29 offset:3072
	;; [unrolled: 1-line block ×4, first 2 shown]
	v_add_f64 v[54:55], v[56:57], v[88:89]
	v_add_f64 v[56:57], v[90:91], v[60:61]
	;; [unrolled: 1-line block ×3, first 2 shown]
	v_fma_f64 v[80:81], v[46:47], v[12:13], -v[80:81]
	v_add_f64 v[60:61], v[66:67], v[92:93]
	v_add_f64 v[66:67], v[98:99], v[68:69]
	;; [unrolled: 1-line block ×3, first 2 shown]
	v_fma_f64 v[58:59], v[2:3], v[12:13], -v[86:87]
	v_fma_f64 v[68:69], v[4:5], v[12:13], v[74:75]
	v_fma_f64 v[70:71], v[2:3], v[50:51], -v[76:77]
	v_fma_f64 v[72:73], v[4:5], v[50:51], v[78:79]
	ds_read_b128 v[2:5], v30 offset:112
	v_fma_f64 v[86:87], v[48:49], v[12:13], v[14:15]
	s_waitcnt lgkmcnt(3)
	v_mul_f64 v[74:75], v[8:9], v[18:19]
	v_mul_f64 v[76:77], v[6:7], v[18:19]
	s_waitcnt lgkmcnt(2)
	v_mul_f64 v[78:79], v[8:9], v[22:23]
	v_mul_f64 v[84:85], v[6:7], v[22:23]
	v_fma_f64 v[46:47], v[46:47], v[50:51], -v[82:83]
	v_fma_f64 v[48:49], v[48:49], v[50:51], v[52:53]
	v_add_f64 v[50:51], v[38:39], v[42:43]
	v_add_f64 v[52:53], v[44:45], v[40:41]
	s_waitcnt lgkmcnt(1)
	v_mul_f64 v[82:83], v[26:27], v[18:19]
	v_mul_f64 v[18:19], v[24:25], v[18:19]
	;; [unrolled: 1-line block ×4, first 2 shown]
	ds_read_b128 v[12:15], v30 offset:2160
	ds_read_b128 v[38:41], v29 offset:3584
	;; [unrolled: 1-line block ×3, first 2 shown]
	v_add_f64 v[64:65], v[64:65], v[80:81]
	s_waitcnt lgkmcnt(0)
	v_add_f64 v[54:55], v[54:55], v[58:59]
	v_add_f64 v[56:57], v[68:69], v[56:57]
	;; [unrolled: 1-line block ×4, first 2 shown]
	s_barrier
	v_add_f64 v[62:63], v[86:87], v[62:63]
	v_fma_f64 v[58:59], v[6:7], v[16:17], -v[74:75]
	v_fma_f64 v[68:69], v[8:9], v[16:17], v[76:77]
	v_fma_f64 v[6:7], v[6:7], v[20:21], -v[78:79]
	v_fma_f64 v[8:9], v[8:9], v[20:21], v[84:85]
	buffer_gl0_inv
	v_add_f64 v[46:47], v[50:51], v[46:47]
	v_add_f64 v[48:49], v[48:49], v[52:53]
	v_fma_f64 v[50:51], v[24:25], v[16:17], -v[82:83]
	v_fma_f64 v[16:17], v[26:27], v[16:17], v[18:19]
	v_fma_f64 v[18:19], v[24:25], v[20:21], -v[88:89]
	v_fma_f64 v[20:21], v[26:27], v[20:21], v[22:23]
	v_mul_f64 v[22:23], v[4:5], v[40:41]
	v_mul_f64 v[24:25], v[2:3], v[40:41]
	;; [unrolled: 1-line block ×8, first 2 shown]
	v_add_f64 v[54:55], v[54:55], v[58:59]
	v_add_f64 v[56:57], v[68:69], v[56:57]
	;; [unrolled: 1-line block ×8, first 2 shown]
	v_fma_f64 v[16:17], v[2:3], v[38:39], -v[22:23]
	v_fma_f64 v[18:19], v[4:5], v[38:39], v[24:25]
	v_fma_f64 v[2:3], v[2:3], v[42:43], -v[26:27]
	v_fma_f64 v[4:5], v[4:5], v[42:43], v[52:53]
	;; [unrolled: 2-line block ×4, first 2 shown]
	v_add_f64 v[24:25], v[54:55], v[16:17]
	v_add_f64 v[26:27], v[18:19], v[56:57]
	;; [unrolled: 1-line block ×8, first 2 shown]
	s_cbranch_vccz .LBB557_13
.LBB557_7:                              ; =>This Inner Loop Header: Depth=1
	v_mov_b32_e32 v2, 0
	v_mov_b32_e32 v4, 0
	;; [unrolled: 1-line block ×4, first 2 shown]
	s_and_saveexec_b32 s9, s0
	s_cbranch_execz .LBB557_11
; %bb.8:                                ;   in Loop: Header=BB557_7 Depth=1
	v_mov_b32_e32 v4, 0
	v_mov_b32_e32 v2, 0
	v_add_nc_u32_e32 v10, s4, v31
	v_mov_b32_e32 v5, 0
	v_mov_b32_e32 v3, 0
	s_mov_b32 s11, exec_lo
	v_cmpx_gt_u64_e64 s[12:13], v[10:11]
	s_cbranch_execz .LBB557_10
; %bb.9:                                ;   in Loop: Header=BB557_7 Depth=1
	v_lshlrev_b64 v[2:3], 4, v[10:11]
	v_add_co_u32 v2, vcc_lo, v36, v2
	v_add_co_ci_u32_e64 v3, null, v37, v3, vcc_lo
	flat_load_dwordx4 v[2:5], v[2:3]
	s_waitcnt vmcnt(0) lgkmcnt(0)
	v_xor_b32_e32 v5, 0x80000000, v5
.LBB557_10:                             ;   in Loop: Header=BB557_7 Depth=1
	s_or_b32 exec_lo, exec_lo, s11
.LBB557_11:                             ;   in Loop: Header=BB557_7 Depth=1
	s_or_b32 exec_lo, exec_lo, s9
	v_add_nc_u32_e32 v10, s4, v28
	v_mov_b32_e32 v6, 0
	v_mov_b32_e32 v8, 0
	v_mov_b32_e32 v7, 0
	v_mov_b32_e32 v9, 0
	v_cmp_gt_u64_e32 vcc_lo, s[12:13], v[10:11]
	ds_write_b128 v32, v[2:5]
	s_and_b32 s11, vcc_lo, s1
	s_and_saveexec_b32 s9, s11
	s_cbranch_execz .LBB557_6
; %bb.12:                               ;   in Loop: Header=BB557_7 Depth=1
	v_mad_u64_u32 v[2:3], null, s24, v10, 0
	v_mad_u64_u32 v[3:4], null, s25, v10, v[3:4]
	v_lshlrev_b64 v[2:3], 4, v[2:3]
	v_add_co_u32 v2, vcc_lo, v34, v2
	v_add_co_ci_u32_e64 v3, null, v35, v3, vcc_lo
	flat_load_dwordx4 v[6:9], v[2:3]
	s_waitcnt vmcnt(0) lgkmcnt(0)
	v_xor_b32_e32 v9, 0x80000000, v9
	s_branch .LBB557_6
.LBB557_13:
	v_add_nc_u32_e32 v11, s7, v1
	v_cmp_neq_f64_e64 s5, s[28:29], 0
	s_lshl_b64 s[0:1], s[42:43], 4
	s_waitcnt lgkmcnt(0)
	s_add_u32 s4, s2, s0
	v_ashrrev_i32_e32 v3, 31, v11
	v_mul_lo_u32 v4, s41, v11
	v_mad_u64_u32 v[1:2], null, s40, v11, 0
	s_addc_u32 s3, s3, s1
	v_mul_lo_u32 v3, s40, v3
	s_xor_b32 s2, s10, -1
	v_add3_u32 v2, v2, v3, v4
	v_add_nc_u32_e32 v4, s6, v0
	s_or_b32 s2, s5, s2
	v_lshlrev_b64 v[0:1], 4, v[1:2]
	v_cmp_le_i32_e32 vcc_lo, v11, v4
	v_cmp_gt_i32_e64 s0, s8, v4
	v_ashrrev_i32_e32 v5, 31, v4
	v_cndmask_b32_e64 v10, 0, 1, s2
	v_add_co_u32 v8, s1, s4, v0
	v_add_co_ci_u32_e64 v9, null, s3, v1, s1
	s_and_b32 s5, vcc_lo, s0
	s_and_saveexec_b32 s1, s5
	s_cbranch_execz .LBB557_17
; %bb.14:
	v_mul_f64 v[0:1], s[46:47], v[26:27]
	v_mul_f64 v[2:3], s[44:45], v[26:27]
	v_lshlrev_b64 v[6:7], 4, v[4:5]
	v_add_co_u32 v6, vcc_lo, v8, v6
	v_add_co_ci_u32_e64 v7, null, v9, v7, vcc_lo
	s_andn2_b32 vcc_lo, exec_lo, s2
	v_fma_f64 v[0:1], s[44:45], v[24:25], -v[0:1]
	v_fma_f64 v[2:3], s[46:47], v[24:25], v[2:3]
	s_cbranch_vccnz .LBB557_16
; %bb.15:
	flat_load_dwordx4 v[24:27], v[6:7]
	s_waitcnt vmcnt(0) lgkmcnt(0)
	v_mul_f64 v[28:29], s[30:31], v[26:27]
	v_mul_f64 v[26:27], s[28:29], v[26:27]
	v_fma_f64 v[28:29], s[28:29], v[24:25], -v[28:29]
	v_fma_f64 v[24:25], s[30:31], v[24:25], v[26:27]
	v_add_f64 v[0:1], v[0:1], v[28:29]
	v_add_f64 v[2:3], v[2:3], v[24:25]
.LBB557_16:
	flat_store_dwordx4 v[6:7], v[0:3]
.LBB557_17:
	s_or_b32 exec_lo, exec_lo, s1
	v_add_nc_u32_e32 v6, 16, v4
	v_cmp_le_i32_e32 vcc_lo, v11, v6
	v_cmp_gt_i32_e64 s1, s8, v6
	v_ashrrev_i32_e32 v7, 31, v6
	s_and_b32 s2, vcc_lo, s1
	s_and_saveexec_b32 s5, s2
	s_cbranch_execz .LBB557_21
; %bb.18:
	v_mul_f64 v[0:1], s[46:47], v[22:23]
	v_mul_f64 v[2:3], s[44:45], v[22:23]
	v_cmp_ne_u32_e32 vcc_lo, 1, v10
	s_and_b32 vcc_lo, exec_lo, vcc_lo
	v_fma_f64 v[0:1], s[44:45], v[20:21], -v[0:1]
	v_fma_f64 v[2:3], s[46:47], v[20:21], v[2:3]
	v_lshlrev_b64 v[20:21], 4, v[6:7]
	v_add_co_u32 v8, s2, v8, v20
	v_add_co_ci_u32_e64 v9, null, v9, v21, s2
	s_cbranch_vccnz .LBB557_20
; %bb.19:
	flat_load_dwordx4 v[20:23], v[8:9]
	s_waitcnt vmcnt(0) lgkmcnt(0)
	v_mul_f64 v[24:25], s[30:31], v[22:23]
	v_mul_f64 v[22:23], s[28:29], v[22:23]
	v_fma_f64 v[24:25], s[28:29], v[20:21], -v[24:25]
	v_fma_f64 v[20:21], s[30:31], v[20:21], v[22:23]
	v_add_f64 v[0:1], v[0:1], v[24:25]
	v_add_f64 v[2:3], v[2:3], v[20:21]
.LBB557_20:
	flat_store_dwordx4 v[8:9], v[0:3]
.LBB557_21:
	s_or_b32 exec_lo, exec_lo, s5
	v_add_nc_u32_e32 v11, 16, v11
	v_ashrrev_i32_e32 v2, 31, v11
	v_mul_lo_u32 v3, s41, v11
	v_mad_u64_u32 v[0:1], null, s40, v11, 0
	v_cmp_le_i32_e32 vcc_lo, v11, v4
	v_mul_lo_u32 v2, s40, v2
	s_and_b32 s0, vcc_lo, s0
	v_add3_u32 v1, v1, v2, v3
	v_lshlrev_b64 v[0:1], 4, v[0:1]
	v_add_co_u32 v8, s2, s4, v0
	v_add_co_ci_u32_e64 v9, null, s3, v1, s2
	s_and_saveexec_b32 s2, s0
	s_cbranch_execz .LBB557_25
; %bb.22:
	v_mul_f64 v[0:1], s[46:47], v[18:19]
	v_mul_f64 v[2:3], s[44:45], v[18:19]
	v_lshlrev_b64 v[4:5], 4, v[4:5]
	v_cmp_ne_u32_e32 vcc_lo, 1, v10
	s_and_b32 vcc_lo, exec_lo, vcc_lo
	v_add_co_u32 v4, s0, v8, v4
	v_add_co_ci_u32_e64 v5, null, v9, v5, s0
	v_fma_f64 v[0:1], s[44:45], v[16:17], -v[0:1]
	v_fma_f64 v[2:3], s[46:47], v[16:17], v[2:3]
	s_cbranch_vccnz .LBB557_24
; %bb.23:
	flat_load_dwordx4 v[16:19], v[4:5]
	s_waitcnt vmcnt(0) lgkmcnt(0)
	v_mul_f64 v[20:21], s[30:31], v[18:19]
	v_mul_f64 v[18:19], s[28:29], v[18:19]
	v_fma_f64 v[20:21], s[28:29], v[16:17], -v[20:21]
	v_fma_f64 v[16:17], s[30:31], v[16:17], v[18:19]
	v_add_f64 v[0:1], v[0:1], v[20:21]
	v_add_f64 v[2:3], v[2:3], v[16:17]
.LBB557_24:
	flat_store_dwordx4 v[4:5], v[0:3]
.LBB557_25:
	s_or_b32 exec_lo, exec_lo, s2
	v_cmp_le_i32_e32 vcc_lo, v11, v6
	s_and_b32 s0, vcc_lo, s1
	s_and_saveexec_b32 s1, s0
	s_cbranch_execz .LBB557_30
; %bb.26:
	v_mul_f64 v[0:1], s[46:47], v[12:13]
	v_mul_f64 v[2:3], s[44:45], v[12:13]
	v_lshlrev_b64 v[4:5], 4, v[6:7]
	v_cmp_ne_u32_e32 vcc_lo, 1, v10
	s_and_b32 vcc_lo, exec_lo, vcc_lo
	v_add_co_u32 v4, s0, v8, v4
	v_add_co_ci_u32_e64 v5, null, v9, v5, s0
	v_fma_f64 v[0:1], s[44:45], v[14:15], -v[0:1]
	v_fma_f64 v[2:3], s[46:47], v[14:15], v[2:3]
	s_cbranch_vccnz .LBB557_28
; %bb.27:
	flat_load_dwordx4 v[6:9], v[4:5]
	s_waitcnt vmcnt(0) lgkmcnt(0)
	v_mul_f64 v[10:11], s[30:31], v[8:9]
	v_mul_f64 v[8:9], s[28:29], v[8:9]
	v_fma_f64 v[10:11], s[28:29], v[6:7], -v[10:11]
	v_fma_f64 v[6:7], s[30:31], v[6:7], v[8:9]
	v_add_f64 v[0:1], v[0:1], v[10:11]
	v_add_f64 v[2:3], v[2:3], v[6:7]
.LBB557_28:
	flat_store_dwordx4 v[4:5], v[0:3]
	s_endpgm
.LBB557_29:
.LBB557_30:
	s_endpgm
	.section	.rodata,"a",@progbits
	.p2align	6, 0x0
	.amdhsa_kernel _ZL29rocblas_internal_gemmt_kernelIlLi16ELi32ELi8ELc67ELc67ELc76ELb1ELb1E19rocblas_complex_numIdEPKS1_PKS3_PKPS1_EviT_T9_T10_S9_lSB_S9_lSA_T11_S9_li
		.amdhsa_group_segment_fixed_size 8192
		.amdhsa_private_segment_fixed_size 0
		.amdhsa_kernarg_size 108
		.amdhsa_user_sgpr_count 6
		.amdhsa_user_sgpr_private_segment_buffer 1
		.amdhsa_user_sgpr_dispatch_ptr 0
		.amdhsa_user_sgpr_queue_ptr 0
		.amdhsa_user_sgpr_kernarg_segment_ptr 1
		.amdhsa_user_sgpr_dispatch_id 0
		.amdhsa_user_sgpr_flat_scratch_init 0
		.amdhsa_user_sgpr_private_segment_size 0
		.amdhsa_wavefront_size32 1
		.amdhsa_uses_dynamic_stack 0
		.amdhsa_system_sgpr_private_segment_wavefront_offset 0
		.amdhsa_system_sgpr_workgroup_id_x 1
		.amdhsa_system_sgpr_workgroup_id_y 1
		.amdhsa_system_sgpr_workgroup_id_z 1
		.amdhsa_system_sgpr_workgroup_info 0
		.amdhsa_system_vgpr_workitem_id 1
		.amdhsa_next_free_vgpr 118
		.amdhsa_next_free_sgpr 48
		.amdhsa_reserve_vcc 1
		.amdhsa_reserve_flat_scratch 0
		.amdhsa_float_round_mode_32 0
		.amdhsa_float_round_mode_16_64 0
		.amdhsa_float_denorm_mode_32 3
		.amdhsa_float_denorm_mode_16_64 3
		.amdhsa_dx10_clamp 1
		.amdhsa_ieee_mode 1
		.amdhsa_fp16_overflow 0
		.amdhsa_workgroup_processor_mode 1
		.amdhsa_memory_ordered 1
		.amdhsa_forward_progress 1
		.amdhsa_shared_vgpr_count 0
		.amdhsa_exception_fp_ieee_invalid_op 0
		.amdhsa_exception_fp_denorm_src 0
		.amdhsa_exception_fp_ieee_div_zero 0
		.amdhsa_exception_fp_ieee_overflow 0
		.amdhsa_exception_fp_ieee_underflow 0
		.amdhsa_exception_fp_ieee_inexact 0
		.amdhsa_exception_int_div_zero 0
	.end_amdhsa_kernel
	.section	.text._ZL29rocblas_internal_gemmt_kernelIlLi16ELi32ELi8ELc67ELc67ELc76ELb1ELb1E19rocblas_complex_numIdEPKS1_PKS3_PKPS1_EviT_T9_T10_S9_lSB_S9_lSA_T11_S9_li,"axG",@progbits,_ZL29rocblas_internal_gemmt_kernelIlLi16ELi32ELi8ELc67ELc67ELc76ELb1ELb1E19rocblas_complex_numIdEPKS1_PKS3_PKPS1_EviT_T9_T10_S9_lSB_S9_lSA_T11_S9_li,comdat
.Lfunc_end557:
	.size	_ZL29rocblas_internal_gemmt_kernelIlLi16ELi32ELi8ELc67ELc67ELc76ELb1ELb1E19rocblas_complex_numIdEPKS1_PKS3_PKPS1_EviT_T9_T10_S9_lSB_S9_lSA_T11_S9_li, .Lfunc_end557-_ZL29rocblas_internal_gemmt_kernelIlLi16ELi32ELi8ELc67ELc67ELc76ELb1ELb1E19rocblas_complex_numIdEPKS1_PKS3_PKPS1_EviT_T9_T10_S9_lSB_S9_lSA_T11_S9_li
                                        ; -- End function
	.set _ZL29rocblas_internal_gemmt_kernelIlLi16ELi32ELi8ELc67ELc67ELc76ELb1ELb1E19rocblas_complex_numIdEPKS1_PKS3_PKPS1_EviT_T9_T10_S9_lSB_S9_lSA_T11_S9_li.num_vgpr, 118
	.set _ZL29rocblas_internal_gemmt_kernelIlLi16ELi32ELi8ELc67ELc67ELc76ELb1ELb1E19rocblas_complex_numIdEPKS1_PKS3_PKPS1_EviT_T9_T10_S9_lSB_S9_lSA_T11_S9_li.num_agpr, 0
	.set _ZL29rocblas_internal_gemmt_kernelIlLi16ELi32ELi8ELc67ELc67ELc76ELb1ELb1E19rocblas_complex_numIdEPKS1_PKS3_PKPS1_EviT_T9_T10_S9_lSB_S9_lSA_T11_S9_li.numbered_sgpr, 48
	.set _ZL29rocblas_internal_gemmt_kernelIlLi16ELi32ELi8ELc67ELc67ELc76ELb1ELb1E19rocblas_complex_numIdEPKS1_PKS3_PKPS1_EviT_T9_T10_S9_lSB_S9_lSA_T11_S9_li.num_named_barrier, 0
	.set _ZL29rocblas_internal_gemmt_kernelIlLi16ELi32ELi8ELc67ELc67ELc76ELb1ELb1E19rocblas_complex_numIdEPKS1_PKS3_PKPS1_EviT_T9_T10_S9_lSB_S9_lSA_T11_S9_li.private_seg_size, 0
	.set _ZL29rocblas_internal_gemmt_kernelIlLi16ELi32ELi8ELc67ELc67ELc76ELb1ELb1E19rocblas_complex_numIdEPKS1_PKS3_PKPS1_EviT_T9_T10_S9_lSB_S9_lSA_T11_S9_li.uses_vcc, 1
	.set _ZL29rocblas_internal_gemmt_kernelIlLi16ELi32ELi8ELc67ELc67ELc76ELb1ELb1E19rocblas_complex_numIdEPKS1_PKS3_PKPS1_EviT_T9_T10_S9_lSB_S9_lSA_T11_S9_li.uses_flat_scratch, 0
	.set _ZL29rocblas_internal_gemmt_kernelIlLi16ELi32ELi8ELc67ELc67ELc76ELb1ELb1E19rocblas_complex_numIdEPKS1_PKS3_PKPS1_EviT_T9_T10_S9_lSB_S9_lSA_T11_S9_li.has_dyn_sized_stack, 0
	.set _ZL29rocblas_internal_gemmt_kernelIlLi16ELi32ELi8ELc67ELc67ELc76ELb1ELb1E19rocblas_complex_numIdEPKS1_PKS3_PKPS1_EviT_T9_T10_S9_lSB_S9_lSA_T11_S9_li.has_recursion, 0
	.set _ZL29rocblas_internal_gemmt_kernelIlLi16ELi32ELi8ELc67ELc67ELc76ELb1ELb1E19rocblas_complex_numIdEPKS1_PKS3_PKPS1_EviT_T9_T10_S9_lSB_S9_lSA_T11_S9_li.has_indirect_call, 0
	.section	.AMDGPU.csdata,"",@progbits
; Kernel info:
; codeLenInByte = 3568
; TotalNumSgprs: 50
; NumVgprs: 118
; ScratchSize: 0
; MemoryBound: 1
; FloatMode: 240
; IeeeMode: 1
; LDSByteSize: 8192 bytes/workgroup (compile time only)
; SGPRBlocks: 0
; VGPRBlocks: 14
; NumSGPRsForWavesPerEU: 50
; NumVGPRsForWavesPerEU: 118
; Occupancy: 8
; WaveLimiterHint : 1
; COMPUTE_PGM_RSRC2:SCRATCH_EN: 0
; COMPUTE_PGM_RSRC2:USER_SGPR: 6
; COMPUTE_PGM_RSRC2:TRAP_HANDLER: 0
; COMPUTE_PGM_RSRC2:TGID_X_EN: 1
; COMPUTE_PGM_RSRC2:TGID_Y_EN: 1
; COMPUTE_PGM_RSRC2:TGID_Z_EN: 1
; COMPUTE_PGM_RSRC2:TIDIG_COMP_CNT: 1
	.section	.text._ZL29rocblas_internal_gemmt_kernelIlLi16ELi32ELi8ELc78ELc78ELc85ELb0ELb0E19rocblas_complex_numIdES1_PKPKS1_PKPS1_EviT_T9_T10_S9_lSB_S9_lSA_T11_S9_li,"axG",@progbits,_ZL29rocblas_internal_gemmt_kernelIlLi16ELi32ELi8ELc78ELc78ELc85ELb0ELb0E19rocblas_complex_numIdES1_PKPKS1_PKPS1_EviT_T9_T10_S9_lSB_S9_lSA_T11_S9_li,comdat
	.globl	_ZL29rocblas_internal_gemmt_kernelIlLi16ELi32ELi8ELc78ELc78ELc85ELb0ELb0E19rocblas_complex_numIdES1_PKPKS1_PKPS1_EviT_T9_T10_S9_lSB_S9_lSA_T11_S9_li ; -- Begin function _ZL29rocblas_internal_gemmt_kernelIlLi16ELi32ELi8ELc78ELc78ELc85ELb0ELb0E19rocblas_complex_numIdES1_PKPKS1_PKPS1_EviT_T9_T10_S9_lSB_S9_lSA_T11_S9_li
	.p2align	8
	.type	_ZL29rocblas_internal_gemmt_kernelIlLi16ELi32ELi8ELc78ELc78ELc85ELb0ELb0E19rocblas_complex_numIdES1_PKPKS1_PKPS1_EviT_T9_T10_S9_lSB_S9_lSA_T11_S9_li,@function
_ZL29rocblas_internal_gemmt_kernelIlLi16ELi32ELi8ELc78ELc78ELc85ELb0ELb0E19rocblas_complex_numIdES1_PKPKS1_PKPS1_EviT_T9_T10_S9_lSB_S9_lSA_T11_S9_li: ; @_ZL29rocblas_internal_gemmt_kernelIlLi16ELi32ELi8ELc78ELc78ELc85ELb0ELb0E19rocblas_complex_numIdES1_PKPKS1_PKPS1_EviT_T9_T10_S9_lSB_S9_lSA_T11_S9_li
; %bb.0:
	s_clause 0x1
	s_load_dwordx8 s[36:43], s[4:5], 0x48
	s_load_dwordx16 s[12:27], s[4:5], 0x8
	s_waitcnt lgkmcnt(0)
	v_cmp_eq_f64_e64 s0, s[38:39], 1.0
	v_cmp_eq_f64_e64 s29, s[40:41], 0
	s_and_b32 s0, s0, s29
	s_andn2_b32 vcc_lo, exec_lo, s0
	s_mov_b32 s0, -1
	s_cbranch_vccnz .LBB558_3
; %bb.1:
	s_cmp_lg_u64 s[12:13], 0
	s_cbranch_scc0 .LBB558_33
; %bb.2:
	v_cmp_neq_f64_e64 s0, s[14:15], 0
	v_cmp_neq_f64_e64 s1, s[16:17], 0
	s_or_b32 s0, s0, s1
.LBB558_3:
	s_and_b32 vcc_lo, exec_lo, s0
	s_cbranch_vccz .LBB558_34
; %bb.4:
	v_cmp_eq_f64_e64 s30, s[14:15], 0
	v_cmp_eq_f64_e64 s31, s[16:17], 0
	s_mov_b32 s9, 0
	v_mov_b32_e32 v20, 0
	s_lshl_b64 s[0:1], s[8:9], 3
	v_mov_b32_e32 v22, 0
	s_add_u32 s2, s42, s0
	s_addc_u32 s3, s43, s1
	s_clause 0x1
	s_load_dwordx4 s[8:11], s[4:5], 0x68
	s_load_dword s28, s[4:5], 0x0
	s_load_dwordx2 s[2:3], s[2:3], 0x0
	v_cmp_lt_i64_e64 s4, s[12:13], 1
	v_mov_b32_e32 v18, 0
	v_mov_b32_e32 v16, 0
	;; [unrolled: 1-line block ×13, first 2 shown]
	s_and_b32 s5, s30, s31
	v_mov_b32_e32 v7, 0
	s_or_b32 s4, s5, s4
	s_lshl_b32 s6, s6, 5
	s_and_b32 vcc_lo, exec_lo, s4
	s_lshl_b32 s7, s7, 5
	s_cbranch_vccnz .LBB558_17
; %bb.5:
	s_add_u32 s4, s24, s0
	s_addc_u32 s5, s25, s1
	v_lshl_add_u32 v5, v1, 4, v0
	s_load_dwordx2 s[4:5], s[4:5], 0x0
	s_lshl_b64 s[24:25], s[36:37], 4
	v_and_b32_e32 v24, 7, v0
	v_mov_b32_e32 v6, 0
	v_lshrrev_b32_e32 v10, 3, v5
	v_and_b32_e32 v20, 31, v5
	v_lshrrev_b32_e32 v27, 5, v5
	v_lshlrev_b32_e32 v23, 4, v24
	v_mov_b32_e32 v8, 0
	v_add_nc_u32_e32 v11, s7, v10
	v_mov_b32_e32 v12, 0
	v_mov_b32_e32 v14, 0
	v_lshl_or_b32 v10, v10, 7, v23
	v_mov_b32_e32 v16, 0
	v_ashrrev_i32_e32 v4, 31, v11
	v_mul_lo_u32 v21, s27, v11
	v_mad_u64_u32 v[2:3], null, s26, v11, 0
	s_waitcnt lgkmcnt(0)
	v_cmp_gt_i32_e32 vcc_lo, s28, v11
	v_mul_lo_u32 v22, s26, v4
	s_add_u32 s24, s4, s24
	s_addc_u32 s25, s5, s25
	s_add_u32 s0, s18, s0
	s_addc_u32 s1, s19, s1
	v_or_b32_e32 v4, s6, v20
	s_load_dwordx2 s[4:5], s[0:1], 0x0
	v_lshlrev_b32_e32 v20, 4, v20
	v_add3_u32 v3, v3, v22, v21
	s_lshl_b64 s[22:23], s[22:23], 4
	v_ashrrev_i32_e32 v5, 31, v4
	v_cmp_gt_i32_e64 s0, s28, v4
	v_cmp_le_i32_e64 s18, s28, v4
	v_lshlrev_b64 v[2:3], 4, v[2:3]
	v_mov_b32_e32 v18, 0
	v_lshlrev_b64 v[4:5], 4, v[4:5]
	v_lshl_or_b32 v28, v27, 9, v20
	v_mov_b32_e32 v22, 0
	v_mov_b32_e32 v20, 0
	v_add_co_u32 v30, s1, s24, v2
	v_add_co_ci_u32_e64 v31, null, s25, v3, s1
	v_lshlrev_b32_e32 v25, 4, v0
	v_lshl_add_u32 v26, v1, 7, 0x1000
	v_mov_b32_e32 v7, 0
	s_waitcnt lgkmcnt(0)
	s_add_u32 s1, s4, s22
	s_addc_u32 s4, s5, s23
	v_add_co_u32 v32, s1, s1, v4
	v_mov_b32_e32 v9, 0
	v_mov_b32_e32 v13, 0
	;; [unrolled: 1-line block ×5, first 2 shown]
	v_add_nc_u32_e32 v29, 0x1000, v10
	v_add_co_ci_u32_e64 v33, null, s4, v5, s1
	v_mov_b32_e32 v23, 0
	v_mov_b32_e32 v21, 0
	;; [unrolled: 1-line block ×3, first 2 shown]
	s_mov_b64 s[4:5], 0
	s_xor_b32 s1, vcc_lo, -1
                                        ; implicit-def: $vgpr10_vgpr11
	s_branch .LBB558_7
.LBB558_6:                              ;   in Loop: Header=BB558_7 Depth=1
	s_or_b32 exec_lo, exec_lo, s19
	s_waitcnt lgkmcnt(0)
	s_barrier
	buffer_gl0_inv
	ds_read_b128 v[34:37], v26
	ds_read_b128 v[38:41], v25
	ds_read_b128 v[42:45], v25 offset:256
	ds_read_b128 v[46:49], v26 offset:2048
	ds_read_b128 v[50:53], v26 offset:16
	ds_read_b128 v[54:57], v25 offset:512
	ds_read_b128 v[58:61], v25 offset:768
	ds_read_b128 v[62:65], v26 offset:2064
	ds_read_b128 v[66:69], v25 offset:1024
	ds_read_b128 v[70:73], v25 offset:1280
	ds_read_b128 v[74:77], v26 offset:32
	ds_read_b128 v[78:81], v26 offset:48
	ds_read_b128 v[82:85], v26 offset:2080
	ds_read_b128 v[86:89], v26 offset:2096
	ds_read_b128 v[90:93], v25 offset:1536
	ds_read_b128 v[94:97], v25 offset:1792
	ds_read_b128 v[98:101], v25 offset:2048
	ds_read_b128 v[102:105], v25 offset:2304
	s_add_u32 s4, s4, 8
	s_addc_u32 s5, s5, 0
	v_cmp_gt_i64_e64 s19, s[12:13], s[4:5]
	s_waitcnt lgkmcnt(16)
	v_mul_f64 v[4:5], v[36:37], v[40:41]
	v_mul_f64 v[106:107], v[34:35], v[40:41]
	s_waitcnt lgkmcnt(15)
	v_mul_f64 v[108:109], v[36:37], v[44:45]
	v_mul_f64 v[110:111], v[34:35], v[44:45]
	;; [unrolled: 3-line block ×3, first 2 shown]
	v_mul_f64 v[114:115], v[48:49], v[44:45]
	v_mul_f64 v[44:45], v[46:47], v[44:45]
	s_waitcnt lgkmcnt(12)
	v_mul_f64 v[116:117], v[52:53], v[56:57]
	v_mul_f64 v[118:119], v[50:51], v[56:57]
	s_waitcnt lgkmcnt(11)
	;; [unrolled: 3-line block ×3, first 2 shown]
	v_mul_f64 v[124:125], v[64:65], v[56:57]
	v_mul_f64 v[56:57], v[62:63], v[56:57]
	;; [unrolled: 1-line block ×4, first 2 shown]
	s_waitcnt lgkmcnt(7)
	v_mul_f64 v[132:133], v[76:77], v[68:69]
	v_mul_f64 v[134:135], v[74:75], v[68:69]
	;; [unrolled: 1-line block ×4, first 2 shown]
	s_and_b32 vcc_lo, exec_lo, s19
	v_fma_f64 v[4:5], v[34:35], v[38:39], -v[4:5]
	v_fma_f64 v[106:107], v[36:37], v[38:39], v[106:107]
	v_fma_f64 v[108:109], v[34:35], v[42:43], -v[108:109]
	v_fma_f64 v[110:111], v[36:37], v[42:43], v[110:111]
	;; [unrolled: 2-line block ×8, first 2 shown]
	s_waitcnt lgkmcnt(5)
	v_mul_f64 v[60:61], v[84:85], v[68:69]
	v_mul_f64 v[64:65], v[84:85], v[72:73]
	s_waitcnt lgkmcnt(3)
	v_mul_f64 v[126:127], v[88:89], v[92:93]
	ds_read_b128 v[34:37], v26 offset:64
	ds_read_b128 v[38:41], v26 offset:80
	;; [unrolled: 1-line block ×6, first 2 shown]
	v_add_f64 v[4:5], v[20:21], v[4:5]
	v_add_f64 v[20:21], v[106:107], v[22:23]
	;; [unrolled: 1-line block ×3, first 2 shown]
	v_mul_f64 v[22:23], v[82:83], v[68:69]
	v_add_f64 v[16:17], v[110:111], v[16:17]
	v_add_f64 v[14:15], v[14:15], v[112:113]
	v_mul_f64 v[68:69], v[82:83], v[72:73]
	v_add_f64 v[12:13], v[128:129], v[12:13]
	v_add_f64 v[8:9], v[8:9], v[114:115]
	;; [unrolled: 1-line block ×3, first 2 shown]
	v_mul_f64 v[72:73], v[80:81], v[92:93]
	v_mul_f64 v[106:107], v[78:79], v[92:93]
	s_waitcnt lgkmcnt(8)
	v_mul_f64 v[108:109], v[80:81], v[96:97]
	v_mul_f64 v[110:111], v[78:79], v[96:97]
	v_fma_f64 v[112:113], v[74:75], v[66:67], -v[132:133]
	v_fma_f64 v[114:115], v[76:77], v[66:67], v[134:135]
	v_fma_f64 v[74:75], v[74:75], v[70:71], -v[136:137]
	v_fma_f64 v[76:77], v[76:77], v[70:71], v[140:141]
	v_mul_f64 v[92:93], v[86:87], v[92:93]
	v_mul_f64 v[128:129], v[88:89], v[96:97]
	v_fma_f64 v[60:61], v[82:83], v[66:67], -v[60:61]
	v_mul_f64 v[96:97], v[86:87], v[96:97]
	v_add_f64 v[4:5], v[4:5], v[116:117]
	v_add_f64 v[20:21], v[118:119], v[20:21]
	;; [unrolled: 1-line block ×3, first 2 shown]
	v_fma_f64 v[22:23], v[84:85], v[66:67], v[22:23]
	v_add_f64 v[16:17], v[122:123], v[16:17]
	v_add_f64 v[14:15], v[14:15], v[124:125]
	v_fma_f64 v[64:65], v[82:83], v[70:71], -v[64:65]
	v_add_f64 v[12:13], v[138:139], v[12:13]
	v_add_f64 v[8:9], v[8:9], v[62:63]
	v_fma_f64 v[66:67], v[84:85], v[70:71], v[68:69]
	v_add_f64 v[6:7], v[58:59], v[6:7]
	s_waitcnt lgkmcnt(5)
	v_mul_f64 v[116:117], v[36:37], v[100:101]
	v_mul_f64 v[118:119], v[34:35], v[100:101]
	;; [unrolled: 1-line block ×4, first 2 shown]
	s_waitcnt lgkmcnt(1)
	v_mul_f64 v[62:63], v[52:53], v[100:101]
	v_fma_f64 v[68:69], v[78:79], v[90:91], -v[72:73]
	v_fma_f64 v[70:71], v[80:81], v[90:91], v[106:107]
	v_fma_f64 v[72:73], v[78:79], v[94:95], -v[108:109]
	v_fma_f64 v[78:79], v[80:81], v[94:95], v[110:111]
	;; [unrolled: 2-line block ×3, first 2 shown]
	v_add_f64 v[4:5], v[4:5], v[112:113]
	v_add_f64 v[20:21], v[114:115], v[20:21]
	v_add_f64 v[18:19], v[18:19], v[74:75]
	v_mul_f64 v[74:75], v[52:53], v[104:105]
	v_add_f64 v[16:17], v[76:77], v[16:17]
	v_add_f64 v[14:15], v[14:15], v[60:61]
	v_mul_f64 v[60:61], v[50:51], v[100:101]
	v_mul_f64 v[76:77], v[50:51], v[104:105]
	v_fma_f64 v[86:87], v[86:87], v[94:95], -v[128:129]
	v_add_f64 v[12:13], v[22:23], v[12:13]
	v_add_f64 v[8:9], v[8:9], v[64:65]
	v_fma_f64 v[88:89], v[88:89], v[94:95], v[96:97]
	v_add_f64 v[66:67], v[66:67], v[6:7]
	v_mul_f64 v[80:81], v[40:41], v[44:45]
	v_mul_f64 v[82:83], v[38:39], v[44:45]
	;; [unrolled: 1-line block ×3, first 2 shown]
	v_fma_f64 v[90:91], v[34:35], v[98:99], -v[116:117]
	v_fma_f64 v[92:93], v[36:37], v[98:99], v[118:119]
	v_fma_f64 v[34:35], v[34:35], v[102:103], -v[120:121]
	v_fma_f64 v[36:37], v[36:37], v[102:103], v[122:123]
	v_fma_f64 v[62:63], v[50:51], v[98:99], -v[62:63]
	v_mul_f64 v[94:95], v[38:39], v[48:49]
	v_add_f64 v[68:69], v[4:5], v[68:69]
	v_add_f64 v[70:71], v[70:71], v[20:21]
	;; [unrolled: 1-line block ×3, first 2 shown]
	s_waitcnt lgkmcnt(0)
	v_mul_f64 v[96:97], v[56:57], v[44:45]
	v_add_f64 v[78:79], v[78:79], v[16:17]
	v_add_f64 v[58:59], v[14:15], v[58:59]
	v_mul_f64 v[44:45], v[54:55], v[44:45]
	v_mul_f64 v[100:101], v[56:57], v[48:49]
	;; [unrolled: 1-line block ×3, first 2 shown]
	v_fma_f64 v[60:61], v[52:53], v[98:99], v[60:61]
	v_fma_f64 v[50:51], v[50:51], v[102:103], -v[74:75]
	v_add_f64 v[74:75], v[84:85], v[12:13]
	v_add_f64 v[8:9], v[8:9], v[86:87]
	v_fma_f64 v[52:53], v[52:53], v[102:103], v[76:77]
	v_add_f64 v[66:67], v[88:89], v[66:67]
	ds_read_b128 v[4:7], v26 offset:96
	ds_read_b128 v[12:15], v25 offset:3072
	ds_read_b128 v[16:19], v25 offset:3328
	ds_read_b128 v[20:23], v26 offset:2144
	v_fma_f64 v[76:77], v[38:39], v[42:43], -v[80:81]
	v_fma_f64 v[64:65], v[38:39], v[46:47], -v[64:65]
	v_fma_f64 v[80:81], v[40:41], v[46:47], v[94:95]
	v_add_f64 v[68:69], v[68:69], v[90:91]
	v_add_f64 v[70:71], v[92:93], v[70:71]
	;; [unrolled: 1-line block ×5, first 2 shown]
	v_fma_f64 v[62:63], v[40:41], v[42:43], v[82:83]
	v_fma_f64 v[82:83], v[54:55], v[42:43], -v[96:97]
	v_fma_f64 v[84:85], v[56:57], v[42:43], v[44:45]
	v_fma_f64 v[54:55], v[54:55], v[46:47], -v[100:101]
	v_fma_f64 v[56:57], v[56:57], v[46:47], v[48:49]
	v_add_f64 v[60:61], v[60:61], v[74:75]
	v_add_f64 v[8:9], v[8:9], v[50:51]
	s_waitcnt lgkmcnt(2)
	v_mul_f64 v[50:51], v[6:7], v[14:15]
	v_mul_f64 v[74:75], v[4:5], v[14:15]
	s_waitcnt lgkmcnt(1)
	v_mul_f64 v[86:87], v[6:7], v[18:19]
	v_mul_f64 v[88:89], v[4:5], v[18:19]
	;; [unrolled: 3-line block ×3, first 2 shown]
	v_mul_f64 v[92:93], v[22:23], v[18:19]
	v_add_f64 v[52:53], v[52:53], v[66:67]
	v_mul_f64 v[18:19], v[20:21], v[18:19]
	ds_read_b128 v[34:37], v26 offset:112
	ds_read_b128 v[38:41], v26 offset:2160
	;; [unrolled: 1-line block ×4, first 2 shown]
	v_add_f64 v[66:67], v[68:69], v[76:77]
	v_add_f64 v[64:65], v[72:73], v[64:65]
	;; [unrolled: 1-line block ×5, first 2 shown]
	s_waitcnt lgkmcnt(0)
	s_barrier
	buffer_gl0_inv
	v_add_f64 v[60:61], v[84:85], v[60:61]
	v_add_f64 v[8:9], v[8:9], v[54:55]
	v_fma_f64 v[50:51], v[4:5], v[12:13], -v[50:51]
	v_fma_f64 v[54:55], v[6:7], v[12:13], v[74:75]
	v_fma_f64 v[4:5], v[4:5], v[16:17], -v[86:87]
	v_fma_f64 v[6:7], v[6:7], v[16:17], v[88:89]
	;; [unrolled: 2-line block ×3, first 2 shown]
	v_fma_f64 v[14:15], v[20:21], v[16:17], -v[92:93]
	v_add_f64 v[20:21], v[56:57], v[52:53]
	v_fma_f64 v[16:17], v[22:23], v[16:17], v[18:19]
	v_mul_f64 v[18:19], v[36:37], v[44:45]
	v_mul_f64 v[22:23], v[34:35], v[44:45]
	;; [unrolled: 1-line block ×8, first 2 shown]
	v_add_f64 v[50:51], v[66:67], v[50:51]
	v_add_f64 v[54:55], v[54:55], v[62:63]
	;; [unrolled: 1-line block ×8, first 2 shown]
	v_fma_f64 v[14:15], v[34:35], v[42:43], -v[18:19]
	v_fma_f64 v[16:17], v[36:37], v[42:43], v[22:23]
	v_fma_f64 v[18:19], v[34:35], v[46:47], -v[52:53]
	v_fma_f64 v[34:35], v[36:37], v[46:47], v[56:57]
	;; [unrolled: 2-line block ×4, first 2 shown]
	v_add_f64 v[20:21], v[50:51], v[14:15]
	v_add_f64 v[22:23], v[16:17], v[54:55]
	;; [unrolled: 1-line block ×8, first 2 shown]
	s_cbranch_vccz .LBB558_17
.LBB558_7:                              ; =>This Inner Loop Header: Depth=1
	s_mov_b32 s23, s18
	s_mov_b32 s19, 0
	s_and_saveexec_b32 s22, s0
	s_cbranch_execnz .LBB558_15
; %bb.8:                                ;   in Loop: Header=BB558_7 Depth=1
	s_or_b32 exec_lo, exec_lo, s22
	s_and_saveexec_b32 s22, s23
	s_xor_b32 s22, exec_lo, s22
	s_cbranch_execnz .LBB558_16
.LBB558_9:                              ;   in Loop: Header=BB558_7 Depth=1
	s_or_b32 exec_lo, exec_lo, s22
	s_and_saveexec_b32 s22, s19
	s_cbranch_execz .LBB558_11
.LBB558_10:                             ;   in Loop: Header=BB558_7 Depth=1
	v_mul_lo_u32 v2, s21, v10
	v_mul_lo_u32 v34, s20, v11
	v_mad_u64_u32 v[4:5], null, s20, v10, 0
	v_add3_u32 v5, v5, v34, v2
	v_lshlrev_b64 v[4:5], 4, v[4:5]
	v_add_co_u32 v4, vcc_lo, v32, v4
	v_add_co_ci_u32_e64 v5, null, v33, v5, vcc_lo
	flat_load_dwordx4 v[34:37], v[4:5]
	s_waitcnt vmcnt(0) lgkmcnt(0)
	ds_write2_b64 v28, v[34:35], v[36:37] offset1:1
.LBB558_11:                             ;   in Loop: Header=BB558_7 Depth=1
	s_or_b32 exec_lo, exec_lo, s22
	v_add_nc_u32_e32 v2, s4, v24
	v_cmp_le_u64_e32 vcc_lo, s[12:13], v[2:3]
	s_or_b32 s19, vcc_lo, s1
	s_and_saveexec_b32 s22, s19
	s_xor_b32 s19, exec_lo, s22
	s_cbranch_execz .LBB558_13
; %bb.12:                               ;   in Loop: Header=BB558_7 Depth=1
	v_mov_b32_e32 v2, v3
	v_mov_b32_e32 v4, v3
	;; [unrolled: 1-line block ×3, first 2 shown]
	ds_write_b128 v29, v[2:5]
.LBB558_13:                             ;   in Loop: Header=BB558_7 Depth=1
	s_andn2_saveexec_b32 s19, s19
	s_cbranch_execz .LBB558_6
; %bb.14:                               ;   in Loop: Header=BB558_7 Depth=1
	v_lshlrev_b64 v[4:5], 4, v[2:3]
	v_add_co_u32 v4, vcc_lo, v30, v4
	v_add_co_ci_u32_e64 v5, null, v31, v5, vcc_lo
	flat_load_dwordx4 v[34:37], v[4:5]
	s_waitcnt vmcnt(0) lgkmcnt(0)
	ds_write2_b64 v29, v[34:35], v[36:37] offset1:1
	s_branch .LBB558_6
.LBB558_15:                             ;   in Loop: Header=BB558_7 Depth=1
	v_add_nc_u32_e32 v2, s4, v27
	v_mov_b32_e32 v11, v3
	s_andn2_b32 s23, s18, exec_lo
	s_mov_b32 s19, exec_lo
	v_cmp_le_u64_e32 vcc_lo, s[12:13], v[2:3]
	v_mov_b32_e32 v10, v2
	s_and_b32 s24, vcc_lo, exec_lo
	s_or_b32 s23, s23, s24
	s_or_b32 exec_lo, exec_lo, s22
	s_and_saveexec_b32 s22, s23
	s_xor_b32 s22, exec_lo, s22
	s_cbranch_execz .LBB558_9
.LBB558_16:                             ;   in Loop: Header=BB558_7 Depth=1
	v_mov_b32_e32 v2, v3
	v_mov_b32_e32 v4, v3
	;; [unrolled: 1-line block ×3, first 2 shown]
	s_andn2_b32 s19, s19, exec_lo
	ds_write_b128 v28, v[2:5]
	s_or_b32 exec_lo, exec_lo, s22
	s_and_saveexec_b32 s22, s19
	s_cbranch_execnz .LBB558_10
	s_branch .LBB558_11
.LBB558_17:
	v_add_nc_u32_e32 v25, s7, v1
	v_cmp_neq_f64_e64 s4, s[38:39], 0
	s_waitcnt lgkmcnt(0)
	s_lshl_b64 s[0:1], s[10:11], 4
	s_add_u32 s2, s2, s0
	v_ashrrev_i32_e32 v3, 31, v25
	v_mul_lo_u32 v4, s9, v25
	v_mad_u64_u32 v[1:2], null, s8, v25, 0
	s_addc_u32 s3, s3, s1
	v_mul_lo_u32 v3, s8, v3
	s_xor_b32 s5, s29, -1
	v_cmp_gt_i32_e64 s0, s28, v25
	v_add3_u32 v2, v2, v3, v4
	v_add_nc_u32_e32 v4, s6, v0
	s_or_b32 s4, s4, s5
	v_lshlrev_b64 v[0:1], 4, v[1:2]
	v_cmp_le_i32_e32 vcc_lo, v4, v25
	v_ashrrev_i32_e32 v5, 31, v4
	v_cndmask_b32_e64 v24, 0, 1, s4
	s_and_b32 s5, s0, vcc_lo
	v_add_co_u32 v26, s1, s2, v0
	v_add_co_ci_u32_e64 v27, null, s3, v1, s1
	s_and_saveexec_b32 s1, s5
	s_cbranch_execz .LBB558_21
; %bb.18:
	v_mul_f64 v[0:1], s[16:17], v[22:23]
	v_mul_f64 v[2:3], s[14:15], v[22:23]
	v_lshlrev_b64 v[10:11], 4, v[4:5]
	v_add_co_u32 v10, vcc_lo, v26, v10
	v_add_co_ci_u32_e64 v11, null, v27, v11, vcc_lo
	s_andn2_b32 vcc_lo, exec_lo, s4
	v_fma_f64 v[0:1], s[14:15], v[20:21], -v[0:1]
	v_fma_f64 v[2:3], s[16:17], v[20:21], v[2:3]
	s_cbranch_vccnz .LBB558_20
; %bb.19:
	flat_load_dwordx4 v[20:23], v[10:11]
	s_waitcnt vmcnt(0) lgkmcnt(0)
	v_mul_f64 v[28:29], s[40:41], v[22:23]
	v_mul_f64 v[22:23], s[38:39], v[22:23]
	v_fma_f64 v[28:29], s[38:39], v[20:21], -v[28:29]
	v_fma_f64 v[20:21], s[40:41], v[20:21], v[22:23]
	v_add_f64 v[0:1], v[0:1], v[28:29]
	v_add_f64 v[2:3], v[2:3], v[20:21]
.LBB558_20:
	flat_store_dwordx4 v[10:11], v[0:3]
.LBB558_21:
	s_or_b32 exec_lo, exec_lo, s1
	v_add_nc_u32_e32 v10, 16, v4
	v_cmp_le_i32_e32 vcc_lo, v10, v25
	v_ashrrev_i32_e32 v11, 31, v10
	s_and_b32 s0, s0, vcc_lo
	s_and_saveexec_b32 s1, s0
	s_cbranch_execz .LBB558_25
; %bb.22:
	v_mul_f64 v[0:1], s[16:17], v[16:17]
	v_mul_f64 v[2:3], s[14:15], v[16:17]
	v_lshlrev_b64 v[16:17], 4, v[10:11]
	v_cmp_ne_u32_e32 vcc_lo, 1, v24
	s_and_b32 vcc_lo, exec_lo, vcc_lo
	v_add_co_u32 v16, s0, v26, v16
	v_add_co_ci_u32_e64 v17, null, v27, v17, s0
	v_fma_f64 v[0:1], s[14:15], v[18:19], -v[0:1]
	v_fma_f64 v[2:3], s[16:17], v[18:19], v[2:3]
	s_cbranch_vccnz .LBB558_24
; %bb.23:
	flat_load_dwordx4 v[18:21], v[16:17]
	s_waitcnt vmcnt(0) lgkmcnt(0)
	v_mul_f64 v[22:23], s[40:41], v[20:21]
	v_mul_f64 v[20:21], s[38:39], v[20:21]
	v_fma_f64 v[22:23], s[38:39], v[18:19], -v[22:23]
	v_fma_f64 v[18:19], s[40:41], v[18:19], v[20:21]
	v_add_f64 v[0:1], v[0:1], v[22:23]
	v_add_f64 v[2:3], v[2:3], v[18:19]
.LBB558_24:
	flat_store_dwordx4 v[16:17], v[0:3]
.LBB558_25:
	s_or_b32 exec_lo, exec_lo, s1
	v_add_nc_u32_e32 v18, 16, v25
	v_ashrrev_i32_e32 v2, 31, v18
	v_mul_lo_u32 v3, s9, v18
	v_mad_u64_u32 v[0:1], null, s8, v18, 0
	v_cmp_gt_i32_e64 s0, s28, v18
	v_mul_lo_u32 v2, s8, v2
	v_cmp_le_i32_e32 vcc_lo, v4, v18
	v_add3_u32 v1, v1, v2, v3
	v_lshlrev_b64 v[0:1], 4, v[0:1]
	v_add_co_u32 v16, s1, s2, v0
	v_add_co_ci_u32_e64 v17, null, s3, v1, s1
	s_and_b32 s1, s0, vcc_lo
	s_and_saveexec_b32 s2, s1
	s_cbranch_execz .LBB558_29
; %bb.26:
	v_mul_f64 v[0:1], s[16:17], v[12:13]
	v_mul_f64 v[2:3], s[14:15], v[12:13]
	v_lshlrev_b64 v[4:5], 4, v[4:5]
	v_cmp_ne_u32_e32 vcc_lo, 1, v24
	s_and_b32 vcc_lo, exec_lo, vcc_lo
	v_add_co_u32 v4, s1, v16, v4
	v_add_co_ci_u32_e64 v5, null, v17, v5, s1
	v_fma_f64 v[0:1], s[14:15], v[14:15], -v[0:1]
	v_fma_f64 v[2:3], s[16:17], v[14:15], v[2:3]
	s_cbranch_vccnz .LBB558_28
; %bb.27:
	flat_load_dwordx4 v[12:15], v[4:5]
	s_waitcnt vmcnt(0) lgkmcnt(0)
	v_mul_f64 v[19:20], s[40:41], v[14:15]
	v_mul_f64 v[14:15], s[38:39], v[14:15]
	v_fma_f64 v[19:20], s[38:39], v[12:13], -v[19:20]
	v_fma_f64 v[12:13], s[40:41], v[12:13], v[14:15]
	v_add_f64 v[0:1], v[0:1], v[19:20]
	v_add_f64 v[2:3], v[2:3], v[12:13]
.LBB558_28:
	flat_store_dwordx4 v[4:5], v[0:3]
.LBB558_29:
	s_or_b32 exec_lo, exec_lo, s2
	v_cmp_le_i32_e32 vcc_lo, v10, v18
	s_and_b32 s0, s0, vcc_lo
	s_and_saveexec_b32 s1, s0
	s_cbranch_execz .LBB558_34
; %bb.30:
	v_mul_f64 v[0:1], s[16:17], v[6:7]
	v_mul_f64 v[2:3], s[14:15], v[6:7]
	v_lshlrev_b64 v[4:5], 4, v[10:11]
	v_cmp_ne_u32_e32 vcc_lo, 1, v24
	s_and_b32 vcc_lo, exec_lo, vcc_lo
	v_add_co_u32 v4, s0, v16, v4
	v_add_co_ci_u32_e64 v5, null, v17, v5, s0
	v_fma_f64 v[0:1], s[14:15], v[8:9], -v[0:1]
	v_fma_f64 v[2:3], s[16:17], v[8:9], v[2:3]
	s_cbranch_vccnz .LBB558_32
; %bb.31:
	flat_load_dwordx4 v[6:9], v[4:5]
	s_waitcnt vmcnt(0) lgkmcnt(0)
	v_mul_f64 v[10:11], s[40:41], v[8:9]
	v_mul_f64 v[8:9], s[38:39], v[8:9]
	v_fma_f64 v[10:11], s[38:39], v[6:7], -v[10:11]
	v_fma_f64 v[6:7], s[40:41], v[6:7], v[8:9]
	v_add_f64 v[0:1], v[0:1], v[10:11]
	v_add_f64 v[2:3], v[2:3], v[6:7]
.LBB558_32:
	flat_store_dwordx4 v[4:5], v[0:3]
	s_endpgm
.LBB558_33:
.LBB558_34:
	s_endpgm
	.section	.rodata,"a",@progbits
	.p2align	6, 0x0
	.amdhsa_kernel _ZL29rocblas_internal_gemmt_kernelIlLi16ELi32ELi8ELc78ELc78ELc85ELb0ELb0E19rocblas_complex_numIdES1_PKPKS1_PKPS1_EviT_T9_T10_S9_lSB_S9_lSA_T11_S9_li
		.amdhsa_group_segment_fixed_size 8192
		.amdhsa_private_segment_fixed_size 0
		.amdhsa_kernarg_size 124
		.amdhsa_user_sgpr_count 6
		.amdhsa_user_sgpr_private_segment_buffer 1
		.amdhsa_user_sgpr_dispatch_ptr 0
		.amdhsa_user_sgpr_queue_ptr 0
		.amdhsa_user_sgpr_kernarg_segment_ptr 1
		.amdhsa_user_sgpr_dispatch_id 0
		.amdhsa_user_sgpr_flat_scratch_init 0
		.amdhsa_user_sgpr_private_segment_size 0
		.amdhsa_wavefront_size32 1
		.amdhsa_uses_dynamic_stack 0
		.amdhsa_system_sgpr_private_segment_wavefront_offset 0
		.amdhsa_system_sgpr_workgroup_id_x 1
		.amdhsa_system_sgpr_workgroup_id_y 1
		.amdhsa_system_sgpr_workgroup_id_z 1
		.amdhsa_system_sgpr_workgroup_info 0
		.amdhsa_system_vgpr_workitem_id 1
		.amdhsa_next_free_vgpr 142
		.amdhsa_next_free_sgpr 44
		.amdhsa_reserve_vcc 1
		.amdhsa_reserve_flat_scratch 0
		.amdhsa_float_round_mode_32 0
		.amdhsa_float_round_mode_16_64 0
		.amdhsa_float_denorm_mode_32 3
		.amdhsa_float_denorm_mode_16_64 3
		.amdhsa_dx10_clamp 1
		.amdhsa_ieee_mode 1
		.amdhsa_fp16_overflow 0
		.amdhsa_workgroup_processor_mode 1
		.amdhsa_memory_ordered 1
		.amdhsa_forward_progress 1
		.amdhsa_shared_vgpr_count 0
		.amdhsa_exception_fp_ieee_invalid_op 0
		.amdhsa_exception_fp_denorm_src 0
		.amdhsa_exception_fp_ieee_div_zero 0
		.amdhsa_exception_fp_ieee_overflow 0
		.amdhsa_exception_fp_ieee_underflow 0
		.amdhsa_exception_fp_ieee_inexact 0
		.amdhsa_exception_int_div_zero 0
	.end_amdhsa_kernel
	.section	.text._ZL29rocblas_internal_gemmt_kernelIlLi16ELi32ELi8ELc78ELc78ELc85ELb0ELb0E19rocblas_complex_numIdES1_PKPKS1_PKPS1_EviT_T9_T10_S9_lSB_S9_lSA_T11_S9_li,"axG",@progbits,_ZL29rocblas_internal_gemmt_kernelIlLi16ELi32ELi8ELc78ELc78ELc85ELb0ELb0E19rocblas_complex_numIdES1_PKPKS1_PKPS1_EviT_T9_T10_S9_lSB_S9_lSA_T11_S9_li,comdat
.Lfunc_end558:
	.size	_ZL29rocblas_internal_gemmt_kernelIlLi16ELi32ELi8ELc78ELc78ELc85ELb0ELb0E19rocblas_complex_numIdES1_PKPKS1_PKPS1_EviT_T9_T10_S9_lSB_S9_lSA_T11_S9_li, .Lfunc_end558-_ZL29rocblas_internal_gemmt_kernelIlLi16ELi32ELi8ELc78ELc78ELc85ELb0ELb0E19rocblas_complex_numIdES1_PKPKS1_PKPS1_EviT_T9_T10_S9_lSB_S9_lSA_T11_S9_li
                                        ; -- End function
	.set _ZL29rocblas_internal_gemmt_kernelIlLi16ELi32ELi8ELc78ELc78ELc85ELb0ELb0E19rocblas_complex_numIdES1_PKPKS1_PKPS1_EviT_T9_T10_S9_lSB_S9_lSA_T11_S9_li.num_vgpr, 142
	.set _ZL29rocblas_internal_gemmt_kernelIlLi16ELi32ELi8ELc78ELc78ELc85ELb0ELb0E19rocblas_complex_numIdES1_PKPKS1_PKPS1_EviT_T9_T10_S9_lSB_S9_lSA_T11_S9_li.num_agpr, 0
	.set _ZL29rocblas_internal_gemmt_kernelIlLi16ELi32ELi8ELc78ELc78ELc85ELb0ELb0E19rocblas_complex_numIdES1_PKPKS1_PKPS1_EviT_T9_T10_S9_lSB_S9_lSA_T11_S9_li.numbered_sgpr, 44
	.set _ZL29rocblas_internal_gemmt_kernelIlLi16ELi32ELi8ELc78ELc78ELc85ELb0ELb0E19rocblas_complex_numIdES1_PKPKS1_PKPS1_EviT_T9_T10_S9_lSB_S9_lSA_T11_S9_li.num_named_barrier, 0
	.set _ZL29rocblas_internal_gemmt_kernelIlLi16ELi32ELi8ELc78ELc78ELc85ELb0ELb0E19rocblas_complex_numIdES1_PKPKS1_PKPS1_EviT_T9_T10_S9_lSB_S9_lSA_T11_S9_li.private_seg_size, 0
	.set _ZL29rocblas_internal_gemmt_kernelIlLi16ELi32ELi8ELc78ELc78ELc85ELb0ELb0E19rocblas_complex_numIdES1_PKPKS1_PKPS1_EviT_T9_T10_S9_lSB_S9_lSA_T11_S9_li.uses_vcc, 1
	.set _ZL29rocblas_internal_gemmt_kernelIlLi16ELi32ELi8ELc78ELc78ELc85ELb0ELb0E19rocblas_complex_numIdES1_PKPKS1_PKPS1_EviT_T9_T10_S9_lSB_S9_lSA_T11_S9_li.uses_flat_scratch, 0
	.set _ZL29rocblas_internal_gemmt_kernelIlLi16ELi32ELi8ELc78ELc78ELc85ELb0ELb0E19rocblas_complex_numIdES1_PKPKS1_PKPS1_EviT_T9_T10_S9_lSB_S9_lSA_T11_S9_li.has_dyn_sized_stack, 0
	.set _ZL29rocblas_internal_gemmt_kernelIlLi16ELi32ELi8ELc78ELc78ELc85ELb0ELb0E19rocblas_complex_numIdES1_PKPKS1_PKPS1_EviT_T9_T10_S9_lSB_S9_lSA_T11_S9_li.has_recursion, 0
	.set _ZL29rocblas_internal_gemmt_kernelIlLi16ELi32ELi8ELc78ELc78ELc85ELb0ELb0E19rocblas_complex_numIdES1_PKPKS1_PKPS1_EviT_T9_T10_S9_lSB_S9_lSA_T11_S9_li.has_indirect_call, 0
	.section	.AMDGPU.csdata,"",@progbits
; Kernel info:
; codeLenInByte = 3632
; TotalNumSgprs: 46
; NumVgprs: 142
; ScratchSize: 0
; MemoryBound: 0
; FloatMode: 240
; IeeeMode: 1
; LDSByteSize: 8192 bytes/workgroup (compile time only)
; SGPRBlocks: 0
; VGPRBlocks: 17
; NumSGPRsForWavesPerEU: 46
; NumVGPRsForWavesPerEU: 142
; Occupancy: 7
; WaveLimiterHint : 1
; COMPUTE_PGM_RSRC2:SCRATCH_EN: 0
; COMPUTE_PGM_RSRC2:USER_SGPR: 6
; COMPUTE_PGM_RSRC2:TRAP_HANDLER: 0
; COMPUTE_PGM_RSRC2:TGID_X_EN: 1
; COMPUTE_PGM_RSRC2:TGID_Y_EN: 1
; COMPUTE_PGM_RSRC2:TGID_Z_EN: 1
; COMPUTE_PGM_RSRC2:TIDIG_COMP_CNT: 1
	.section	.text._ZL29rocblas_internal_gemmt_kernelIlLi16ELi32ELi8ELc78ELc84ELc85ELb0ELb0E19rocblas_complex_numIdES1_PKPKS1_PKPS1_EviT_T9_T10_S9_lSB_S9_lSA_T11_S9_li,"axG",@progbits,_ZL29rocblas_internal_gemmt_kernelIlLi16ELi32ELi8ELc78ELc84ELc85ELb0ELb0E19rocblas_complex_numIdES1_PKPKS1_PKPS1_EviT_T9_T10_S9_lSB_S9_lSA_T11_S9_li,comdat
	.globl	_ZL29rocblas_internal_gemmt_kernelIlLi16ELi32ELi8ELc78ELc84ELc85ELb0ELb0E19rocblas_complex_numIdES1_PKPKS1_PKPS1_EviT_T9_T10_S9_lSB_S9_lSA_T11_S9_li ; -- Begin function _ZL29rocblas_internal_gemmt_kernelIlLi16ELi32ELi8ELc78ELc84ELc85ELb0ELb0E19rocblas_complex_numIdES1_PKPKS1_PKPS1_EviT_T9_T10_S9_lSB_S9_lSA_T11_S9_li
	.p2align	8
	.type	_ZL29rocblas_internal_gemmt_kernelIlLi16ELi32ELi8ELc78ELc84ELc85ELb0ELb0E19rocblas_complex_numIdES1_PKPKS1_PKPS1_EviT_T9_T10_S9_lSB_S9_lSA_T11_S9_li,@function
_ZL29rocblas_internal_gemmt_kernelIlLi16ELi32ELi8ELc78ELc84ELc85ELb0ELb0E19rocblas_complex_numIdES1_PKPKS1_PKPS1_EviT_T9_T10_S9_lSB_S9_lSA_T11_S9_li: ; @_ZL29rocblas_internal_gemmt_kernelIlLi16ELi32ELi8ELc78ELc84ELc85ELb0ELb0E19rocblas_complex_numIdES1_PKPKS1_PKPS1_EviT_T9_T10_S9_lSB_S9_lSA_T11_S9_li
; %bb.0:
	s_clause 0x1
	s_load_dwordx8 s[36:43], s[4:5], 0x48
	s_load_dwordx16 s[12:27], s[4:5], 0x8
	s_waitcnt lgkmcnt(0)
	v_cmp_eq_f64_e64 s0, s[38:39], 1.0
	v_cmp_eq_f64_e64 s29, s[40:41], 0
	s_and_b32 s0, s0, s29
	s_andn2_b32 vcc_lo, exec_lo, s0
	s_mov_b32 s0, -1
	s_cbranch_vccnz .LBB559_3
; %bb.1:
	s_cmp_lg_u64 s[12:13], 0
	s_cbranch_scc0 .LBB559_33
; %bb.2:
	v_cmp_neq_f64_e64 s0, s[14:15], 0
	v_cmp_neq_f64_e64 s1, s[16:17], 0
	s_or_b32 s0, s0, s1
.LBB559_3:
	s_and_b32 vcc_lo, exec_lo, s0
	s_cbranch_vccz .LBB559_34
; %bb.4:
	v_cmp_eq_f64_e64 s30, s[14:15], 0
	v_cmp_eq_f64_e64 s31, s[16:17], 0
	s_mov_b32 s9, 0
	v_mov_b32_e32 v20, 0
	s_lshl_b64 s[0:1], s[8:9], 3
	v_mov_b32_e32 v22, 0
	s_add_u32 s2, s42, s0
	s_addc_u32 s3, s43, s1
	s_clause 0x1
	s_load_dwordx4 s[8:11], s[4:5], 0x68
	s_load_dword s28, s[4:5], 0x0
	s_load_dwordx2 s[2:3], s[2:3], 0x0
	v_cmp_lt_i64_e64 s4, s[12:13], 1
	v_mov_b32_e32 v16, 0
	v_mov_b32_e32 v18, 0
	;; [unrolled: 1-line block ×13, first 2 shown]
	s_and_b32 s5, s30, s31
	v_mov_b32_e32 v7, 0
	s_or_b32 s4, s5, s4
	s_lshl_b32 s6, s6, 5
	s_and_b32 vcc_lo, exec_lo, s4
	s_lshl_b32 s7, s7, 5
	s_cbranch_vccnz .LBB559_17
; %bb.5:
	s_add_u32 s4, s24, s0
	s_addc_u32 s5, s25, s1
	v_lshl_add_u32 v3, v1, 4, v0
	s_load_dwordx2 s[4:5], s[4:5], 0x0
	s_lshl_b64 s[24:25], s[36:37], 4
	v_and_b32_e32 v24, 7, v0
	v_mov_b32_e32 v6, 0
	v_lshrrev_b32_e32 v5, 3, v3
	v_and_b32_e32 v10, 31, v3
	v_lshrrev_b32_e32 v27, 5, v3
	v_lshlrev_b32_e32 v11, 4, v24
	v_mov_b32_e32 v8, 0
	v_add_nc_u32_e32 v2, s7, v5
	v_or_b32_e32 v4, s6, v10
	v_lshlrev_b32_e32 v10, 4, v10
	v_lshl_or_b32 v29, v5, 7, v11
	v_mov_b32_e32 v12, 0
	v_ashrrev_i32_e32 v3, 31, v2
	v_ashrrev_i32_e32 v5, 31, v4
	v_lshl_or_b32 v28, v27, 9, v10
	s_waitcnt lgkmcnt(0)
	v_cmp_gt_i32_e32 vcc_lo, s28, v2
	v_mov_b32_e32 v14, 0
	v_lshlrev_b64 v[10:11], 4, v[2:3]
	s_add_u32 s24, s4, s24
	s_addc_u32 s25, s5, s25
	s_add_u32 s0, s18, s0
	s_addc_u32 s1, s19, s1
	v_lshlrev_b64 v[2:3], 4, v[4:5]
	s_load_dwordx2 s[4:5], s[0:1], 0x0
	s_lshl_b64 s[22:23], s[22:23], 4
	v_add_co_u32 v30, s1, s24, v10
	v_add_co_ci_u32_e64 v31, null, s25, v11, s1
	v_mov_b32_e32 v18, 0
	v_mov_b32_e32 v16, 0
	;; [unrolled: 1-line block ×4, first 2 shown]
	v_lshlrev_b32_e32 v25, 4, v0
	v_lshl_add_u32 v26, v1, 7, 0x1000
	v_mov_b32_e32 v7, 0
	v_mov_b32_e32 v9, 0
	;; [unrolled: 1-line block ×8, first 2 shown]
	s_waitcnt lgkmcnt(0)
	s_add_u32 s1, s4, s22
	s_addc_u32 s4, s5, s23
	v_add_co_u32 v32, s1, s1, v2
	v_cmp_gt_i32_e64 s0, s28, v4
	v_cmp_le_i32_e64 s18, s28, v4
	v_add_nc_u32_e32 v29, 0x1000, v29
	v_add_co_ci_u32_e64 v33, null, s4, v3, s1
	v_mov_b32_e32 v3, 0
	s_mov_b64 s[4:5], 0
	s_xor_b32 s1, vcc_lo, -1
                                        ; implicit-def: $vgpr10_vgpr11
	s_branch .LBB559_7
.LBB559_6:                              ;   in Loop: Header=BB559_7 Depth=1
	s_or_b32 exec_lo, exec_lo, s19
	s_waitcnt lgkmcnt(0)
	s_barrier
	buffer_gl0_inv
	ds_read_b128 v[34:37], v26
	ds_read_b128 v[38:41], v25
	ds_read_b128 v[42:45], v25 offset:256
	ds_read_b128 v[46:49], v26 offset:2048
	;; [unrolled: 1-line block ×16, first 2 shown]
	s_add_u32 s4, s4, 8
	s_addc_u32 s5, s5, 0
	v_cmp_gt_i64_e64 s19, s[12:13], s[4:5]
	s_waitcnt lgkmcnt(16)
	v_mul_f64 v[4:5], v[36:37], v[40:41]
	v_mul_f64 v[106:107], v[34:35], v[40:41]
	s_waitcnt lgkmcnt(15)
	v_mul_f64 v[108:109], v[36:37], v[44:45]
	v_mul_f64 v[110:111], v[34:35], v[44:45]
	;; [unrolled: 3-line block ×3, first 2 shown]
	v_mul_f64 v[114:115], v[48:49], v[44:45]
	v_mul_f64 v[44:45], v[46:47], v[44:45]
	s_waitcnt lgkmcnt(12)
	v_mul_f64 v[116:117], v[52:53], v[56:57]
	v_mul_f64 v[118:119], v[50:51], v[56:57]
	s_waitcnt lgkmcnt(11)
	v_mul_f64 v[120:121], v[52:53], v[60:61]
	v_mul_f64 v[122:123], v[50:51], v[60:61]
	s_waitcnt lgkmcnt(10)
	v_mul_f64 v[124:125], v[64:65], v[56:57]
	v_mul_f64 v[56:57], v[62:63], v[56:57]
	;; [unrolled: 1-line block ×4, first 2 shown]
	s_waitcnt lgkmcnt(7)
	v_mul_f64 v[132:133], v[76:77], v[68:69]
	v_mul_f64 v[134:135], v[74:75], v[68:69]
	;; [unrolled: 1-line block ×4, first 2 shown]
	s_and_b32 vcc_lo, exec_lo, s19
	v_fma_f64 v[4:5], v[34:35], v[38:39], -v[4:5]
	v_fma_f64 v[106:107], v[36:37], v[38:39], v[106:107]
	v_fma_f64 v[108:109], v[34:35], v[42:43], -v[108:109]
	v_fma_f64 v[110:111], v[36:37], v[42:43], v[110:111]
	;; [unrolled: 2-line block ×8, first 2 shown]
	s_waitcnt lgkmcnt(5)
	v_mul_f64 v[60:61], v[84:85], v[68:69]
	v_mul_f64 v[64:65], v[84:85], v[72:73]
	s_waitcnt lgkmcnt(3)
	v_mul_f64 v[126:127], v[88:89], v[92:93]
	ds_read_b128 v[34:37], v26 offset:64
	ds_read_b128 v[38:41], v26 offset:80
	;; [unrolled: 1-line block ×6, first 2 shown]
	v_add_f64 v[4:5], v[20:21], v[4:5]
	v_add_f64 v[20:21], v[106:107], v[22:23]
	;; [unrolled: 1-line block ×3, first 2 shown]
	v_mul_f64 v[22:23], v[82:83], v[68:69]
	v_add_f64 v[18:19], v[110:111], v[18:19]
	v_add_f64 v[14:15], v[14:15], v[112:113]
	v_mul_f64 v[68:69], v[82:83], v[72:73]
	v_add_f64 v[12:13], v[128:129], v[12:13]
	v_add_f64 v[8:9], v[8:9], v[114:115]
	;; [unrolled: 1-line block ×3, first 2 shown]
	v_mul_f64 v[72:73], v[80:81], v[92:93]
	v_mul_f64 v[106:107], v[78:79], v[92:93]
	s_waitcnt lgkmcnt(8)
	v_mul_f64 v[108:109], v[80:81], v[96:97]
	v_mul_f64 v[110:111], v[78:79], v[96:97]
	v_fma_f64 v[112:113], v[74:75], v[66:67], -v[132:133]
	v_fma_f64 v[114:115], v[76:77], v[66:67], v[134:135]
	v_fma_f64 v[74:75], v[74:75], v[70:71], -v[136:137]
	v_fma_f64 v[76:77], v[76:77], v[70:71], v[140:141]
	v_mul_f64 v[92:93], v[86:87], v[92:93]
	v_mul_f64 v[128:129], v[88:89], v[96:97]
	v_fma_f64 v[60:61], v[82:83], v[66:67], -v[60:61]
	v_mul_f64 v[96:97], v[86:87], v[96:97]
	v_add_f64 v[4:5], v[4:5], v[116:117]
	v_add_f64 v[20:21], v[118:119], v[20:21]
	;; [unrolled: 1-line block ×3, first 2 shown]
	v_fma_f64 v[22:23], v[84:85], v[66:67], v[22:23]
	v_add_f64 v[18:19], v[122:123], v[18:19]
	v_add_f64 v[14:15], v[14:15], v[124:125]
	v_fma_f64 v[64:65], v[82:83], v[70:71], -v[64:65]
	v_add_f64 v[12:13], v[138:139], v[12:13]
	v_add_f64 v[8:9], v[8:9], v[62:63]
	v_fma_f64 v[66:67], v[84:85], v[70:71], v[68:69]
	v_add_f64 v[6:7], v[58:59], v[6:7]
	s_waitcnt lgkmcnt(5)
	v_mul_f64 v[116:117], v[36:37], v[100:101]
	v_mul_f64 v[118:119], v[34:35], v[100:101]
	;; [unrolled: 1-line block ×4, first 2 shown]
	s_waitcnt lgkmcnt(1)
	v_mul_f64 v[62:63], v[52:53], v[100:101]
	v_fma_f64 v[68:69], v[78:79], v[90:91], -v[72:73]
	v_fma_f64 v[70:71], v[80:81], v[90:91], v[106:107]
	v_fma_f64 v[72:73], v[78:79], v[94:95], -v[108:109]
	v_fma_f64 v[78:79], v[80:81], v[94:95], v[110:111]
	;; [unrolled: 2-line block ×3, first 2 shown]
	v_add_f64 v[4:5], v[4:5], v[112:113]
	v_add_f64 v[20:21], v[114:115], v[20:21]
	;; [unrolled: 1-line block ×3, first 2 shown]
	v_mul_f64 v[74:75], v[52:53], v[104:105]
	v_add_f64 v[18:19], v[76:77], v[18:19]
	v_add_f64 v[14:15], v[14:15], v[60:61]
	v_mul_f64 v[60:61], v[50:51], v[100:101]
	v_mul_f64 v[76:77], v[50:51], v[104:105]
	v_fma_f64 v[86:87], v[86:87], v[94:95], -v[128:129]
	v_add_f64 v[12:13], v[22:23], v[12:13]
	v_add_f64 v[8:9], v[8:9], v[64:65]
	v_fma_f64 v[88:89], v[88:89], v[94:95], v[96:97]
	v_add_f64 v[66:67], v[66:67], v[6:7]
	v_mul_f64 v[80:81], v[40:41], v[44:45]
	v_mul_f64 v[82:83], v[38:39], v[44:45]
	;; [unrolled: 1-line block ×3, first 2 shown]
	v_fma_f64 v[90:91], v[34:35], v[98:99], -v[116:117]
	v_fma_f64 v[92:93], v[36:37], v[98:99], v[118:119]
	v_fma_f64 v[34:35], v[34:35], v[102:103], -v[120:121]
	v_fma_f64 v[36:37], v[36:37], v[102:103], v[122:123]
	v_fma_f64 v[62:63], v[50:51], v[98:99], -v[62:63]
	v_mul_f64 v[94:95], v[38:39], v[48:49]
	v_add_f64 v[68:69], v[4:5], v[68:69]
	v_add_f64 v[70:71], v[70:71], v[20:21]
	v_add_f64 v[72:73], v[16:17], v[72:73]
	s_waitcnt lgkmcnt(0)
	v_mul_f64 v[96:97], v[56:57], v[44:45]
	v_add_f64 v[78:79], v[78:79], v[18:19]
	v_add_f64 v[58:59], v[14:15], v[58:59]
	v_mul_f64 v[44:45], v[54:55], v[44:45]
	v_mul_f64 v[100:101], v[56:57], v[48:49]
	;; [unrolled: 1-line block ×3, first 2 shown]
	v_fma_f64 v[60:61], v[52:53], v[98:99], v[60:61]
	v_fma_f64 v[50:51], v[50:51], v[102:103], -v[74:75]
	v_add_f64 v[74:75], v[84:85], v[12:13]
	v_add_f64 v[8:9], v[8:9], v[86:87]
	v_fma_f64 v[52:53], v[52:53], v[102:103], v[76:77]
	v_add_f64 v[66:67], v[88:89], v[66:67]
	ds_read_b128 v[4:7], v26 offset:96
	ds_read_b128 v[12:15], v25 offset:3072
	;; [unrolled: 1-line block ×4, first 2 shown]
	v_fma_f64 v[76:77], v[38:39], v[42:43], -v[80:81]
	v_fma_f64 v[64:65], v[38:39], v[46:47], -v[64:65]
	v_fma_f64 v[80:81], v[40:41], v[46:47], v[94:95]
	v_add_f64 v[68:69], v[68:69], v[90:91]
	v_add_f64 v[70:71], v[92:93], v[70:71]
	;; [unrolled: 1-line block ×5, first 2 shown]
	v_fma_f64 v[62:63], v[40:41], v[42:43], v[82:83]
	v_fma_f64 v[82:83], v[54:55], v[42:43], -v[96:97]
	v_fma_f64 v[84:85], v[56:57], v[42:43], v[44:45]
	v_fma_f64 v[54:55], v[54:55], v[46:47], -v[100:101]
	v_fma_f64 v[56:57], v[56:57], v[46:47], v[48:49]
	v_add_f64 v[60:61], v[60:61], v[74:75]
	v_add_f64 v[8:9], v[8:9], v[50:51]
	s_waitcnt lgkmcnt(2)
	v_mul_f64 v[50:51], v[6:7], v[14:15]
	v_mul_f64 v[74:75], v[4:5], v[14:15]
	s_waitcnt lgkmcnt(1)
	v_mul_f64 v[86:87], v[6:7], v[18:19]
	v_mul_f64 v[88:89], v[4:5], v[18:19]
	;; [unrolled: 3-line block ×3, first 2 shown]
	v_mul_f64 v[92:93], v[22:23], v[18:19]
	v_add_f64 v[52:53], v[52:53], v[66:67]
	v_mul_f64 v[18:19], v[20:21], v[18:19]
	ds_read_b128 v[34:37], v26 offset:112
	ds_read_b128 v[38:41], v26 offset:2160
	;; [unrolled: 1-line block ×4, first 2 shown]
	v_add_f64 v[66:67], v[68:69], v[76:77]
	v_add_f64 v[64:65], v[72:73], v[64:65]
	;; [unrolled: 1-line block ×5, first 2 shown]
	s_waitcnt lgkmcnt(0)
	s_barrier
	buffer_gl0_inv
	v_add_f64 v[60:61], v[84:85], v[60:61]
	v_add_f64 v[8:9], v[8:9], v[54:55]
	v_fma_f64 v[50:51], v[4:5], v[12:13], -v[50:51]
	v_fma_f64 v[54:55], v[6:7], v[12:13], v[74:75]
	v_fma_f64 v[4:5], v[4:5], v[16:17], -v[86:87]
	v_fma_f64 v[6:7], v[6:7], v[16:17], v[88:89]
	v_fma_f64 v[70:71], v[20:21], v[12:13], -v[90:91]
	v_fma_f64 v[12:13], v[22:23], v[12:13], v[14:15]
	v_fma_f64 v[14:15], v[20:21], v[16:17], -v[92:93]
	v_add_f64 v[20:21], v[56:57], v[52:53]
	v_fma_f64 v[16:17], v[22:23], v[16:17], v[18:19]
	v_mul_f64 v[18:19], v[36:37], v[44:45]
	v_mul_f64 v[22:23], v[34:35], v[44:45]
	;; [unrolled: 1-line block ×8, first 2 shown]
	v_add_f64 v[50:51], v[66:67], v[50:51]
	v_add_f64 v[54:55], v[54:55], v[62:63]
	;; [unrolled: 1-line block ×8, first 2 shown]
	v_fma_f64 v[14:15], v[34:35], v[42:43], -v[18:19]
	v_fma_f64 v[16:17], v[36:37], v[42:43], v[22:23]
	v_fma_f64 v[18:19], v[34:35], v[46:47], -v[52:53]
	v_fma_f64 v[34:35], v[36:37], v[46:47], v[56:57]
	;; [unrolled: 2-line block ×4, first 2 shown]
	v_add_f64 v[20:21], v[50:51], v[14:15]
	v_add_f64 v[22:23], v[16:17], v[54:55]
	;; [unrolled: 1-line block ×8, first 2 shown]
	s_cbranch_vccz .LBB559_17
.LBB559_7:                              ; =>This Inner Loop Header: Depth=1
	s_mov_b32 s23, s18
	s_mov_b32 s19, 0
	s_and_saveexec_b32 s22, s0
	s_cbranch_execnz .LBB559_15
; %bb.8:                                ;   in Loop: Header=BB559_7 Depth=1
	s_or_b32 exec_lo, exec_lo, s22
	s_and_saveexec_b32 s22, s23
	s_xor_b32 s22, exec_lo, s22
	s_cbranch_execnz .LBB559_16
.LBB559_9:                              ;   in Loop: Header=BB559_7 Depth=1
	s_or_b32 exec_lo, exec_lo, s22
	s_and_saveexec_b32 s22, s19
	s_cbranch_execz .LBB559_11
.LBB559_10:                             ;   in Loop: Header=BB559_7 Depth=1
	v_mul_lo_u32 v2, s21, v10
	v_mul_lo_u32 v34, s20, v11
	v_mad_u64_u32 v[4:5], null, s20, v10, 0
	v_add3_u32 v5, v5, v34, v2
	v_lshlrev_b64 v[4:5], 4, v[4:5]
	v_add_co_u32 v4, vcc_lo, v32, v4
	v_add_co_ci_u32_e64 v5, null, v33, v5, vcc_lo
	flat_load_dwordx4 v[34:37], v[4:5]
	s_waitcnt vmcnt(0) lgkmcnt(0)
	ds_write2_b64 v28, v[34:35], v[36:37] offset1:1
.LBB559_11:                             ;   in Loop: Header=BB559_7 Depth=1
	s_or_b32 exec_lo, exec_lo, s22
	v_add_nc_u32_e32 v2, s4, v24
	v_cmp_le_u64_e32 vcc_lo, s[12:13], v[2:3]
	s_or_b32 s19, vcc_lo, s1
	s_and_saveexec_b32 s22, s19
	s_xor_b32 s19, exec_lo, s22
	s_cbranch_execz .LBB559_13
; %bb.12:                               ;   in Loop: Header=BB559_7 Depth=1
	v_mov_b32_e32 v2, v3
	v_mov_b32_e32 v4, v3
	;; [unrolled: 1-line block ×3, first 2 shown]
	ds_write_b128 v29, v[2:5]
.LBB559_13:                             ;   in Loop: Header=BB559_7 Depth=1
	s_andn2_saveexec_b32 s19, s19
	s_cbranch_execz .LBB559_6
; %bb.14:                               ;   in Loop: Header=BB559_7 Depth=1
	v_mad_u64_u32 v[4:5], null, s26, v2, 0
	v_mad_u64_u32 v[34:35], null, s27, v2, v[5:6]
	v_mov_b32_e32 v5, v34
	v_lshlrev_b64 v[4:5], 4, v[4:5]
	v_add_co_u32 v4, vcc_lo, v30, v4
	v_add_co_ci_u32_e64 v5, null, v31, v5, vcc_lo
	flat_load_dwordx4 v[34:37], v[4:5]
	s_waitcnt vmcnt(0) lgkmcnt(0)
	ds_write2_b64 v29, v[34:35], v[36:37] offset1:1
	s_branch .LBB559_6
.LBB559_15:                             ;   in Loop: Header=BB559_7 Depth=1
	v_add_nc_u32_e32 v2, s4, v27
	v_mov_b32_e32 v11, v3
	s_andn2_b32 s23, s18, exec_lo
	s_mov_b32 s19, exec_lo
	v_cmp_le_u64_e32 vcc_lo, s[12:13], v[2:3]
	v_mov_b32_e32 v10, v2
	s_and_b32 s24, vcc_lo, exec_lo
	s_or_b32 s23, s23, s24
	s_or_b32 exec_lo, exec_lo, s22
	s_and_saveexec_b32 s22, s23
	s_xor_b32 s22, exec_lo, s22
	s_cbranch_execz .LBB559_9
.LBB559_16:                             ;   in Loop: Header=BB559_7 Depth=1
	v_mov_b32_e32 v2, v3
	v_mov_b32_e32 v4, v3
	;; [unrolled: 1-line block ×3, first 2 shown]
	s_andn2_b32 s19, s19, exec_lo
	ds_write_b128 v28, v[2:5]
	s_or_b32 exec_lo, exec_lo, s22
	s_and_saveexec_b32 s22, s19
	s_cbranch_execnz .LBB559_10
	s_branch .LBB559_11
.LBB559_17:
	v_add_nc_u32_e32 v25, s7, v1
	v_cmp_neq_f64_e64 s4, s[38:39], 0
	s_waitcnt lgkmcnt(0)
	s_lshl_b64 s[0:1], s[10:11], 4
	s_add_u32 s2, s2, s0
	v_ashrrev_i32_e32 v3, 31, v25
	v_mul_lo_u32 v4, s9, v25
	v_mad_u64_u32 v[1:2], null, s8, v25, 0
	s_addc_u32 s3, s3, s1
	v_mul_lo_u32 v3, s8, v3
	s_xor_b32 s5, s29, -1
	v_cmp_gt_i32_e64 s0, s28, v25
	v_add3_u32 v2, v2, v3, v4
	v_add_nc_u32_e32 v4, s6, v0
	s_or_b32 s4, s4, s5
	v_lshlrev_b64 v[0:1], 4, v[1:2]
	v_cmp_le_i32_e32 vcc_lo, v4, v25
	v_ashrrev_i32_e32 v5, 31, v4
	v_cndmask_b32_e64 v24, 0, 1, s4
	s_and_b32 s5, s0, vcc_lo
	v_add_co_u32 v26, s1, s2, v0
	v_add_co_ci_u32_e64 v27, null, s3, v1, s1
	s_and_saveexec_b32 s1, s5
	s_cbranch_execz .LBB559_21
; %bb.18:
	v_mul_f64 v[0:1], s[16:17], v[22:23]
	v_mul_f64 v[2:3], s[14:15], v[22:23]
	v_lshlrev_b64 v[10:11], 4, v[4:5]
	v_add_co_u32 v10, vcc_lo, v26, v10
	v_add_co_ci_u32_e64 v11, null, v27, v11, vcc_lo
	s_andn2_b32 vcc_lo, exec_lo, s4
	v_fma_f64 v[0:1], s[14:15], v[20:21], -v[0:1]
	v_fma_f64 v[2:3], s[16:17], v[20:21], v[2:3]
	s_cbranch_vccnz .LBB559_20
; %bb.19:
	flat_load_dwordx4 v[20:23], v[10:11]
	s_waitcnt vmcnt(0) lgkmcnt(0)
	v_mul_f64 v[28:29], s[40:41], v[22:23]
	v_mul_f64 v[22:23], s[38:39], v[22:23]
	v_fma_f64 v[28:29], s[38:39], v[20:21], -v[28:29]
	v_fma_f64 v[20:21], s[40:41], v[20:21], v[22:23]
	v_add_f64 v[0:1], v[0:1], v[28:29]
	v_add_f64 v[2:3], v[2:3], v[20:21]
.LBB559_20:
	flat_store_dwordx4 v[10:11], v[0:3]
.LBB559_21:
	s_or_b32 exec_lo, exec_lo, s1
	v_add_nc_u32_e32 v10, 16, v4
	v_cmp_le_i32_e32 vcc_lo, v10, v25
	v_ashrrev_i32_e32 v11, 31, v10
	s_and_b32 s0, s0, vcc_lo
	s_and_saveexec_b32 s1, s0
	s_cbranch_execz .LBB559_25
; %bb.22:
	v_mul_f64 v[0:1], s[16:17], v[18:19]
	v_mul_f64 v[2:3], s[14:15], v[18:19]
	v_cmp_ne_u32_e32 vcc_lo, 1, v24
	s_and_b32 vcc_lo, exec_lo, vcc_lo
	v_fma_f64 v[0:1], s[14:15], v[16:17], -v[0:1]
	v_fma_f64 v[2:3], s[16:17], v[16:17], v[2:3]
	v_lshlrev_b64 v[16:17], 4, v[10:11]
	v_add_co_u32 v16, s0, v26, v16
	v_add_co_ci_u32_e64 v17, null, v27, v17, s0
	s_cbranch_vccnz .LBB559_24
; %bb.23:
	flat_load_dwordx4 v[18:21], v[16:17]
	s_waitcnt vmcnt(0) lgkmcnt(0)
	v_mul_f64 v[22:23], s[40:41], v[20:21]
	v_mul_f64 v[20:21], s[38:39], v[20:21]
	v_fma_f64 v[22:23], s[38:39], v[18:19], -v[22:23]
	v_fma_f64 v[18:19], s[40:41], v[18:19], v[20:21]
	v_add_f64 v[0:1], v[0:1], v[22:23]
	v_add_f64 v[2:3], v[2:3], v[18:19]
.LBB559_24:
	flat_store_dwordx4 v[16:17], v[0:3]
.LBB559_25:
	s_or_b32 exec_lo, exec_lo, s1
	v_add_nc_u32_e32 v18, 16, v25
	v_ashrrev_i32_e32 v2, 31, v18
	v_mul_lo_u32 v3, s9, v18
	v_mad_u64_u32 v[0:1], null, s8, v18, 0
	v_cmp_gt_i32_e64 s0, s28, v18
	v_mul_lo_u32 v2, s8, v2
	v_cmp_le_i32_e32 vcc_lo, v4, v18
	v_add3_u32 v1, v1, v2, v3
	v_lshlrev_b64 v[0:1], 4, v[0:1]
	v_add_co_u32 v16, s1, s2, v0
	v_add_co_ci_u32_e64 v17, null, s3, v1, s1
	s_and_b32 s1, s0, vcc_lo
	s_and_saveexec_b32 s2, s1
	s_cbranch_execz .LBB559_29
; %bb.26:
	v_mul_f64 v[0:1], s[16:17], v[12:13]
	v_mul_f64 v[2:3], s[14:15], v[12:13]
	v_lshlrev_b64 v[4:5], 4, v[4:5]
	v_cmp_ne_u32_e32 vcc_lo, 1, v24
	s_and_b32 vcc_lo, exec_lo, vcc_lo
	v_add_co_u32 v4, s1, v16, v4
	v_add_co_ci_u32_e64 v5, null, v17, v5, s1
	v_fma_f64 v[0:1], s[14:15], v[14:15], -v[0:1]
	v_fma_f64 v[2:3], s[16:17], v[14:15], v[2:3]
	s_cbranch_vccnz .LBB559_28
; %bb.27:
	flat_load_dwordx4 v[12:15], v[4:5]
	s_waitcnt vmcnt(0) lgkmcnt(0)
	v_mul_f64 v[19:20], s[40:41], v[14:15]
	v_mul_f64 v[14:15], s[38:39], v[14:15]
	v_fma_f64 v[19:20], s[38:39], v[12:13], -v[19:20]
	v_fma_f64 v[12:13], s[40:41], v[12:13], v[14:15]
	v_add_f64 v[0:1], v[0:1], v[19:20]
	v_add_f64 v[2:3], v[2:3], v[12:13]
.LBB559_28:
	flat_store_dwordx4 v[4:5], v[0:3]
.LBB559_29:
	s_or_b32 exec_lo, exec_lo, s2
	v_cmp_le_i32_e32 vcc_lo, v10, v18
	s_and_b32 s0, s0, vcc_lo
	s_and_saveexec_b32 s1, s0
	s_cbranch_execz .LBB559_34
; %bb.30:
	v_mul_f64 v[0:1], s[16:17], v[6:7]
	v_mul_f64 v[2:3], s[14:15], v[6:7]
	v_lshlrev_b64 v[4:5], 4, v[10:11]
	v_cmp_ne_u32_e32 vcc_lo, 1, v24
	s_and_b32 vcc_lo, exec_lo, vcc_lo
	v_add_co_u32 v4, s0, v16, v4
	v_add_co_ci_u32_e64 v5, null, v17, v5, s0
	v_fma_f64 v[0:1], s[14:15], v[8:9], -v[0:1]
	v_fma_f64 v[2:3], s[16:17], v[8:9], v[2:3]
	s_cbranch_vccnz .LBB559_32
; %bb.31:
	flat_load_dwordx4 v[6:9], v[4:5]
	s_waitcnt vmcnt(0) lgkmcnt(0)
	v_mul_f64 v[10:11], s[40:41], v[8:9]
	v_mul_f64 v[8:9], s[38:39], v[8:9]
	v_fma_f64 v[10:11], s[38:39], v[6:7], -v[10:11]
	v_fma_f64 v[6:7], s[40:41], v[6:7], v[8:9]
	v_add_f64 v[0:1], v[0:1], v[10:11]
	v_add_f64 v[2:3], v[2:3], v[6:7]
.LBB559_32:
	flat_store_dwordx4 v[4:5], v[0:3]
	s_endpgm
.LBB559_33:
.LBB559_34:
	s_endpgm
	.section	.rodata,"a",@progbits
	.p2align	6, 0x0
	.amdhsa_kernel _ZL29rocblas_internal_gemmt_kernelIlLi16ELi32ELi8ELc78ELc84ELc85ELb0ELb0E19rocblas_complex_numIdES1_PKPKS1_PKPS1_EviT_T9_T10_S9_lSB_S9_lSA_T11_S9_li
		.amdhsa_group_segment_fixed_size 8192
		.amdhsa_private_segment_fixed_size 0
		.amdhsa_kernarg_size 124
		.amdhsa_user_sgpr_count 6
		.amdhsa_user_sgpr_private_segment_buffer 1
		.amdhsa_user_sgpr_dispatch_ptr 0
		.amdhsa_user_sgpr_queue_ptr 0
		.amdhsa_user_sgpr_kernarg_segment_ptr 1
		.amdhsa_user_sgpr_dispatch_id 0
		.amdhsa_user_sgpr_flat_scratch_init 0
		.amdhsa_user_sgpr_private_segment_size 0
		.amdhsa_wavefront_size32 1
		.amdhsa_uses_dynamic_stack 0
		.amdhsa_system_sgpr_private_segment_wavefront_offset 0
		.amdhsa_system_sgpr_workgroup_id_x 1
		.amdhsa_system_sgpr_workgroup_id_y 1
		.amdhsa_system_sgpr_workgroup_id_z 1
		.amdhsa_system_sgpr_workgroup_info 0
		.amdhsa_system_vgpr_workitem_id 1
		.amdhsa_next_free_vgpr 142
		.amdhsa_next_free_sgpr 44
		.amdhsa_reserve_vcc 1
		.amdhsa_reserve_flat_scratch 0
		.amdhsa_float_round_mode_32 0
		.amdhsa_float_round_mode_16_64 0
		.amdhsa_float_denorm_mode_32 3
		.amdhsa_float_denorm_mode_16_64 3
		.amdhsa_dx10_clamp 1
		.amdhsa_ieee_mode 1
		.amdhsa_fp16_overflow 0
		.amdhsa_workgroup_processor_mode 1
		.amdhsa_memory_ordered 1
		.amdhsa_forward_progress 1
		.amdhsa_shared_vgpr_count 0
		.amdhsa_exception_fp_ieee_invalid_op 0
		.amdhsa_exception_fp_denorm_src 0
		.amdhsa_exception_fp_ieee_div_zero 0
		.amdhsa_exception_fp_ieee_overflow 0
		.amdhsa_exception_fp_ieee_underflow 0
		.amdhsa_exception_fp_ieee_inexact 0
		.amdhsa_exception_int_div_zero 0
	.end_amdhsa_kernel
	.section	.text._ZL29rocblas_internal_gemmt_kernelIlLi16ELi32ELi8ELc78ELc84ELc85ELb0ELb0E19rocblas_complex_numIdES1_PKPKS1_PKPS1_EviT_T9_T10_S9_lSB_S9_lSA_T11_S9_li,"axG",@progbits,_ZL29rocblas_internal_gemmt_kernelIlLi16ELi32ELi8ELc78ELc84ELc85ELb0ELb0E19rocblas_complex_numIdES1_PKPKS1_PKPS1_EviT_T9_T10_S9_lSB_S9_lSA_T11_S9_li,comdat
.Lfunc_end559:
	.size	_ZL29rocblas_internal_gemmt_kernelIlLi16ELi32ELi8ELc78ELc84ELc85ELb0ELb0E19rocblas_complex_numIdES1_PKPKS1_PKPS1_EviT_T9_T10_S9_lSB_S9_lSA_T11_S9_li, .Lfunc_end559-_ZL29rocblas_internal_gemmt_kernelIlLi16ELi32ELi8ELc78ELc84ELc85ELb0ELb0E19rocblas_complex_numIdES1_PKPKS1_PKPS1_EviT_T9_T10_S9_lSB_S9_lSA_T11_S9_li
                                        ; -- End function
	.set _ZL29rocblas_internal_gemmt_kernelIlLi16ELi32ELi8ELc78ELc84ELc85ELb0ELb0E19rocblas_complex_numIdES1_PKPKS1_PKPS1_EviT_T9_T10_S9_lSB_S9_lSA_T11_S9_li.num_vgpr, 142
	.set _ZL29rocblas_internal_gemmt_kernelIlLi16ELi32ELi8ELc78ELc84ELc85ELb0ELb0E19rocblas_complex_numIdES1_PKPKS1_PKPS1_EviT_T9_T10_S9_lSB_S9_lSA_T11_S9_li.num_agpr, 0
	.set _ZL29rocblas_internal_gemmt_kernelIlLi16ELi32ELi8ELc78ELc84ELc85ELb0ELb0E19rocblas_complex_numIdES1_PKPKS1_PKPS1_EviT_T9_T10_S9_lSB_S9_lSA_T11_S9_li.numbered_sgpr, 44
	.set _ZL29rocblas_internal_gemmt_kernelIlLi16ELi32ELi8ELc78ELc84ELc85ELb0ELb0E19rocblas_complex_numIdES1_PKPKS1_PKPS1_EviT_T9_T10_S9_lSB_S9_lSA_T11_S9_li.num_named_barrier, 0
	.set _ZL29rocblas_internal_gemmt_kernelIlLi16ELi32ELi8ELc78ELc84ELc85ELb0ELb0E19rocblas_complex_numIdES1_PKPKS1_PKPS1_EviT_T9_T10_S9_lSB_S9_lSA_T11_S9_li.private_seg_size, 0
	.set _ZL29rocblas_internal_gemmt_kernelIlLi16ELi32ELi8ELc78ELc84ELc85ELb0ELb0E19rocblas_complex_numIdES1_PKPKS1_PKPS1_EviT_T9_T10_S9_lSB_S9_lSA_T11_S9_li.uses_vcc, 1
	.set _ZL29rocblas_internal_gemmt_kernelIlLi16ELi32ELi8ELc78ELc84ELc85ELb0ELb0E19rocblas_complex_numIdES1_PKPKS1_PKPS1_EviT_T9_T10_S9_lSB_S9_lSA_T11_S9_li.uses_flat_scratch, 0
	.set _ZL29rocblas_internal_gemmt_kernelIlLi16ELi32ELi8ELc78ELc84ELc85ELb0ELb0E19rocblas_complex_numIdES1_PKPKS1_PKPS1_EviT_T9_T10_S9_lSB_S9_lSA_T11_S9_li.has_dyn_sized_stack, 0
	.set _ZL29rocblas_internal_gemmt_kernelIlLi16ELi32ELi8ELc78ELc84ELc85ELb0ELb0E19rocblas_complex_numIdES1_PKPKS1_PKPS1_EviT_T9_T10_S9_lSB_S9_lSA_T11_S9_li.has_recursion, 0
	.set _ZL29rocblas_internal_gemmt_kernelIlLi16ELi32ELi8ELc78ELc84ELc85ELb0ELb0E19rocblas_complex_numIdES1_PKPKS1_PKPS1_EviT_T9_T10_S9_lSB_S9_lSA_T11_S9_li.has_indirect_call, 0
	.section	.AMDGPU.csdata,"",@progbits
; Kernel info:
; codeLenInByte = 3620
; TotalNumSgprs: 46
; NumVgprs: 142
; ScratchSize: 0
; MemoryBound: 0
; FloatMode: 240
; IeeeMode: 1
; LDSByteSize: 8192 bytes/workgroup (compile time only)
; SGPRBlocks: 0
; VGPRBlocks: 17
; NumSGPRsForWavesPerEU: 46
; NumVGPRsForWavesPerEU: 142
; Occupancy: 7
; WaveLimiterHint : 1
; COMPUTE_PGM_RSRC2:SCRATCH_EN: 0
; COMPUTE_PGM_RSRC2:USER_SGPR: 6
; COMPUTE_PGM_RSRC2:TRAP_HANDLER: 0
; COMPUTE_PGM_RSRC2:TGID_X_EN: 1
; COMPUTE_PGM_RSRC2:TGID_Y_EN: 1
; COMPUTE_PGM_RSRC2:TGID_Z_EN: 1
; COMPUTE_PGM_RSRC2:TIDIG_COMP_CNT: 1
	.section	.text._ZL29rocblas_internal_gemmt_kernelIlLi16ELi32ELi8ELc78ELc67ELc85ELb0ELb1E19rocblas_complex_numIdES1_PKPKS1_PKPS1_EviT_T9_T10_S9_lSB_S9_lSA_T11_S9_li,"axG",@progbits,_ZL29rocblas_internal_gemmt_kernelIlLi16ELi32ELi8ELc78ELc67ELc85ELb0ELb1E19rocblas_complex_numIdES1_PKPKS1_PKPS1_EviT_T9_T10_S9_lSB_S9_lSA_T11_S9_li,comdat
	.globl	_ZL29rocblas_internal_gemmt_kernelIlLi16ELi32ELi8ELc78ELc67ELc85ELb0ELb1E19rocblas_complex_numIdES1_PKPKS1_PKPS1_EviT_T9_T10_S9_lSB_S9_lSA_T11_S9_li ; -- Begin function _ZL29rocblas_internal_gemmt_kernelIlLi16ELi32ELi8ELc78ELc67ELc85ELb0ELb1E19rocblas_complex_numIdES1_PKPKS1_PKPS1_EviT_T9_T10_S9_lSB_S9_lSA_T11_S9_li
	.p2align	8
	.type	_ZL29rocblas_internal_gemmt_kernelIlLi16ELi32ELi8ELc78ELc67ELc85ELb0ELb1E19rocblas_complex_numIdES1_PKPKS1_PKPS1_EviT_T9_T10_S9_lSB_S9_lSA_T11_S9_li,@function
_ZL29rocblas_internal_gemmt_kernelIlLi16ELi32ELi8ELc78ELc67ELc85ELb0ELb1E19rocblas_complex_numIdES1_PKPKS1_PKPS1_EviT_T9_T10_S9_lSB_S9_lSA_T11_S9_li: ; @_ZL29rocblas_internal_gemmt_kernelIlLi16ELi32ELi8ELc78ELc67ELc85ELb0ELb1E19rocblas_complex_numIdES1_PKPKS1_PKPS1_EviT_T9_T10_S9_lSB_S9_lSA_T11_S9_li
; %bb.0:
	s_clause 0x1
	s_load_dwordx8 s[36:43], s[4:5], 0x48
	s_load_dwordx16 s[12:27], s[4:5], 0x8
	s_waitcnt lgkmcnt(0)
	v_cmp_eq_f64_e64 s0, s[38:39], 1.0
	v_cmp_eq_f64_e64 s29, s[40:41], 0
	s_and_b32 s0, s0, s29
	s_andn2_b32 vcc_lo, exec_lo, s0
	s_mov_b32 s0, -1
	s_cbranch_vccnz .LBB560_3
; %bb.1:
	s_cmp_lg_u64 s[12:13], 0
	s_cbranch_scc0 .LBB560_31
; %bb.2:
	v_cmp_neq_f64_e64 s0, s[14:15], 0
	v_cmp_neq_f64_e64 s1, s[16:17], 0
	s_or_b32 s0, s0, s1
.LBB560_3:
	s_and_b32 vcc_lo, exec_lo, s0
	s_cbranch_vccz .LBB560_32
; %bb.4:
	v_cmp_eq_f64_e64 s30, s[14:15], 0
	v_cmp_eq_f64_e64 s31, s[16:17], 0
	s_mov_b32 s9, 0
	v_mov_b32_e32 v22, 0
	s_lshl_b64 s[0:1], s[8:9], 3
	v_mov_b32_e32 v24, 0
	s_add_u32 s2, s42, s0
	s_addc_u32 s3, s43, s1
	s_clause 0x1
	s_load_dwordx4 s[8:11], s[4:5], 0x68
	s_load_dword s28, s[4:5], 0x0
	s_load_dwordx2 s[2:3], s[2:3], 0x0
	v_cmp_lt_i64_e64 s4, s[12:13], 1
	v_mov_b32_e32 v18, 0
	v_mov_b32_e32 v20, 0
	v_mov_b32_e32 v14, 0
	v_mov_b32_e32 v16, 0
	v_mov_b32_e32 v12, 0
	v_mov_b32_e32 v10, 0
	v_mov_b32_e32 v23, 0
	v_mov_b32_e32 v25, 0
	v_mov_b32_e32 v19, 0
	v_mov_b32_e32 v21, 0
	v_mov_b32_e32 v15, 0
	v_mov_b32_e32 v17, 0
	v_mov_b32_e32 v13, 0
	s_and_b32 s5, s30, s31
	v_mov_b32_e32 v11, 0
	s_or_b32 s4, s5, s4
	s_lshl_b32 s6, s6, 5
	s_and_b32 vcc_lo, exec_lo, s4
	s_lshl_b32 s7, s7, 5
	s_cbranch_vccnz .LBB560_15
; %bb.5:
	s_add_u32 s4, s24, s0
	s_addc_u32 s5, s25, s1
	s_lshl_b64 s[24:25], s[36:37], 4
	s_load_dwordx2 s[4:5], s[4:5], 0x0
	v_lshl_add_u32 v3, v1, 4, v0
	v_and_b32_e32 v26, 7, v0
	v_mov_b32_e32 v10, 0
	v_mov_b32_e32 v12, 0
	;; [unrolled: 1-line block ×3, first 2 shown]
	v_lshrrev_b32_e32 v5, 3, v3
	v_and_b32_e32 v6, 31, v3
	v_lshlrev_b32_e32 v7, 4, v26
	v_lshrrev_b32_e32 v29, 5, v3
	v_mov_b32_e32 v14, 0
	v_add_nc_u32_e32 v2, s7, v5
	v_or_b32_e32 v4, s6, v6
	v_lshlrev_b32_e32 v6, 4, v6
	v_lshl_or_b32 v8, v5, 7, v7
	v_mov_b32_e32 v20, 0
	v_ashrrev_i32_e32 v3, 31, v2
	v_ashrrev_i32_e32 v5, 31, v4
	v_lshl_or_b32 v30, v29, 9, v6
	v_mov_b32_e32 v18, 0
	s_waitcnt lgkmcnt(0)
	s_add_u32 s24, s4, s24
	s_addc_u32 s25, s5, s25
	s_add_u32 s0, s18, s0
	s_addc_u32 s1, s19, s1
	v_lshlrev_b64 v[6:7], 4, v[2:3]
	s_load_dwordx2 s[4:5], s[0:1], 0x0
	v_cmp_gt_i32_e64 s1, s28, v2
	v_lshlrev_b64 v[2:3], 4, v[4:5]
	s_lshl_b64 s[22:23], s[22:23], 4
	v_mov_b32_e32 v24, 0
	v_add_co_u32 v32, vcc_lo, s24, v6
	v_add_co_ci_u32_e64 v33, null, s25, v7, vcc_lo
	v_mov_b32_e32 v22, 0
	v_lshlrev_b32_e32 v27, 4, v0
	v_lshl_add_u32 v28, v1, 7, 0x1000
	v_mov_b32_e32 v11, 0
	v_mov_b32_e32 v13, 0
	;; [unrolled: 1-line block ×8, first 2 shown]
	s_waitcnt lgkmcnt(0)
	s_add_u32 s4, s4, s22
	s_addc_u32 s5, s5, s23
	v_add_co_u32 v34, vcc_lo, s4, v2
	v_cmp_gt_i32_e64 s0, s28, v4
	v_cmp_le_i32_e64 s18, s28, v4
	v_add_nc_u32_e32 v31, 0x1000, v8
	v_add_co_ci_u32_e64 v35, null, s5, v3, vcc_lo
	v_mov_b32_e32 v3, 0
	s_mov_b64 s[4:5], 0
                                        ; implicit-def: $vgpr8_vgpr9
	s_branch .LBB560_7
.LBB560_6:                              ;   in Loop: Header=BB560_7 Depth=1
	s_or_b32 exec_lo, exec_lo, s19
	ds_write_b128 v31, v[4:7]
	s_waitcnt lgkmcnt(0)
	s_barrier
	buffer_gl0_inv
	ds_read_b128 v[4:7], v28
	ds_read_b128 v[36:39], v27
	ds_read_b128 v[40:43], v27 offset:256
	ds_read_b128 v[44:47], v28 offset:2048
	;; [unrolled: 1-line block ×11, first 2 shown]
	s_add_u32 s4, s4, 8
	s_addc_u32 s5, s5, 0
	v_cmp_gt_i64_e64 s19, s[12:13], s[4:5]
	s_waitcnt lgkmcnt(11)
	v_mul_f64 v[84:85], v[6:7], v[38:39]
	v_mul_f64 v[86:87], v[4:5], v[38:39]
	s_waitcnt lgkmcnt(10)
	v_mul_f64 v[88:89], v[6:7], v[42:43]
	v_mul_f64 v[90:91], v[4:5], v[42:43]
	;; [unrolled: 3-line block ×3, first 2 shown]
	v_mul_f64 v[94:95], v[46:47], v[42:43]
	v_mul_f64 v[42:43], v[44:45], v[42:43]
	s_waitcnt lgkmcnt(7)
	v_mul_f64 v[96:97], v[50:51], v[54:55]
	v_mul_f64 v[98:99], v[48:49], v[54:55]
	s_waitcnt lgkmcnt(6)
	v_mul_f64 v[100:101], v[50:51], v[58:59]
	s_waitcnt lgkmcnt(5)
	v_mul_f64 v[104:105], v[62:63], v[54:55]
	v_mul_f64 v[54:55], v[60:61], v[54:55]
	;; [unrolled: 1-line block ×5, first 2 shown]
	s_waitcnt lgkmcnt(3)
	v_mul_f64 v[108:109], v[70:71], v[66:67]
	v_mul_f64 v[110:111], v[68:69], v[66:67]
	s_and_b32 vcc_lo, exec_lo, s19
	v_fma_f64 v[84:85], v[4:5], v[36:37], -v[84:85]
	v_fma_f64 v[86:87], v[6:7], v[36:37], v[86:87]
	v_fma_f64 v[88:89], v[4:5], v[40:41], -v[88:89]
	v_fma_f64 v[90:91], v[6:7], v[40:41], v[90:91]
	;; [unrolled: 2-line block ×3, first 2 shown]
	v_fma_f64 v[94:95], v[44:45], v[40:41], -v[94:95]
	ds_read_b128 v[4:7], v27 offset:1536
	s_waitcnt lgkmcnt(3)
	v_mul_f64 v[112:113], v[70:71], v[74:75]
	v_mul_f64 v[114:115], v[68:69], v[74:75]
	v_fma_f64 v[118:119], v[46:47], v[40:41], v[42:43]
	v_fma_f64 v[96:97], v[48:49], v[52:53], -v[96:97]
	v_fma_f64 v[98:99], v[50:51], v[52:53], v[98:99]
	v_fma_f64 v[48:49], v[48:49], v[56:57], -v[100:101]
	s_waitcnt lgkmcnt(2)
	v_mul_f64 v[44:45], v[78:79], v[66:67]
	v_fma_f64 v[100:101], v[60:61], v[52:53], -v[104:105]
	v_fma_f64 v[52:53], v[62:63], v[52:53], v[54:55]
	v_mul_f64 v[46:47], v[76:77], v[66:67]
	v_mul_f64 v[54:55], v[78:79], v[74:75]
	;; [unrolled: 1-line block ×3, first 2 shown]
	v_fma_f64 v[50:51], v[50:51], v[56:57], v[102:103]
	v_fma_f64 v[60:61], v[60:61], v[56:57], -v[106:107]
	v_fma_f64 v[56:57], v[62:63], v[56:57], v[58:59]
	v_fma_f64 v[58:59], v[68:69], v[64:65], -v[108:109]
	v_fma_f64 v[62:63], v[70:71], v[64:65], v[110:111]
	v_add_f64 v[84:85], v[22:23], v[84:85]
	v_add_f64 v[86:87], v[86:87], v[24:25]
	;; [unrolled: 1-line block ×5, first 2 shown]
	v_fma_f64 v[68:69], v[68:69], v[72:73], -v[112:113]
	v_fma_f64 v[70:71], v[70:71], v[72:73], v[114:115]
	v_add_f64 v[106:107], v[116:117], v[16:17]
	ds_read_b128 v[36:39], v27 offset:1792
	ds_read_b128 v[40:43], v28 offset:2096
	s_waitcnt lgkmcnt(2)
	v_mul_f64 v[74:75], v[82:83], v[6:7]
	v_mul_f64 v[102:103], v[80:81], v[6:7]
	v_fma_f64 v[110:111], v[76:77], v[64:65], -v[44:45]
	ds_read_b128 v[14:17], v28 offset:64
	v_fma_f64 v[64:65], v[78:79], v[64:65], v[46:47]
	v_fma_f64 v[76:77], v[76:77], v[72:73], -v[54:55]
	v_fma_f64 v[66:67], v[78:79], v[72:73], v[66:67]
	v_add_f64 v[54:55], v[12:13], v[94:95]
	v_add_f64 v[72:73], v[118:119], v[10:11]
	ds_read_b128 v[18:21], v27 offset:2048
	ds_read_b128 v[22:25], v27 offset:2304
	ds_read_b128 v[44:47], v28 offset:2112
	ds_read_b128 v[10:13], v27 offset:2560
	v_add_f64 v[84:85], v[84:85], v[96:97]
	v_add_f64 v[86:87], v[98:99], v[86:87]
	;; [unrolled: 1-line block ×5, first 2 shown]
	s_waitcnt lgkmcnt(6)
	v_mul_f64 v[104:105], v[82:83], v[38:39]
	v_mul_f64 v[108:109], v[80:81], v[38:39]
	s_waitcnt lgkmcnt(5)
	v_mul_f64 v[112:113], v[42:43], v[6:7]
	v_mul_f64 v[6:7], v[40:41], v[6:7]
	v_add_f64 v[52:53], v[52:53], v[106:107]
	v_mul_f64 v[94:95], v[42:43], v[38:39]
	v_mul_f64 v[38:39], v[40:41], v[38:39]
	v_fma_f64 v[74:75], v[80:81], v[4:5], -v[74:75]
	v_fma_f64 v[78:79], v[82:83], v[4:5], v[102:103]
	ds_read_b128 v[48:51], v28 offset:2128
	s_waitcnt lgkmcnt(4)
	v_mul_f64 v[100:101], v[16:17], v[20:21]
	v_mul_f64 v[102:103], v[14:15], v[20:21]
	v_add_f64 v[60:61], v[54:55], v[60:61]
	v_add_f64 v[56:57], v[56:57], v[72:73]
	s_waitcnt lgkmcnt(3)
	v_mul_f64 v[106:107], v[14:15], v[24:25]
	s_waitcnt lgkmcnt(2)
	v_mul_f64 v[72:73], v[46:47], v[20:21]
	v_mul_f64 v[20:21], v[44:45], v[20:21]
	v_add_f64 v[58:59], v[84:85], v[58:59]
	v_add_f64 v[62:63], v[62:63], v[86:87]
	;; [unrolled: 1-line block ×5, first 2 shown]
	v_fma_f64 v[80:81], v[80:81], v[36:37], -v[104:105]
	v_fma_f64 v[82:83], v[82:83], v[36:37], v[108:109]
	v_fma_f64 v[96:97], v[40:41], v[4:5], -v[112:113]
	v_fma_f64 v[98:99], v[42:43], v[4:5], v[6:7]
	v_mul_f64 v[104:105], v[16:17], v[24:25]
	v_add_f64 v[64:65], v[64:65], v[52:53]
	v_mul_f64 v[86:87], v[46:47], v[24:25]
	v_mul_f64 v[24:25], v[44:45], v[24:25]
	v_fma_f64 v[40:41], v[40:41], v[36:37], -v[94:95]
	v_fma_f64 v[42:43], v[42:43], v[36:37], v[38:39]
	ds_read_b128 v[4:7], v28 offset:80
	ds_read_b128 v[52:55], v27 offset:2816
	v_add_f64 v[60:61], v[60:61], v[76:77]
	v_add_f64 v[56:57], v[66:67], v[56:57]
	v_fma_f64 v[90:91], v[14:15], v[18:19], -v[100:101]
	v_fma_f64 v[92:93], v[16:17], v[18:19], v[102:103]
	v_fma_f64 v[100:101], v[16:17], v[22:23], v[106:107]
	v_fma_f64 v[66:67], v[44:45], v[18:19], -v[72:73]
	v_add_f64 v[58:59], v[58:59], v[74:75]
	v_add_f64 v[62:63], v[78:79], v[62:63]
	v_fma_f64 v[72:73], v[46:47], v[18:19], v[20:21]
	v_add_f64 v[68:69], v[68:69], v[80:81]
	v_add_f64 v[70:71], v[82:83], v[70:71]
	;; [unrolled: 1-line block ×3, first 2 shown]
	s_waitcnt lgkmcnt(2)
	v_mul_f64 v[82:83], v[50:51], v[12:13]
	v_fma_f64 v[94:95], v[14:15], v[22:23], -v[104:105]
	v_add_f64 v[64:65], v[98:99], v[64:65]
	v_fma_f64 v[44:45], v[44:45], v[22:23], -v[86:87]
	v_fma_f64 v[46:47], v[46:47], v[22:23], v[24:25]
	s_waitcnt lgkmcnt(1)
	v_mul_f64 v[88:89], v[6:7], v[12:13]
	v_mul_f64 v[76:77], v[4:5], v[12:13]
	s_waitcnt lgkmcnt(0)
	v_mul_f64 v[78:79], v[6:7], v[54:55]
	v_mul_f64 v[80:81], v[4:5], v[54:55]
	;; [unrolled: 1-line block ×5, first 2 shown]
	v_add_f64 v[40:41], v[60:61], v[40:41]
	v_add_f64 v[42:43], v[42:43], v[56:57]
	ds_read_b128 v[14:17], v28 offset:96
	ds_read_b128 v[18:21], v27 offset:3072
	ds_read_b128 v[36:39], v27 offset:3328
	ds_read_b128 v[22:25], v28 offset:2144
	v_add_f64 v[56:57], v[58:59], v[90:91]
	v_add_f64 v[58:59], v[92:93], v[62:63]
	;; [unrolled: 1-line block ×3, first 2 shown]
	v_fma_f64 v[82:83], v[48:49], v[10:11], -v[82:83]
	v_add_f64 v[62:63], v[68:69], v[94:95]
	v_add_f64 v[68:69], v[100:101], v[70:71]
	;; [unrolled: 1-line block ×3, first 2 shown]
	v_fma_f64 v[60:61], v[4:5], v[10:11], -v[88:89]
	v_fma_f64 v[70:71], v[6:7], v[10:11], v[76:77]
	v_fma_f64 v[72:73], v[4:5], v[52:53], -v[78:79]
	v_fma_f64 v[74:75], v[6:7], v[52:53], v[80:81]
	ds_read_b128 v[4:7], v28 offset:112
	v_fma_f64 v[88:89], v[50:51], v[10:11], v[12:13]
	s_waitcnt lgkmcnt(3)
	v_mul_f64 v[76:77], v[16:17], v[20:21]
	v_mul_f64 v[78:79], v[14:15], v[20:21]
	s_waitcnt lgkmcnt(2)
	v_mul_f64 v[80:81], v[16:17], v[38:39]
	v_mul_f64 v[86:87], v[14:15], v[38:39]
	v_fma_f64 v[48:49], v[48:49], v[52:53], -v[84:85]
	v_fma_f64 v[50:51], v[50:51], v[52:53], v[54:55]
	v_add_f64 v[52:53], v[40:41], v[44:45]
	v_add_f64 v[46:47], v[46:47], v[42:43]
	s_waitcnt lgkmcnt(1)
	v_mul_f64 v[54:55], v[24:25], v[20:21]
	v_mul_f64 v[20:21], v[22:23], v[20:21]
	;; [unrolled: 1-line block ×4, first 2 shown]
	ds_read_b128 v[10:13], v28 offset:2160
	ds_read_b128 v[38:41], v27 offset:3584
	;; [unrolled: 1-line block ×3, first 2 shown]
	v_add_f64 v[66:67], v[66:67], v[82:83]
	s_waitcnt lgkmcnt(0)
	v_add_f64 v[56:57], v[56:57], v[60:61]
	v_add_f64 v[58:59], v[70:71], v[58:59]
	;; [unrolled: 1-line block ×4, first 2 shown]
	s_barrier
	v_add_f64 v[64:65], v[88:89], v[64:65]
	v_fma_f64 v[60:61], v[14:15], v[18:19], -v[76:77]
	v_fma_f64 v[70:71], v[16:17], v[18:19], v[78:79]
	v_fma_f64 v[14:15], v[14:15], v[36:37], -v[80:81]
	v_fma_f64 v[16:17], v[16:17], v[36:37], v[86:87]
	buffer_gl0_inv
	v_add_f64 v[48:49], v[52:53], v[48:49]
	v_add_f64 v[46:47], v[50:51], v[46:47]
	v_fma_f64 v[50:51], v[22:23], v[18:19], -v[54:55]
	v_fma_f64 v[18:19], v[24:25], v[18:19], v[20:21]
	v_fma_f64 v[20:21], v[22:23], v[36:37], -v[84:85]
	v_fma_f64 v[22:23], v[24:25], v[36:37], v[90:91]
	v_mul_f64 v[24:25], v[6:7], v[40:41]
	v_mul_f64 v[36:37], v[4:5], v[40:41]
	;; [unrolled: 1-line block ×8, first 2 shown]
	v_add_f64 v[56:57], v[56:57], v[60:61]
	v_add_f64 v[58:59], v[70:71], v[58:59]
	v_add_f64 v[14:15], v[62:63], v[14:15]
	v_add_f64 v[16:17], v[16:17], v[68:69]
	v_add_f64 v[50:51], v[66:67], v[50:51]
	v_add_f64 v[60:61], v[18:19], v[64:65]
	v_add_f64 v[48:49], v[48:49], v[20:21]
	v_add_f64 v[46:47], v[22:23], v[46:47]
	v_fma_f64 v[18:19], v[4:5], v[38:39], -v[24:25]
	v_fma_f64 v[20:21], v[6:7], v[38:39], v[36:37]
	v_fma_f64 v[4:5], v[4:5], v[42:43], -v[52:53]
	v_fma_f64 v[6:7], v[6:7], v[42:43], v[54:55]
	;; [unrolled: 2-line block ×4, first 2 shown]
	v_add_f64 v[22:23], v[56:57], v[18:19]
	v_add_f64 v[24:25], v[20:21], v[58:59]
	;; [unrolled: 1-line block ×8, first 2 shown]
	s_cbranch_vccz .LBB560_15
.LBB560_7:                              ; =>This Inner Loop Header: Depth=1
	s_mov_b32 s23, s18
	s_mov_b32 s19, 0
	s_and_saveexec_b32 s22, s0
	s_cbranch_execnz .LBB560_13
; %bb.8:                                ;   in Loop: Header=BB560_7 Depth=1
	s_or_b32 exec_lo, exec_lo, s22
	s_and_saveexec_b32 s22, s23
	s_xor_b32 s22, exec_lo, s22
	s_cbranch_execnz .LBB560_14
.LBB560_9:                              ;   in Loop: Header=BB560_7 Depth=1
	s_or_b32 exec_lo, exec_lo, s22
	s_and_saveexec_b32 s22, s19
	s_cbranch_execz .LBB560_11
.LBB560_10:                             ;   in Loop: Header=BB560_7 Depth=1
	v_mul_lo_u32 v2, s21, v8
	v_mul_lo_u32 v6, s20, v9
	v_mad_u64_u32 v[4:5], null, s20, v8, 0
	v_add3_u32 v5, v5, v6, v2
	v_lshlrev_b64 v[4:5], 4, v[4:5]
	v_add_co_u32 v4, vcc_lo, v34, v4
	v_add_co_ci_u32_e64 v5, null, v35, v5, vcc_lo
	flat_load_dwordx4 v[4:7], v[4:5]
	s_waitcnt vmcnt(0) lgkmcnt(0)
	ds_write2_b64 v30, v[4:5], v[6:7] offset1:1
.LBB560_11:                             ;   in Loop: Header=BB560_7 Depth=1
	s_or_b32 exec_lo, exec_lo, s22
	v_add_nc_u32_e32 v2, s4, v26
	v_mov_b32_e32 v4, 0
	v_mov_b32_e32 v6, 0
	;; [unrolled: 1-line block ×4, first 2 shown]
	v_cmp_gt_u64_e32 vcc_lo, s[12:13], v[2:3]
	s_and_b32 s22, vcc_lo, s1
	s_and_saveexec_b32 s19, s22
	s_cbranch_execz .LBB560_6
; %bb.12:                               ;   in Loop: Header=BB560_7 Depth=1
	v_mad_u64_u32 v[4:5], null, s26, v2, 0
	v_mad_u64_u32 v[5:6], null, s27, v2, v[5:6]
	v_lshlrev_b64 v[4:5], 4, v[4:5]
	v_add_co_u32 v4, vcc_lo, v32, v4
	v_add_co_ci_u32_e64 v5, null, v33, v5, vcc_lo
	flat_load_dwordx4 v[4:7], v[4:5]
	s_waitcnt vmcnt(0) lgkmcnt(0)
	v_xor_b32_e32 v7, 0x80000000, v7
	s_branch .LBB560_6
.LBB560_13:                             ;   in Loop: Header=BB560_7 Depth=1
	v_add_nc_u32_e32 v2, s4, v29
	v_mov_b32_e32 v9, v3
	s_andn2_b32 s23, s18, exec_lo
	s_mov_b32 s19, exec_lo
	v_cmp_le_u64_e32 vcc_lo, s[12:13], v[2:3]
	v_mov_b32_e32 v8, v2
	s_and_b32 s24, vcc_lo, exec_lo
	s_or_b32 s23, s23, s24
	s_or_b32 exec_lo, exec_lo, s22
	s_and_saveexec_b32 s22, s23
	s_xor_b32 s22, exec_lo, s22
	s_cbranch_execz .LBB560_9
.LBB560_14:                             ;   in Loop: Header=BB560_7 Depth=1
	v_mov_b32_e32 v2, v3
	v_mov_b32_e32 v4, v3
	v_mov_b32_e32 v5, v3
	s_andn2_b32 s19, s19, exec_lo
	ds_write_b128 v30, v[2:5]
	s_or_b32 exec_lo, exec_lo, s22
	s_and_saveexec_b32 s22, s19
	s_cbranch_execnz .LBB560_10
	s_branch .LBB560_11
.LBB560_15:
	v_add_nc_u32_e32 v27, s7, v1
	v_cmp_neq_f64_e64 s4, s[38:39], 0
	s_waitcnt lgkmcnt(0)
	s_lshl_b64 s[0:1], s[10:11], 4
	s_add_u32 s2, s2, s0
	v_ashrrev_i32_e32 v3, 31, v27
	v_mul_lo_u32 v4, s9, v27
	v_mad_u64_u32 v[1:2], null, s8, v27, 0
	s_addc_u32 s3, s3, s1
	v_mul_lo_u32 v3, s8, v3
	s_xor_b32 s5, s29, -1
	v_cmp_gt_i32_e64 s0, s28, v27
	v_add3_u32 v2, v2, v3, v4
	v_add_nc_u32_e32 v4, s6, v0
	s_or_b32 s4, s4, s5
	v_lshlrev_b64 v[0:1], 4, v[1:2]
	v_cmp_le_i32_e32 vcc_lo, v4, v27
	v_ashrrev_i32_e32 v5, 31, v4
	v_cndmask_b32_e64 v26, 0, 1, s4
	s_and_b32 s5, s0, vcc_lo
	v_add_co_u32 v8, s1, s2, v0
	v_add_co_ci_u32_e64 v9, null, s3, v1, s1
	s_and_saveexec_b32 s1, s5
	s_cbranch_execz .LBB560_19
; %bb.16:
	v_mul_f64 v[0:1], s[16:17], v[24:25]
	v_mul_f64 v[2:3], s[14:15], v[24:25]
	v_lshlrev_b64 v[6:7], 4, v[4:5]
	v_add_co_u32 v6, vcc_lo, v8, v6
	v_add_co_ci_u32_e64 v7, null, v9, v7, vcc_lo
	s_andn2_b32 vcc_lo, exec_lo, s4
	v_fma_f64 v[0:1], s[14:15], v[22:23], -v[0:1]
	v_fma_f64 v[2:3], s[16:17], v[22:23], v[2:3]
	s_cbranch_vccnz .LBB560_18
; %bb.17:
	flat_load_dwordx4 v[22:25], v[6:7]
	s_waitcnt vmcnt(0) lgkmcnt(0)
	v_mul_f64 v[28:29], s[40:41], v[24:25]
	v_mul_f64 v[24:25], s[38:39], v[24:25]
	v_fma_f64 v[28:29], s[38:39], v[22:23], -v[28:29]
	v_fma_f64 v[22:23], s[40:41], v[22:23], v[24:25]
	v_add_f64 v[0:1], v[0:1], v[28:29]
	v_add_f64 v[2:3], v[2:3], v[22:23]
.LBB560_18:
	flat_store_dwordx4 v[6:7], v[0:3]
.LBB560_19:
	s_or_b32 exec_lo, exec_lo, s1
	v_add_nc_u32_e32 v6, 16, v4
	v_cmp_le_i32_e32 vcc_lo, v6, v27
	v_ashrrev_i32_e32 v7, 31, v6
	s_and_b32 s0, s0, vcc_lo
	s_and_saveexec_b32 s1, s0
	s_cbranch_execz .LBB560_23
; %bb.20:
	v_mul_f64 v[0:1], s[16:17], v[20:21]
	v_mul_f64 v[2:3], s[14:15], v[20:21]
	v_cmp_ne_u32_e32 vcc_lo, 1, v26
	s_and_b32 vcc_lo, exec_lo, vcc_lo
	v_fma_f64 v[0:1], s[14:15], v[18:19], -v[0:1]
	v_fma_f64 v[2:3], s[16:17], v[18:19], v[2:3]
	v_lshlrev_b64 v[18:19], 4, v[6:7]
	v_add_co_u32 v8, s0, v8, v18
	v_add_co_ci_u32_e64 v9, null, v9, v19, s0
	s_cbranch_vccnz .LBB560_22
; %bb.21:
	flat_load_dwordx4 v[18:21], v[8:9]
	s_waitcnt vmcnt(0) lgkmcnt(0)
	v_mul_f64 v[22:23], s[40:41], v[20:21]
	v_mul_f64 v[20:21], s[38:39], v[20:21]
	v_fma_f64 v[22:23], s[38:39], v[18:19], -v[22:23]
	v_fma_f64 v[18:19], s[40:41], v[18:19], v[20:21]
	v_add_f64 v[0:1], v[0:1], v[22:23]
	v_add_f64 v[2:3], v[2:3], v[18:19]
.LBB560_22:
	flat_store_dwordx4 v[8:9], v[0:3]
.LBB560_23:
	s_or_b32 exec_lo, exec_lo, s1
	v_add_nc_u32_e32 v18, 16, v27
	v_ashrrev_i32_e32 v2, 31, v18
	v_mul_lo_u32 v3, s9, v18
	v_mad_u64_u32 v[0:1], null, s8, v18, 0
	v_cmp_gt_i32_e64 s0, s28, v18
	v_mul_lo_u32 v2, s8, v2
	v_cmp_le_i32_e32 vcc_lo, v4, v18
	v_add3_u32 v1, v1, v2, v3
	v_lshlrev_b64 v[0:1], 4, v[0:1]
	v_add_co_u32 v8, s1, s2, v0
	v_add_co_ci_u32_e64 v9, null, s3, v1, s1
	s_and_b32 s1, s0, vcc_lo
	s_and_saveexec_b32 s2, s1
	s_cbranch_execz .LBB560_27
; %bb.24:
	v_mul_f64 v[0:1], s[16:17], v[16:17]
	v_mul_f64 v[2:3], s[14:15], v[16:17]
	v_lshlrev_b64 v[4:5], 4, v[4:5]
	v_cmp_ne_u32_e32 vcc_lo, 1, v26
	s_and_b32 vcc_lo, exec_lo, vcc_lo
	v_add_co_u32 v4, s1, v8, v4
	v_add_co_ci_u32_e64 v5, null, v9, v5, s1
	v_fma_f64 v[0:1], s[14:15], v[14:15], -v[0:1]
	v_fma_f64 v[2:3], s[16:17], v[14:15], v[2:3]
	s_cbranch_vccnz .LBB560_26
; %bb.25:
	flat_load_dwordx4 v[14:17], v[4:5]
	s_waitcnt vmcnt(0) lgkmcnt(0)
	v_mul_f64 v[19:20], s[40:41], v[16:17]
	v_mul_f64 v[16:17], s[38:39], v[16:17]
	v_fma_f64 v[19:20], s[38:39], v[14:15], -v[19:20]
	v_fma_f64 v[14:15], s[40:41], v[14:15], v[16:17]
	v_add_f64 v[0:1], v[0:1], v[19:20]
	v_add_f64 v[2:3], v[2:3], v[14:15]
.LBB560_26:
	flat_store_dwordx4 v[4:5], v[0:3]
.LBB560_27:
	s_or_b32 exec_lo, exec_lo, s2
	v_cmp_le_i32_e32 vcc_lo, v6, v18
	s_and_b32 s0, s0, vcc_lo
	s_and_saveexec_b32 s1, s0
	s_cbranch_execz .LBB560_32
; %bb.28:
	v_mul_f64 v[0:1], s[16:17], v[10:11]
	v_mul_f64 v[2:3], s[14:15], v[10:11]
	v_lshlrev_b64 v[4:5], 4, v[6:7]
	v_cmp_ne_u32_e32 vcc_lo, 1, v26
	s_and_b32 vcc_lo, exec_lo, vcc_lo
	v_add_co_u32 v4, s0, v8, v4
	v_add_co_ci_u32_e64 v5, null, v9, v5, s0
	v_fma_f64 v[0:1], s[14:15], v[12:13], -v[0:1]
	v_fma_f64 v[2:3], s[16:17], v[12:13], v[2:3]
	s_cbranch_vccnz .LBB560_30
; %bb.29:
	flat_load_dwordx4 v[6:9], v[4:5]
	s_waitcnt vmcnt(0) lgkmcnt(0)
	v_mul_f64 v[10:11], s[40:41], v[8:9]
	v_mul_f64 v[8:9], s[38:39], v[8:9]
	v_fma_f64 v[10:11], s[38:39], v[6:7], -v[10:11]
	v_fma_f64 v[6:7], s[40:41], v[6:7], v[8:9]
	v_add_f64 v[0:1], v[0:1], v[10:11]
	v_add_f64 v[2:3], v[2:3], v[6:7]
.LBB560_30:
	flat_store_dwordx4 v[4:5], v[0:3]
	s_endpgm
.LBB560_31:
.LBB560_32:
	s_endpgm
	.section	.rodata,"a",@progbits
	.p2align	6, 0x0
	.amdhsa_kernel _ZL29rocblas_internal_gemmt_kernelIlLi16ELi32ELi8ELc78ELc67ELc85ELb0ELb1E19rocblas_complex_numIdES1_PKPKS1_PKPS1_EviT_T9_T10_S9_lSB_S9_lSA_T11_S9_li
		.amdhsa_group_segment_fixed_size 8192
		.amdhsa_private_segment_fixed_size 0
		.amdhsa_kernarg_size 124
		.amdhsa_user_sgpr_count 6
		.amdhsa_user_sgpr_private_segment_buffer 1
		.amdhsa_user_sgpr_dispatch_ptr 0
		.amdhsa_user_sgpr_queue_ptr 0
		.amdhsa_user_sgpr_kernarg_segment_ptr 1
		.amdhsa_user_sgpr_dispatch_id 0
		.amdhsa_user_sgpr_flat_scratch_init 0
		.amdhsa_user_sgpr_private_segment_size 0
		.amdhsa_wavefront_size32 1
		.amdhsa_uses_dynamic_stack 0
		.amdhsa_system_sgpr_private_segment_wavefront_offset 0
		.amdhsa_system_sgpr_workgroup_id_x 1
		.amdhsa_system_sgpr_workgroup_id_y 1
		.amdhsa_system_sgpr_workgroup_id_z 1
		.amdhsa_system_sgpr_workgroup_info 0
		.amdhsa_system_vgpr_workitem_id 1
		.amdhsa_next_free_vgpr 120
		.amdhsa_next_free_sgpr 44
		.amdhsa_reserve_vcc 1
		.amdhsa_reserve_flat_scratch 0
		.amdhsa_float_round_mode_32 0
		.amdhsa_float_round_mode_16_64 0
		.amdhsa_float_denorm_mode_32 3
		.amdhsa_float_denorm_mode_16_64 3
		.amdhsa_dx10_clamp 1
		.amdhsa_ieee_mode 1
		.amdhsa_fp16_overflow 0
		.amdhsa_workgroup_processor_mode 1
		.amdhsa_memory_ordered 1
		.amdhsa_forward_progress 1
		.amdhsa_shared_vgpr_count 0
		.amdhsa_exception_fp_ieee_invalid_op 0
		.amdhsa_exception_fp_denorm_src 0
		.amdhsa_exception_fp_ieee_div_zero 0
		.amdhsa_exception_fp_ieee_overflow 0
		.amdhsa_exception_fp_ieee_underflow 0
		.amdhsa_exception_fp_ieee_inexact 0
		.amdhsa_exception_int_div_zero 0
	.end_amdhsa_kernel
	.section	.text._ZL29rocblas_internal_gemmt_kernelIlLi16ELi32ELi8ELc78ELc67ELc85ELb0ELb1E19rocblas_complex_numIdES1_PKPKS1_PKPS1_EviT_T9_T10_S9_lSB_S9_lSA_T11_S9_li,"axG",@progbits,_ZL29rocblas_internal_gemmt_kernelIlLi16ELi32ELi8ELc78ELc67ELc85ELb0ELb1E19rocblas_complex_numIdES1_PKPKS1_PKPS1_EviT_T9_T10_S9_lSB_S9_lSA_T11_S9_li,comdat
.Lfunc_end560:
	.size	_ZL29rocblas_internal_gemmt_kernelIlLi16ELi32ELi8ELc78ELc67ELc85ELb0ELb1E19rocblas_complex_numIdES1_PKPKS1_PKPS1_EviT_T9_T10_S9_lSB_S9_lSA_T11_S9_li, .Lfunc_end560-_ZL29rocblas_internal_gemmt_kernelIlLi16ELi32ELi8ELc78ELc67ELc85ELb0ELb1E19rocblas_complex_numIdES1_PKPKS1_PKPS1_EviT_T9_T10_S9_lSB_S9_lSA_T11_S9_li
                                        ; -- End function
	.set _ZL29rocblas_internal_gemmt_kernelIlLi16ELi32ELi8ELc78ELc67ELc85ELb0ELb1E19rocblas_complex_numIdES1_PKPKS1_PKPS1_EviT_T9_T10_S9_lSB_S9_lSA_T11_S9_li.num_vgpr, 120
	.set _ZL29rocblas_internal_gemmt_kernelIlLi16ELi32ELi8ELc78ELc67ELc85ELb0ELb1E19rocblas_complex_numIdES1_PKPKS1_PKPS1_EviT_T9_T10_S9_lSB_S9_lSA_T11_S9_li.num_agpr, 0
	.set _ZL29rocblas_internal_gemmt_kernelIlLi16ELi32ELi8ELc78ELc67ELc85ELb0ELb1E19rocblas_complex_numIdES1_PKPKS1_PKPS1_EviT_T9_T10_S9_lSB_S9_lSA_T11_S9_li.numbered_sgpr, 44
	.set _ZL29rocblas_internal_gemmt_kernelIlLi16ELi32ELi8ELc78ELc67ELc85ELb0ELb1E19rocblas_complex_numIdES1_PKPKS1_PKPS1_EviT_T9_T10_S9_lSB_S9_lSA_T11_S9_li.num_named_barrier, 0
	.set _ZL29rocblas_internal_gemmt_kernelIlLi16ELi32ELi8ELc78ELc67ELc85ELb0ELb1E19rocblas_complex_numIdES1_PKPKS1_PKPS1_EviT_T9_T10_S9_lSB_S9_lSA_T11_S9_li.private_seg_size, 0
	.set _ZL29rocblas_internal_gemmt_kernelIlLi16ELi32ELi8ELc78ELc67ELc85ELb0ELb1E19rocblas_complex_numIdES1_PKPKS1_PKPS1_EviT_T9_T10_S9_lSB_S9_lSA_T11_S9_li.uses_vcc, 1
	.set _ZL29rocblas_internal_gemmt_kernelIlLi16ELi32ELi8ELc78ELc67ELc85ELb0ELb1E19rocblas_complex_numIdES1_PKPKS1_PKPS1_EviT_T9_T10_S9_lSB_S9_lSA_T11_S9_li.uses_flat_scratch, 0
	.set _ZL29rocblas_internal_gemmt_kernelIlLi16ELi32ELi8ELc78ELc67ELc85ELb0ELb1E19rocblas_complex_numIdES1_PKPKS1_PKPS1_EviT_T9_T10_S9_lSB_S9_lSA_T11_S9_li.has_dyn_sized_stack, 0
	.set _ZL29rocblas_internal_gemmt_kernelIlLi16ELi32ELi8ELc78ELc67ELc85ELb0ELb1E19rocblas_complex_numIdES1_PKPKS1_PKPS1_EviT_T9_T10_S9_lSB_S9_lSA_T11_S9_li.has_recursion, 0
	.set _ZL29rocblas_internal_gemmt_kernelIlLi16ELi32ELi8ELc78ELc67ELc85ELb0ELb1E19rocblas_complex_numIdES1_PKPKS1_PKPS1_EviT_T9_T10_S9_lSB_S9_lSA_T11_S9_li.has_indirect_call, 0
	.section	.AMDGPU.csdata,"",@progbits
; Kernel info:
; codeLenInByte = 3628
; TotalNumSgprs: 46
; NumVgprs: 120
; ScratchSize: 0
; MemoryBound: 1
; FloatMode: 240
; IeeeMode: 1
; LDSByteSize: 8192 bytes/workgroup (compile time only)
; SGPRBlocks: 0
; VGPRBlocks: 14
; NumSGPRsForWavesPerEU: 46
; NumVGPRsForWavesPerEU: 120
; Occupancy: 8
; WaveLimiterHint : 1
; COMPUTE_PGM_RSRC2:SCRATCH_EN: 0
; COMPUTE_PGM_RSRC2:USER_SGPR: 6
; COMPUTE_PGM_RSRC2:TRAP_HANDLER: 0
; COMPUTE_PGM_RSRC2:TGID_X_EN: 1
; COMPUTE_PGM_RSRC2:TGID_Y_EN: 1
; COMPUTE_PGM_RSRC2:TGID_Z_EN: 1
; COMPUTE_PGM_RSRC2:TIDIG_COMP_CNT: 1
	.section	.text._ZL29rocblas_internal_gemmt_kernelIlLi16ELi32ELi8ELc84ELc78ELc85ELb0ELb0E19rocblas_complex_numIdES1_PKPKS1_PKPS1_EviT_T9_T10_S9_lSB_S9_lSA_T11_S9_li,"axG",@progbits,_ZL29rocblas_internal_gemmt_kernelIlLi16ELi32ELi8ELc84ELc78ELc85ELb0ELb0E19rocblas_complex_numIdES1_PKPKS1_PKPS1_EviT_T9_T10_S9_lSB_S9_lSA_T11_S9_li,comdat
	.globl	_ZL29rocblas_internal_gemmt_kernelIlLi16ELi32ELi8ELc84ELc78ELc85ELb0ELb0E19rocblas_complex_numIdES1_PKPKS1_PKPS1_EviT_T9_T10_S9_lSB_S9_lSA_T11_S9_li ; -- Begin function _ZL29rocblas_internal_gemmt_kernelIlLi16ELi32ELi8ELc84ELc78ELc85ELb0ELb0E19rocblas_complex_numIdES1_PKPKS1_PKPS1_EviT_T9_T10_S9_lSB_S9_lSA_T11_S9_li
	.p2align	8
	.type	_ZL29rocblas_internal_gemmt_kernelIlLi16ELi32ELi8ELc84ELc78ELc85ELb0ELb0E19rocblas_complex_numIdES1_PKPKS1_PKPS1_EviT_T9_T10_S9_lSB_S9_lSA_T11_S9_li,@function
_ZL29rocblas_internal_gemmt_kernelIlLi16ELi32ELi8ELc84ELc78ELc85ELb0ELb0E19rocblas_complex_numIdES1_PKPKS1_PKPS1_EviT_T9_T10_S9_lSB_S9_lSA_T11_S9_li: ; @_ZL29rocblas_internal_gemmt_kernelIlLi16ELi32ELi8ELc84ELc78ELc85ELb0ELb0E19rocblas_complex_numIdES1_PKPKS1_PKPS1_EviT_T9_T10_S9_lSB_S9_lSA_T11_S9_li
; %bb.0:
	s_clause 0x1
	s_load_dwordx8 s[36:43], s[4:5], 0x48
	s_load_dwordx16 s[12:27], s[4:5], 0x8
	s_waitcnt lgkmcnt(0)
	v_cmp_eq_f64_e64 s0, s[38:39], 1.0
	v_cmp_eq_f64_e64 s29, s[40:41], 0
	s_and_b32 s0, s0, s29
	s_andn2_b32 vcc_lo, exec_lo, s0
	s_mov_b32 s0, -1
	s_cbranch_vccnz .LBB561_3
; %bb.1:
	s_cmp_lg_u64 s[12:13], 0
	s_cbranch_scc0 .LBB561_33
; %bb.2:
	v_cmp_neq_f64_e64 s0, s[14:15], 0
	v_cmp_neq_f64_e64 s1, s[16:17], 0
	s_or_b32 s0, s0, s1
.LBB561_3:
	s_and_b32 vcc_lo, exec_lo, s0
	s_cbranch_vccz .LBB561_34
; %bb.4:
	v_cmp_eq_f64_e64 s30, s[14:15], 0
	v_cmp_eq_f64_e64 s31, s[16:17], 0
	s_mov_b32 s9, 0
	v_mov_b32_e32 v20, 0
	s_lshl_b64 s[0:1], s[8:9], 3
	v_mov_b32_e32 v22, 0
	s_add_u32 s2, s42, s0
	s_addc_u32 s3, s43, s1
	s_clause 0x1
	s_load_dwordx4 s[8:11], s[4:5], 0x68
	s_load_dword s28, s[4:5], 0x0
	s_load_dwordx2 s[2:3], s[2:3], 0x0
	v_cmp_lt_i64_e64 s4, s[12:13], 1
	v_mov_b32_e32 v18, 0
	v_mov_b32_e32 v16, 0
	;; [unrolled: 1-line block ×13, first 2 shown]
	s_and_b32 s5, s30, s31
	v_mov_b32_e32 v7, 0
	s_or_b32 s4, s5, s4
	s_lshl_b32 s6, s6, 5
	s_and_b32 vcc_lo, exec_lo, s4
	s_lshl_b32 s7, s7, 5
	s_cbranch_vccnz .LBB561_17
; %bb.5:
	s_add_u32 s4, s24, s0
	s_addc_u32 s5, s25, s1
	s_lshl_b64 s[24:25], s[36:37], 4
	s_load_dwordx2 s[4:5], s[4:5], 0x0
	v_lshl_add_u32 v4, v1, 4, v0
	v_and_b32_e32 v24, 7, v0
	v_mov_b32_e32 v6, 0
	v_mov_b32_e32 v8, 0
	;; [unrolled: 1-line block ×3, first 2 shown]
	v_lshrrev_b32_e32 v5, 3, v4
	v_and_b32_e32 v11, 31, v4
	v_lshlrev_b32_e32 v28, 4, v24
	v_mov_b32_e32 v14, 0
	v_mov_b32_e32 v16, 0
	v_add_nc_u32_e32 v10, s7, v5
	v_or_b32_e32 v29, s6, v11
	v_lshl_or_b32 v32, v5, 7, v28
	v_lshlrev_b32_e32 v11, 4, v11
	v_mov_b32_e32 v18, 0
	v_ashrrev_i32_e32 v27, 31, v10
	v_mul_lo_u32 v30, s27, v10
	v_mad_u64_u32 v[2:3], null, s26, v10, 0
	s_waitcnt lgkmcnt(0)
	s_add_u32 s24, s4, s24
	s_addc_u32 s25, s5, s25
	s_add_u32 s0, s18, s0
	s_addc_u32 s1, s19, s1
	v_mul_lo_u32 v31, s26, v27
	s_load_dwordx2 s[0:1], s[0:1], 0x0
	v_lshrrev_b32_e32 v27, 5, v4
	v_mul_lo_u32 v28, s21, v29
	v_mad_u64_u32 v[4:5], null, s20, v29, 0
	s_lshl_b64 s[4:5], s[22:23], 4
	v_cmp_le_i32_e64 s18, s28, v29
	v_add3_u32 v3, v3, v31, v30
	v_cmp_gt_i32_e32 vcc_lo, s28, v10
	v_mov_b32_e32 v22, 0
	v_mov_b32_e32 v20, 0
	v_lshlrev_b32_e32 v25, 4, v0
	v_lshlrev_b64 v[2:3], 4, v[2:3]
	v_lshl_add_u32 v26, v1, 7, 0x1000
	v_mov_b32_e32 v7, 0
	v_mov_b32_e32 v9, 0
	;; [unrolled: 1-line block ×6, first 2 shown]
	s_waitcnt lgkmcnt(0)
	s_add_u32 s4, s0, s4
	s_addc_u32 s5, s1, s5
	s_ashr_i32 s1, s6, 31
	v_cmp_gt_i32_e64 s0, s28, v29
	s_mul_i32 s1, s20, s1
	v_add_nc_u32_e32 v29, 0x1000, v32
	v_add3_u32 v5, v5, s1, v28
	v_add_co_u32 v30, s1, s24, v2
	v_add_co_ci_u32_e64 v31, null, s25, v3, s1
	v_lshlrev_b64 v[4:5], 4, v[4:5]
	v_mov_b32_e32 v23, 0
	v_mov_b32_e32 v21, 0
	v_lshl_or_b32 v28, v27, 9, v11
	v_mov_b32_e32 v3, 0
                                        ; implicit-def: $vgpr10_vgpr11
	v_add_co_u32 v32, s1, s4, v4
	v_add_co_ci_u32_e64 v33, null, s5, v5, s1
	s_mov_b64 s[4:5], 0
	s_xor_b32 s1, vcc_lo, -1
	s_branch .LBB561_7
.LBB561_6:                              ;   in Loop: Header=BB561_7 Depth=1
	s_or_b32 exec_lo, exec_lo, s19
	s_waitcnt lgkmcnt(0)
	s_barrier
	buffer_gl0_inv
	ds_read_b128 v[34:37], v26
	ds_read_b128 v[38:41], v25
	ds_read_b128 v[42:45], v25 offset:256
	ds_read_b128 v[46:49], v26 offset:2048
	;; [unrolled: 1-line block ×16, first 2 shown]
	s_add_u32 s4, s4, 8
	s_addc_u32 s5, s5, 0
	v_cmp_gt_i64_e64 s19, s[12:13], s[4:5]
	s_waitcnt lgkmcnt(16)
	v_mul_f64 v[4:5], v[36:37], v[40:41]
	v_mul_f64 v[106:107], v[34:35], v[40:41]
	s_waitcnt lgkmcnt(15)
	v_mul_f64 v[108:109], v[36:37], v[44:45]
	v_mul_f64 v[110:111], v[34:35], v[44:45]
	;; [unrolled: 3-line block ×3, first 2 shown]
	v_mul_f64 v[114:115], v[48:49], v[44:45]
	v_mul_f64 v[44:45], v[46:47], v[44:45]
	s_waitcnt lgkmcnt(12)
	v_mul_f64 v[116:117], v[52:53], v[56:57]
	v_mul_f64 v[118:119], v[50:51], v[56:57]
	s_waitcnt lgkmcnt(11)
	v_mul_f64 v[120:121], v[52:53], v[60:61]
	v_mul_f64 v[122:123], v[50:51], v[60:61]
	s_waitcnt lgkmcnt(10)
	v_mul_f64 v[124:125], v[64:65], v[56:57]
	v_mul_f64 v[56:57], v[62:63], v[56:57]
	;; [unrolled: 1-line block ×4, first 2 shown]
	s_waitcnt lgkmcnt(7)
	v_mul_f64 v[132:133], v[76:77], v[68:69]
	v_mul_f64 v[134:135], v[74:75], v[68:69]
	;; [unrolled: 1-line block ×4, first 2 shown]
	s_and_b32 vcc_lo, exec_lo, s19
	v_fma_f64 v[4:5], v[34:35], v[38:39], -v[4:5]
	v_fma_f64 v[106:107], v[36:37], v[38:39], v[106:107]
	v_fma_f64 v[108:109], v[34:35], v[42:43], -v[108:109]
	v_fma_f64 v[110:111], v[36:37], v[42:43], v[110:111]
	;; [unrolled: 2-line block ×8, first 2 shown]
	s_waitcnt lgkmcnt(5)
	v_mul_f64 v[60:61], v[84:85], v[68:69]
	v_mul_f64 v[64:65], v[84:85], v[72:73]
	s_waitcnt lgkmcnt(3)
	v_mul_f64 v[126:127], v[88:89], v[92:93]
	ds_read_b128 v[34:37], v26 offset:64
	ds_read_b128 v[38:41], v26 offset:80
	;; [unrolled: 1-line block ×6, first 2 shown]
	v_add_f64 v[4:5], v[20:21], v[4:5]
	v_add_f64 v[20:21], v[106:107], v[22:23]
	;; [unrolled: 1-line block ×3, first 2 shown]
	v_mul_f64 v[22:23], v[82:83], v[68:69]
	v_add_f64 v[16:17], v[110:111], v[16:17]
	v_add_f64 v[14:15], v[14:15], v[112:113]
	v_mul_f64 v[68:69], v[82:83], v[72:73]
	v_add_f64 v[12:13], v[128:129], v[12:13]
	v_add_f64 v[8:9], v[8:9], v[114:115]
	v_add_f64 v[6:7], v[130:131], v[6:7]
	v_mul_f64 v[72:73], v[80:81], v[92:93]
	v_mul_f64 v[106:107], v[78:79], v[92:93]
	s_waitcnt lgkmcnt(8)
	v_mul_f64 v[108:109], v[80:81], v[96:97]
	v_mul_f64 v[110:111], v[78:79], v[96:97]
	v_fma_f64 v[112:113], v[74:75], v[66:67], -v[132:133]
	v_fma_f64 v[114:115], v[76:77], v[66:67], v[134:135]
	v_fma_f64 v[74:75], v[74:75], v[70:71], -v[136:137]
	v_fma_f64 v[76:77], v[76:77], v[70:71], v[140:141]
	v_mul_f64 v[92:93], v[86:87], v[92:93]
	v_mul_f64 v[128:129], v[88:89], v[96:97]
	v_fma_f64 v[60:61], v[82:83], v[66:67], -v[60:61]
	v_mul_f64 v[96:97], v[86:87], v[96:97]
	v_add_f64 v[4:5], v[4:5], v[116:117]
	v_add_f64 v[20:21], v[118:119], v[20:21]
	;; [unrolled: 1-line block ×3, first 2 shown]
	v_fma_f64 v[22:23], v[84:85], v[66:67], v[22:23]
	v_add_f64 v[16:17], v[122:123], v[16:17]
	v_add_f64 v[14:15], v[14:15], v[124:125]
	v_fma_f64 v[64:65], v[82:83], v[70:71], -v[64:65]
	v_add_f64 v[12:13], v[138:139], v[12:13]
	v_add_f64 v[8:9], v[8:9], v[62:63]
	v_fma_f64 v[66:67], v[84:85], v[70:71], v[68:69]
	v_add_f64 v[6:7], v[58:59], v[6:7]
	s_waitcnt lgkmcnt(5)
	v_mul_f64 v[116:117], v[36:37], v[100:101]
	v_mul_f64 v[118:119], v[34:35], v[100:101]
	;; [unrolled: 1-line block ×4, first 2 shown]
	s_waitcnt lgkmcnt(1)
	v_mul_f64 v[62:63], v[52:53], v[100:101]
	v_fma_f64 v[68:69], v[78:79], v[90:91], -v[72:73]
	v_fma_f64 v[70:71], v[80:81], v[90:91], v[106:107]
	v_fma_f64 v[72:73], v[78:79], v[94:95], -v[108:109]
	v_fma_f64 v[78:79], v[80:81], v[94:95], v[110:111]
	;; [unrolled: 2-line block ×3, first 2 shown]
	v_add_f64 v[4:5], v[4:5], v[112:113]
	v_add_f64 v[20:21], v[114:115], v[20:21]
	v_add_f64 v[18:19], v[18:19], v[74:75]
	v_mul_f64 v[74:75], v[52:53], v[104:105]
	v_add_f64 v[16:17], v[76:77], v[16:17]
	v_add_f64 v[14:15], v[14:15], v[60:61]
	v_mul_f64 v[60:61], v[50:51], v[100:101]
	v_mul_f64 v[76:77], v[50:51], v[104:105]
	v_fma_f64 v[86:87], v[86:87], v[94:95], -v[128:129]
	v_add_f64 v[12:13], v[22:23], v[12:13]
	v_add_f64 v[8:9], v[8:9], v[64:65]
	v_fma_f64 v[88:89], v[88:89], v[94:95], v[96:97]
	v_add_f64 v[66:67], v[66:67], v[6:7]
	v_mul_f64 v[80:81], v[40:41], v[44:45]
	v_mul_f64 v[82:83], v[38:39], v[44:45]
	;; [unrolled: 1-line block ×3, first 2 shown]
	v_fma_f64 v[90:91], v[34:35], v[98:99], -v[116:117]
	v_fma_f64 v[92:93], v[36:37], v[98:99], v[118:119]
	v_fma_f64 v[34:35], v[34:35], v[102:103], -v[120:121]
	v_fma_f64 v[36:37], v[36:37], v[102:103], v[122:123]
	v_fma_f64 v[62:63], v[50:51], v[98:99], -v[62:63]
	v_mul_f64 v[94:95], v[38:39], v[48:49]
	v_add_f64 v[68:69], v[4:5], v[68:69]
	v_add_f64 v[70:71], v[70:71], v[20:21]
	;; [unrolled: 1-line block ×3, first 2 shown]
	s_waitcnt lgkmcnt(0)
	v_mul_f64 v[96:97], v[56:57], v[44:45]
	v_add_f64 v[78:79], v[78:79], v[16:17]
	v_add_f64 v[58:59], v[14:15], v[58:59]
	v_mul_f64 v[44:45], v[54:55], v[44:45]
	v_mul_f64 v[100:101], v[56:57], v[48:49]
	;; [unrolled: 1-line block ×3, first 2 shown]
	v_fma_f64 v[60:61], v[52:53], v[98:99], v[60:61]
	v_fma_f64 v[50:51], v[50:51], v[102:103], -v[74:75]
	v_add_f64 v[74:75], v[84:85], v[12:13]
	v_add_f64 v[8:9], v[8:9], v[86:87]
	v_fma_f64 v[52:53], v[52:53], v[102:103], v[76:77]
	v_add_f64 v[66:67], v[88:89], v[66:67]
	ds_read_b128 v[4:7], v26 offset:96
	ds_read_b128 v[12:15], v25 offset:3072
	;; [unrolled: 1-line block ×4, first 2 shown]
	v_fma_f64 v[76:77], v[38:39], v[42:43], -v[80:81]
	v_fma_f64 v[64:65], v[38:39], v[46:47], -v[64:65]
	v_fma_f64 v[80:81], v[40:41], v[46:47], v[94:95]
	v_add_f64 v[68:69], v[68:69], v[90:91]
	v_add_f64 v[70:71], v[92:93], v[70:71]
	;; [unrolled: 1-line block ×5, first 2 shown]
	v_fma_f64 v[62:63], v[40:41], v[42:43], v[82:83]
	v_fma_f64 v[82:83], v[54:55], v[42:43], -v[96:97]
	v_fma_f64 v[84:85], v[56:57], v[42:43], v[44:45]
	v_fma_f64 v[54:55], v[54:55], v[46:47], -v[100:101]
	v_fma_f64 v[56:57], v[56:57], v[46:47], v[48:49]
	v_add_f64 v[60:61], v[60:61], v[74:75]
	v_add_f64 v[8:9], v[8:9], v[50:51]
	s_waitcnt lgkmcnt(2)
	v_mul_f64 v[50:51], v[6:7], v[14:15]
	v_mul_f64 v[74:75], v[4:5], v[14:15]
	s_waitcnt lgkmcnt(1)
	v_mul_f64 v[86:87], v[6:7], v[18:19]
	v_mul_f64 v[88:89], v[4:5], v[18:19]
	;; [unrolled: 3-line block ×3, first 2 shown]
	v_mul_f64 v[92:93], v[22:23], v[18:19]
	v_add_f64 v[52:53], v[52:53], v[66:67]
	v_mul_f64 v[18:19], v[20:21], v[18:19]
	ds_read_b128 v[34:37], v26 offset:112
	ds_read_b128 v[38:41], v26 offset:2160
	;; [unrolled: 1-line block ×4, first 2 shown]
	v_add_f64 v[66:67], v[68:69], v[76:77]
	v_add_f64 v[64:65], v[72:73], v[64:65]
	;; [unrolled: 1-line block ×5, first 2 shown]
	s_waitcnt lgkmcnt(0)
	s_barrier
	buffer_gl0_inv
	v_add_f64 v[60:61], v[84:85], v[60:61]
	v_add_f64 v[8:9], v[8:9], v[54:55]
	v_fma_f64 v[50:51], v[4:5], v[12:13], -v[50:51]
	v_fma_f64 v[54:55], v[6:7], v[12:13], v[74:75]
	v_fma_f64 v[4:5], v[4:5], v[16:17], -v[86:87]
	v_fma_f64 v[6:7], v[6:7], v[16:17], v[88:89]
	;; [unrolled: 2-line block ×3, first 2 shown]
	v_fma_f64 v[14:15], v[20:21], v[16:17], -v[92:93]
	v_add_f64 v[20:21], v[56:57], v[52:53]
	v_fma_f64 v[16:17], v[22:23], v[16:17], v[18:19]
	v_mul_f64 v[18:19], v[36:37], v[44:45]
	v_mul_f64 v[22:23], v[34:35], v[44:45]
	;; [unrolled: 1-line block ×8, first 2 shown]
	v_add_f64 v[50:51], v[66:67], v[50:51]
	v_add_f64 v[54:55], v[54:55], v[62:63]
	;; [unrolled: 1-line block ×8, first 2 shown]
	v_fma_f64 v[14:15], v[34:35], v[42:43], -v[18:19]
	v_fma_f64 v[16:17], v[36:37], v[42:43], v[22:23]
	v_fma_f64 v[18:19], v[34:35], v[46:47], -v[52:53]
	v_fma_f64 v[34:35], v[36:37], v[46:47], v[56:57]
	;; [unrolled: 2-line block ×4, first 2 shown]
	v_add_f64 v[20:21], v[50:51], v[14:15]
	v_add_f64 v[22:23], v[16:17], v[54:55]
	;; [unrolled: 1-line block ×8, first 2 shown]
	s_cbranch_vccz .LBB561_17
.LBB561_7:                              ; =>This Inner Loop Header: Depth=1
	s_mov_b32 s21, s18
	s_mov_b32 s19, 0
	s_and_saveexec_b32 s20, s0
	s_cbranch_execnz .LBB561_15
; %bb.8:                                ;   in Loop: Header=BB561_7 Depth=1
	s_or_b32 exec_lo, exec_lo, s20
	s_and_saveexec_b32 s20, s21
	s_xor_b32 s20, exec_lo, s20
	s_cbranch_execnz .LBB561_16
.LBB561_9:                              ;   in Loop: Header=BB561_7 Depth=1
	s_or_b32 exec_lo, exec_lo, s20
	s_and_saveexec_b32 s20, s19
	s_cbranch_execz .LBB561_11
.LBB561_10:                             ;   in Loop: Header=BB561_7 Depth=1
	v_lshlrev_b64 v[4:5], 4, v[10:11]
	v_add_co_u32 v4, vcc_lo, v32, v4
	v_add_co_ci_u32_e64 v5, null, v33, v5, vcc_lo
	flat_load_dwordx4 v[34:37], v[4:5]
	s_waitcnt vmcnt(0) lgkmcnt(0)
	ds_write2_b64 v28, v[34:35], v[36:37] offset1:1
.LBB561_11:                             ;   in Loop: Header=BB561_7 Depth=1
	s_or_b32 exec_lo, exec_lo, s20
	v_add_nc_u32_e32 v2, s4, v24
	v_cmp_le_u64_e32 vcc_lo, s[12:13], v[2:3]
	s_or_b32 s19, vcc_lo, s1
	s_and_saveexec_b32 s20, s19
	s_xor_b32 s19, exec_lo, s20
	s_cbranch_execz .LBB561_13
; %bb.12:                               ;   in Loop: Header=BB561_7 Depth=1
	v_mov_b32_e32 v2, v3
	v_mov_b32_e32 v4, v3
	;; [unrolled: 1-line block ×3, first 2 shown]
	ds_write_b128 v29, v[2:5]
.LBB561_13:                             ;   in Loop: Header=BB561_7 Depth=1
	s_andn2_saveexec_b32 s19, s19
	s_cbranch_execz .LBB561_6
; %bb.14:                               ;   in Loop: Header=BB561_7 Depth=1
	v_lshlrev_b64 v[4:5], 4, v[2:3]
	v_add_co_u32 v4, vcc_lo, v30, v4
	v_add_co_ci_u32_e64 v5, null, v31, v5, vcc_lo
	flat_load_dwordx4 v[34:37], v[4:5]
	s_waitcnt vmcnt(0) lgkmcnt(0)
	ds_write2_b64 v29, v[34:35], v[36:37] offset1:1
	s_branch .LBB561_6
.LBB561_15:                             ;   in Loop: Header=BB561_7 Depth=1
	v_add_nc_u32_e32 v2, s4, v27
	v_mov_b32_e32 v11, v3
	s_andn2_b32 s21, s18, exec_lo
	s_mov_b32 s19, exec_lo
	v_cmp_le_u64_e32 vcc_lo, s[12:13], v[2:3]
	v_mov_b32_e32 v10, v2
	s_and_b32 s22, vcc_lo, exec_lo
	s_or_b32 s21, s21, s22
	s_or_b32 exec_lo, exec_lo, s20
	s_and_saveexec_b32 s20, s21
	s_xor_b32 s20, exec_lo, s20
	s_cbranch_execz .LBB561_9
.LBB561_16:                             ;   in Loop: Header=BB561_7 Depth=1
	v_mov_b32_e32 v2, v3
	v_mov_b32_e32 v4, v3
	;; [unrolled: 1-line block ×3, first 2 shown]
	s_andn2_b32 s19, s19, exec_lo
	ds_write_b128 v28, v[2:5]
	s_or_b32 exec_lo, exec_lo, s20
	s_and_saveexec_b32 s20, s19
	s_cbranch_execnz .LBB561_10
	s_branch .LBB561_11
.LBB561_17:
	v_add_nc_u32_e32 v25, s7, v1
	v_cmp_neq_f64_e64 s4, s[38:39], 0
	s_waitcnt lgkmcnt(0)
	s_lshl_b64 s[0:1], s[10:11], 4
	s_add_u32 s2, s2, s0
	v_ashrrev_i32_e32 v3, 31, v25
	v_mul_lo_u32 v4, s9, v25
	v_mad_u64_u32 v[1:2], null, s8, v25, 0
	s_addc_u32 s3, s3, s1
	v_mul_lo_u32 v3, s8, v3
	s_xor_b32 s5, s29, -1
	v_cmp_gt_i32_e64 s0, s28, v25
	v_add3_u32 v2, v2, v3, v4
	v_add_nc_u32_e32 v4, s6, v0
	s_or_b32 s4, s4, s5
	v_lshlrev_b64 v[0:1], 4, v[1:2]
	v_cmp_le_i32_e32 vcc_lo, v4, v25
	v_ashrrev_i32_e32 v5, 31, v4
	v_cndmask_b32_e64 v24, 0, 1, s4
	s_and_b32 s5, s0, vcc_lo
	v_add_co_u32 v26, s1, s2, v0
	v_add_co_ci_u32_e64 v27, null, s3, v1, s1
	s_and_saveexec_b32 s1, s5
	s_cbranch_execz .LBB561_21
; %bb.18:
	v_mul_f64 v[0:1], s[16:17], v[22:23]
	v_mul_f64 v[2:3], s[14:15], v[22:23]
	v_lshlrev_b64 v[10:11], 4, v[4:5]
	v_add_co_u32 v10, vcc_lo, v26, v10
	v_add_co_ci_u32_e64 v11, null, v27, v11, vcc_lo
	s_andn2_b32 vcc_lo, exec_lo, s4
	v_fma_f64 v[0:1], s[14:15], v[20:21], -v[0:1]
	v_fma_f64 v[2:3], s[16:17], v[20:21], v[2:3]
	s_cbranch_vccnz .LBB561_20
; %bb.19:
	flat_load_dwordx4 v[20:23], v[10:11]
	s_waitcnt vmcnt(0) lgkmcnt(0)
	v_mul_f64 v[28:29], s[40:41], v[22:23]
	v_mul_f64 v[22:23], s[38:39], v[22:23]
	v_fma_f64 v[28:29], s[38:39], v[20:21], -v[28:29]
	v_fma_f64 v[20:21], s[40:41], v[20:21], v[22:23]
	v_add_f64 v[0:1], v[0:1], v[28:29]
	v_add_f64 v[2:3], v[2:3], v[20:21]
.LBB561_20:
	flat_store_dwordx4 v[10:11], v[0:3]
.LBB561_21:
	s_or_b32 exec_lo, exec_lo, s1
	v_add_nc_u32_e32 v10, 16, v4
	v_cmp_le_i32_e32 vcc_lo, v10, v25
	v_ashrrev_i32_e32 v11, 31, v10
	s_and_b32 s0, s0, vcc_lo
	s_and_saveexec_b32 s1, s0
	s_cbranch_execz .LBB561_25
; %bb.22:
	v_mul_f64 v[0:1], s[16:17], v[16:17]
	v_mul_f64 v[2:3], s[14:15], v[16:17]
	v_lshlrev_b64 v[16:17], 4, v[10:11]
	v_cmp_ne_u32_e32 vcc_lo, 1, v24
	s_and_b32 vcc_lo, exec_lo, vcc_lo
	v_add_co_u32 v16, s0, v26, v16
	v_add_co_ci_u32_e64 v17, null, v27, v17, s0
	v_fma_f64 v[0:1], s[14:15], v[18:19], -v[0:1]
	v_fma_f64 v[2:3], s[16:17], v[18:19], v[2:3]
	s_cbranch_vccnz .LBB561_24
; %bb.23:
	flat_load_dwordx4 v[18:21], v[16:17]
	s_waitcnt vmcnt(0) lgkmcnt(0)
	v_mul_f64 v[22:23], s[40:41], v[20:21]
	v_mul_f64 v[20:21], s[38:39], v[20:21]
	v_fma_f64 v[22:23], s[38:39], v[18:19], -v[22:23]
	v_fma_f64 v[18:19], s[40:41], v[18:19], v[20:21]
	v_add_f64 v[0:1], v[0:1], v[22:23]
	v_add_f64 v[2:3], v[2:3], v[18:19]
.LBB561_24:
	flat_store_dwordx4 v[16:17], v[0:3]
.LBB561_25:
	s_or_b32 exec_lo, exec_lo, s1
	v_add_nc_u32_e32 v18, 16, v25
	v_ashrrev_i32_e32 v2, 31, v18
	v_mul_lo_u32 v3, s9, v18
	v_mad_u64_u32 v[0:1], null, s8, v18, 0
	v_cmp_gt_i32_e64 s0, s28, v18
	v_mul_lo_u32 v2, s8, v2
	v_cmp_le_i32_e32 vcc_lo, v4, v18
	v_add3_u32 v1, v1, v2, v3
	v_lshlrev_b64 v[0:1], 4, v[0:1]
	v_add_co_u32 v16, s1, s2, v0
	v_add_co_ci_u32_e64 v17, null, s3, v1, s1
	s_and_b32 s1, s0, vcc_lo
	s_and_saveexec_b32 s2, s1
	s_cbranch_execz .LBB561_29
; %bb.26:
	v_mul_f64 v[0:1], s[16:17], v[12:13]
	v_mul_f64 v[2:3], s[14:15], v[12:13]
	v_lshlrev_b64 v[4:5], 4, v[4:5]
	v_cmp_ne_u32_e32 vcc_lo, 1, v24
	s_and_b32 vcc_lo, exec_lo, vcc_lo
	v_add_co_u32 v4, s1, v16, v4
	v_add_co_ci_u32_e64 v5, null, v17, v5, s1
	v_fma_f64 v[0:1], s[14:15], v[14:15], -v[0:1]
	v_fma_f64 v[2:3], s[16:17], v[14:15], v[2:3]
	s_cbranch_vccnz .LBB561_28
; %bb.27:
	flat_load_dwordx4 v[12:15], v[4:5]
	s_waitcnt vmcnt(0) lgkmcnt(0)
	v_mul_f64 v[19:20], s[40:41], v[14:15]
	v_mul_f64 v[14:15], s[38:39], v[14:15]
	v_fma_f64 v[19:20], s[38:39], v[12:13], -v[19:20]
	v_fma_f64 v[12:13], s[40:41], v[12:13], v[14:15]
	v_add_f64 v[0:1], v[0:1], v[19:20]
	v_add_f64 v[2:3], v[2:3], v[12:13]
.LBB561_28:
	flat_store_dwordx4 v[4:5], v[0:3]
.LBB561_29:
	s_or_b32 exec_lo, exec_lo, s2
	v_cmp_le_i32_e32 vcc_lo, v10, v18
	s_and_b32 s0, s0, vcc_lo
	s_and_saveexec_b32 s1, s0
	s_cbranch_execz .LBB561_34
; %bb.30:
	v_mul_f64 v[0:1], s[16:17], v[6:7]
	v_mul_f64 v[2:3], s[14:15], v[6:7]
	v_lshlrev_b64 v[4:5], 4, v[10:11]
	v_cmp_ne_u32_e32 vcc_lo, 1, v24
	s_and_b32 vcc_lo, exec_lo, vcc_lo
	v_add_co_u32 v4, s0, v16, v4
	v_add_co_ci_u32_e64 v5, null, v17, v5, s0
	v_fma_f64 v[0:1], s[14:15], v[8:9], -v[0:1]
	v_fma_f64 v[2:3], s[16:17], v[8:9], v[2:3]
	s_cbranch_vccnz .LBB561_32
; %bb.31:
	flat_load_dwordx4 v[6:9], v[4:5]
	s_waitcnt vmcnt(0) lgkmcnt(0)
	v_mul_f64 v[10:11], s[40:41], v[8:9]
	v_mul_f64 v[8:9], s[38:39], v[8:9]
	v_fma_f64 v[10:11], s[38:39], v[6:7], -v[10:11]
	v_fma_f64 v[6:7], s[40:41], v[6:7], v[8:9]
	v_add_f64 v[0:1], v[0:1], v[10:11]
	v_add_f64 v[2:3], v[2:3], v[6:7]
.LBB561_32:
	flat_store_dwordx4 v[4:5], v[0:3]
	s_endpgm
.LBB561_33:
.LBB561_34:
	s_endpgm
	.section	.rodata,"a",@progbits
	.p2align	6, 0x0
	.amdhsa_kernel _ZL29rocblas_internal_gemmt_kernelIlLi16ELi32ELi8ELc84ELc78ELc85ELb0ELb0E19rocblas_complex_numIdES1_PKPKS1_PKPS1_EviT_T9_T10_S9_lSB_S9_lSA_T11_S9_li
		.amdhsa_group_segment_fixed_size 8192
		.amdhsa_private_segment_fixed_size 0
		.amdhsa_kernarg_size 124
		.amdhsa_user_sgpr_count 6
		.amdhsa_user_sgpr_private_segment_buffer 1
		.amdhsa_user_sgpr_dispatch_ptr 0
		.amdhsa_user_sgpr_queue_ptr 0
		.amdhsa_user_sgpr_kernarg_segment_ptr 1
		.amdhsa_user_sgpr_dispatch_id 0
		.amdhsa_user_sgpr_flat_scratch_init 0
		.amdhsa_user_sgpr_private_segment_size 0
		.amdhsa_wavefront_size32 1
		.amdhsa_uses_dynamic_stack 0
		.amdhsa_system_sgpr_private_segment_wavefront_offset 0
		.amdhsa_system_sgpr_workgroup_id_x 1
		.amdhsa_system_sgpr_workgroup_id_y 1
		.amdhsa_system_sgpr_workgroup_id_z 1
		.amdhsa_system_sgpr_workgroup_info 0
		.amdhsa_system_vgpr_workitem_id 1
		.amdhsa_next_free_vgpr 142
		.amdhsa_next_free_sgpr 44
		.amdhsa_reserve_vcc 1
		.amdhsa_reserve_flat_scratch 0
		.amdhsa_float_round_mode_32 0
		.amdhsa_float_round_mode_16_64 0
		.amdhsa_float_denorm_mode_32 3
		.amdhsa_float_denorm_mode_16_64 3
		.amdhsa_dx10_clamp 1
		.amdhsa_ieee_mode 1
		.amdhsa_fp16_overflow 0
		.amdhsa_workgroup_processor_mode 1
		.amdhsa_memory_ordered 1
		.amdhsa_forward_progress 1
		.amdhsa_shared_vgpr_count 0
		.amdhsa_exception_fp_ieee_invalid_op 0
		.amdhsa_exception_fp_denorm_src 0
		.amdhsa_exception_fp_ieee_div_zero 0
		.amdhsa_exception_fp_ieee_overflow 0
		.amdhsa_exception_fp_ieee_underflow 0
		.amdhsa_exception_fp_ieee_inexact 0
		.amdhsa_exception_int_div_zero 0
	.end_amdhsa_kernel
	.section	.text._ZL29rocblas_internal_gemmt_kernelIlLi16ELi32ELi8ELc84ELc78ELc85ELb0ELb0E19rocblas_complex_numIdES1_PKPKS1_PKPS1_EviT_T9_T10_S9_lSB_S9_lSA_T11_S9_li,"axG",@progbits,_ZL29rocblas_internal_gemmt_kernelIlLi16ELi32ELi8ELc84ELc78ELc85ELb0ELb0E19rocblas_complex_numIdES1_PKPKS1_PKPS1_EviT_T9_T10_S9_lSB_S9_lSA_T11_S9_li,comdat
.Lfunc_end561:
	.size	_ZL29rocblas_internal_gemmt_kernelIlLi16ELi32ELi8ELc84ELc78ELc85ELb0ELb0E19rocblas_complex_numIdES1_PKPKS1_PKPS1_EviT_T9_T10_S9_lSB_S9_lSA_T11_S9_li, .Lfunc_end561-_ZL29rocblas_internal_gemmt_kernelIlLi16ELi32ELi8ELc84ELc78ELc85ELb0ELb0E19rocblas_complex_numIdES1_PKPKS1_PKPS1_EviT_T9_T10_S9_lSB_S9_lSA_T11_S9_li
                                        ; -- End function
	.set _ZL29rocblas_internal_gemmt_kernelIlLi16ELi32ELi8ELc84ELc78ELc85ELb0ELb0E19rocblas_complex_numIdES1_PKPKS1_PKPS1_EviT_T9_T10_S9_lSB_S9_lSA_T11_S9_li.num_vgpr, 142
	.set _ZL29rocblas_internal_gemmt_kernelIlLi16ELi32ELi8ELc84ELc78ELc85ELb0ELb0E19rocblas_complex_numIdES1_PKPKS1_PKPS1_EviT_T9_T10_S9_lSB_S9_lSA_T11_S9_li.num_agpr, 0
	.set _ZL29rocblas_internal_gemmt_kernelIlLi16ELi32ELi8ELc84ELc78ELc85ELb0ELb0E19rocblas_complex_numIdES1_PKPKS1_PKPS1_EviT_T9_T10_S9_lSB_S9_lSA_T11_S9_li.numbered_sgpr, 44
	.set _ZL29rocblas_internal_gemmt_kernelIlLi16ELi32ELi8ELc84ELc78ELc85ELb0ELb0E19rocblas_complex_numIdES1_PKPKS1_PKPS1_EviT_T9_T10_S9_lSB_S9_lSA_T11_S9_li.num_named_barrier, 0
	.set _ZL29rocblas_internal_gemmt_kernelIlLi16ELi32ELi8ELc84ELc78ELc85ELb0ELb0E19rocblas_complex_numIdES1_PKPKS1_PKPS1_EviT_T9_T10_S9_lSB_S9_lSA_T11_S9_li.private_seg_size, 0
	.set _ZL29rocblas_internal_gemmt_kernelIlLi16ELi32ELi8ELc84ELc78ELc85ELb0ELb0E19rocblas_complex_numIdES1_PKPKS1_PKPS1_EviT_T9_T10_S9_lSB_S9_lSA_T11_S9_li.uses_vcc, 1
	.set _ZL29rocblas_internal_gemmt_kernelIlLi16ELi32ELi8ELc84ELc78ELc85ELb0ELb0E19rocblas_complex_numIdES1_PKPKS1_PKPS1_EviT_T9_T10_S9_lSB_S9_lSA_T11_S9_li.uses_flat_scratch, 0
	.set _ZL29rocblas_internal_gemmt_kernelIlLi16ELi32ELi8ELc84ELc78ELc85ELb0ELb0E19rocblas_complex_numIdES1_PKPKS1_PKPS1_EviT_T9_T10_S9_lSB_S9_lSA_T11_S9_li.has_dyn_sized_stack, 0
	.set _ZL29rocblas_internal_gemmt_kernelIlLi16ELi32ELi8ELc84ELc78ELc85ELb0ELb0E19rocblas_complex_numIdES1_PKPKS1_PKPS1_EviT_T9_T10_S9_lSB_S9_lSA_T11_S9_li.has_recursion, 0
	.set _ZL29rocblas_internal_gemmt_kernelIlLi16ELi32ELi8ELc84ELc78ELc85ELb0ELb0E19rocblas_complex_numIdES1_PKPKS1_PKPS1_EviT_T9_T10_S9_lSB_S9_lSA_T11_S9_li.has_indirect_call, 0
	.section	.AMDGPU.csdata,"",@progbits
; Kernel info:
; codeLenInByte = 3628
; TotalNumSgprs: 46
; NumVgprs: 142
; ScratchSize: 0
; MemoryBound: 0
; FloatMode: 240
; IeeeMode: 1
; LDSByteSize: 8192 bytes/workgroup (compile time only)
; SGPRBlocks: 0
; VGPRBlocks: 17
; NumSGPRsForWavesPerEU: 46
; NumVGPRsForWavesPerEU: 142
; Occupancy: 7
; WaveLimiterHint : 1
; COMPUTE_PGM_RSRC2:SCRATCH_EN: 0
; COMPUTE_PGM_RSRC2:USER_SGPR: 6
; COMPUTE_PGM_RSRC2:TRAP_HANDLER: 0
; COMPUTE_PGM_RSRC2:TGID_X_EN: 1
; COMPUTE_PGM_RSRC2:TGID_Y_EN: 1
; COMPUTE_PGM_RSRC2:TGID_Z_EN: 1
; COMPUTE_PGM_RSRC2:TIDIG_COMP_CNT: 1
	.section	.text._ZL29rocblas_internal_gemmt_kernelIlLi16ELi32ELi8ELc84ELc84ELc85ELb0ELb0E19rocblas_complex_numIdES1_PKPKS1_PKPS1_EviT_T9_T10_S9_lSB_S9_lSA_T11_S9_li,"axG",@progbits,_ZL29rocblas_internal_gemmt_kernelIlLi16ELi32ELi8ELc84ELc84ELc85ELb0ELb0E19rocblas_complex_numIdES1_PKPKS1_PKPS1_EviT_T9_T10_S9_lSB_S9_lSA_T11_S9_li,comdat
	.globl	_ZL29rocblas_internal_gemmt_kernelIlLi16ELi32ELi8ELc84ELc84ELc85ELb0ELb0E19rocblas_complex_numIdES1_PKPKS1_PKPS1_EviT_T9_T10_S9_lSB_S9_lSA_T11_S9_li ; -- Begin function _ZL29rocblas_internal_gemmt_kernelIlLi16ELi32ELi8ELc84ELc84ELc85ELb0ELb0E19rocblas_complex_numIdES1_PKPKS1_PKPS1_EviT_T9_T10_S9_lSB_S9_lSA_T11_S9_li
	.p2align	8
	.type	_ZL29rocblas_internal_gemmt_kernelIlLi16ELi32ELi8ELc84ELc84ELc85ELb0ELb0E19rocblas_complex_numIdES1_PKPKS1_PKPS1_EviT_T9_T10_S9_lSB_S9_lSA_T11_S9_li,@function
_ZL29rocblas_internal_gemmt_kernelIlLi16ELi32ELi8ELc84ELc84ELc85ELb0ELb0E19rocblas_complex_numIdES1_PKPKS1_PKPS1_EviT_T9_T10_S9_lSB_S9_lSA_T11_S9_li: ; @_ZL29rocblas_internal_gemmt_kernelIlLi16ELi32ELi8ELc84ELc84ELc85ELb0ELb0E19rocblas_complex_numIdES1_PKPKS1_PKPS1_EviT_T9_T10_S9_lSB_S9_lSA_T11_S9_li
; %bb.0:
	s_clause 0x1
	s_load_dwordx8 s[36:43], s[4:5], 0x48
	s_load_dwordx16 s[12:27], s[4:5], 0x8
	s_waitcnt lgkmcnt(0)
	v_cmp_eq_f64_e64 s0, s[38:39], 1.0
	v_cmp_eq_f64_e64 s29, s[40:41], 0
	s_and_b32 s0, s0, s29
	s_andn2_b32 vcc_lo, exec_lo, s0
	s_mov_b32 s0, -1
	s_cbranch_vccnz .LBB562_3
; %bb.1:
	s_cmp_lg_u64 s[12:13], 0
	s_cbranch_scc0 .LBB562_33
; %bb.2:
	v_cmp_neq_f64_e64 s0, s[14:15], 0
	v_cmp_neq_f64_e64 s1, s[16:17], 0
	s_or_b32 s0, s0, s1
.LBB562_3:
	s_and_b32 vcc_lo, exec_lo, s0
	s_cbranch_vccz .LBB562_34
; %bb.4:
	v_cmp_eq_f64_e64 s30, s[14:15], 0
	v_cmp_eq_f64_e64 s31, s[16:17], 0
	s_mov_b32 s9, 0
	v_mov_b32_e32 v20, 0
	s_lshl_b64 s[0:1], s[8:9], 3
	v_mov_b32_e32 v22, 0
	s_add_u32 s2, s42, s0
	s_addc_u32 s3, s43, s1
	s_clause 0x1
	s_load_dwordx4 s[8:11], s[4:5], 0x68
	s_load_dword s28, s[4:5], 0x0
	s_load_dwordx2 s[2:3], s[2:3], 0x0
	v_cmp_lt_i64_e64 s4, s[12:13], 1
	v_mov_b32_e32 v16, 0
	v_mov_b32_e32 v18, 0
	;; [unrolled: 1-line block ×13, first 2 shown]
	s_and_b32 s5, s30, s31
	v_mov_b32_e32 v7, 0
	s_or_b32 s4, s5, s4
	s_lshl_b32 s6, s6, 5
	s_and_b32 vcc_lo, exec_lo, s4
	s_lshl_b32 s7, s7, 5
	s_cbranch_vccnz .LBB562_17
; %bb.5:
	s_add_u32 s4, s24, s0
	s_addc_u32 s5, s25, s1
	s_lshl_b64 s[24:25], s[36:37], 4
	s_load_dwordx2 s[4:5], s[4:5], 0x0
	v_lshl_add_u32 v2, v1, 4, v0
	v_and_b32_e32 v24, 7, v0
	v_mov_b32_e32 v6, 0
	v_mov_b32_e32 v8, 0
	;; [unrolled: 1-line block ×3, first 2 shown]
	v_and_b32_e32 v3, 31, v2
	v_lshrrev_b32_e32 v4, 3, v2
	v_lshlrev_b32_e32 v5, 4, v24
	v_lshrrev_b32_e32 v27, 5, v2
	v_mov_b32_e32 v14, 0
	v_or_b32_e32 v10, s6, v3
	v_add_nc_u32_e32 v2, s7, v4
	v_lshl_or_b32 v29, v4, 7, v5
	v_lshlrev_b32_e32 v28, 4, v3
	v_mov_b32_e32 v18, 0
	v_mul_lo_u32 v11, s21, v10
	v_mad_u64_u32 v[4:5], null, s20, v10, 0
	v_ashrrev_i32_e32 v3, 31, v2
	s_waitcnt lgkmcnt(0)
	s_add_u32 s24, s4, s24
	s_addc_u32 s25, s5, s25
	s_add_u32 s0, s18, s0
	s_addc_u32 s1, s19, s1
	s_lshl_b64 s[4:5], s[22:23], 4
	s_load_dwordx2 s[0:1], s[0:1], 0x0
	v_cmp_le_i32_e64 s18, s28, v10
	v_cmp_gt_i32_e32 vcc_lo, s28, v2
	v_mov_b32_e32 v16, 0
	v_mov_b32_e32 v22, 0
	;; [unrolled: 1-line block ×3, first 2 shown]
	v_lshlrev_b32_e32 v25, 4, v0
	v_lshl_add_u32 v26, v1, 7, 0x1000
	v_mov_b32_e32 v7, 0
	v_mov_b32_e32 v9, 0
	;; [unrolled: 1-line block ×8, first 2 shown]
	v_lshl_or_b32 v28, v27, 9, v28
	v_add_nc_u32_e32 v29, 0x1000, v29
	s_waitcnt lgkmcnt(0)
	s_add_u32 s4, s0, s4
	s_addc_u32 s5, s1, s5
	s_ashr_i32 s1, s6, 31
	v_cmp_gt_i32_e64 s0, s28, v10
	s_mul_i32 s1, s20, s1
	v_add3_u32 v5, v5, s1, v11
	v_lshlrev_b64 v[10:11], 4, v[2:3]
	v_lshlrev_b64 v[2:3], 4, v[4:5]
	v_add_co_u32 v30, s1, s24, v10
	v_add_co_ci_u32_e64 v31, null, s25, v11, s1
	v_add_co_u32 v32, s1, s4, v2
	v_add_co_ci_u32_e64 v33, null, s5, v3, s1
	v_mov_b32_e32 v3, 0
	s_mov_b64 s[4:5], 0
	s_xor_b32 s1, vcc_lo, -1
                                        ; implicit-def: $vgpr10_vgpr11
	s_branch .LBB562_7
.LBB562_6:                              ;   in Loop: Header=BB562_7 Depth=1
	s_or_b32 exec_lo, exec_lo, s19
	s_waitcnt lgkmcnt(0)
	s_barrier
	buffer_gl0_inv
	ds_read_b128 v[34:37], v26
	ds_read_b128 v[38:41], v25
	ds_read_b128 v[42:45], v25 offset:256
	ds_read_b128 v[46:49], v26 offset:2048
	;; [unrolled: 1-line block ×16, first 2 shown]
	s_add_u32 s4, s4, 8
	s_addc_u32 s5, s5, 0
	v_cmp_gt_i64_e64 s19, s[12:13], s[4:5]
	s_waitcnt lgkmcnt(16)
	v_mul_f64 v[4:5], v[36:37], v[40:41]
	v_mul_f64 v[106:107], v[34:35], v[40:41]
	s_waitcnt lgkmcnt(15)
	v_mul_f64 v[108:109], v[36:37], v[44:45]
	v_mul_f64 v[110:111], v[34:35], v[44:45]
	;; [unrolled: 3-line block ×3, first 2 shown]
	v_mul_f64 v[114:115], v[48:49], v[44:45]
	v_mul_f64 v[44:45], v[46:47], v[44:45]
	s_waitcnt lgkmcnt(12)
	v_mul_f64 v[116:117], v[52:53], v[56:57]
	v_mul_f64 v[118:119], v[50:51], v[56:57]
	s_waitcnt lgkmcnt(11)
	v_mul_f64 v[120:121], v[52:53], v[60:61]
	v_mul_f64 v[122:123], v[50:51], v[60:61]
	s_waitcnt lgkmcnt(10)
	v_mul_f64 v[124:125], v[64:65], v[56:57]
	v_mul_f64 v[56:57], v[62:63], v[56:57]
	;; [unrolled: 1-line block ×4, first 2 shown]
	s_waitcnt lgkmcnt(7)
	v_mul_f64 v[132:133], v[76:77], v[68:69]
	v_mul_f64 v[134:135], v[74:75], v[68:69]
	;; [unrolled: 1-line block ×4, first 2 shown]
	s_and_b32 vcc_lo, exec_lo, s19
	v_fma_f64 v[4:5], v[34:35], v[38:39], -v[4:5]
	v_fma_f64 v[106:107], v[36:37], v[38:39], v[106:107]
	v_fma_f64 v[108:109], v[34:35], v[42:43], -v[108:109]
	v_fma_f64 v[110:111], v[36:37], v[42:43], v[110:111]
	;; [unrolled: 2-line block ×8, first 2 shown]
	s_waitcnt lgkmcnt(5)
	v_mul_f64 v[60:61], v[84:85], v[68:69]
	v_mul_f64 v[64:65], v[84:85], v[72:73]
	s_waitcnt lgkmcnt(3)
	v_mul_f64 v[126:127], v[88:89], v[92:93]
	ds_read_b128 v[34:37], v26 offset:64
	ds_read_b128 v[38:41], v26 offset:80
	;; [unrolled: 1-line block ×6, first 2 shown]
	v_add_f64 v[4:5], v[20:21], v[4:5]
	v_add_f64 v[20:21], v[106:107], v[22:23]
	;; [unrolled: 1-line block ×3, first 2 shown]
	v_mul_f64 v[22:23], v[82:83], v[68:69]
	v_add_f64 v[18:19], v[110:111], v[18:19]
	v_add_f64 v[14:15], v[14:15], v[112:113]
	v_mul_f64 v[68:69], v[82:83], v[72:73]
	v_add_f64 v[12:13], v[128:129], v[12:13]
	v_add_f64 v[8:9], v[8:9], v[114:115]
	;; [unrolled: 1-line block ×3, first 2 shown]
	v_mul_f64 v[72:73], v[80:81], v[92:93]
	v_mul_f64 v[106:107], v[78:79], v[92:93]
	s_waitcnt lgkmcnt(8)
	v_mul_f64 v[108:109], v[80:81], v[96:97]
	v_mul_f64 v[110:111], v[78:79], v[96:97]
	v_fma_f64 v[112:113], v[74:75], v[66:67], -v[132:133]
	v_fma_f64 v[114:115], v[76:77], v[66:67], v[134:135]
	v_fma_f64 v[74:75], v[74:75], v[70:71], -v[136:137]
	v_fma_f64 v[76:77], v[76:77], v[70:71], v[140:141]
	v_mul_f64 v[92:93], v[86:87], v[92:93]
	v_mul_f64 v[128:129], v[88:89], v[96:97]
	v_fma_f64 v[60:61], v[82:83], v[66:67], -v[60:61]
	v_mul_f64 v[96:97], v[86:87], v[96:97]
	v_add_f64 v[4:5], v[4:5], v[116:117]
	v_add_f64 v[20:21], v[118:119], v[20:21]
	;; [unrolled: 1-line block ×3, first 2 shown]
	v_fma_f64 v[22:23], v[84:85], v[66:67], v[22:23]
	v_add_f64 v[18:19], v[122:123], v[18:19]
	v_add_f64 v[14:15], v[14:15], v[124:125]
	v_fma_f64 v[64:65], v[82:83], v[70:71], -v[64:65]
	v_add_f64 v[12:13], v[138:139], v[12:13]
	v_add_f64 v[8:9], v[8:9], v[62:63]
	v_fma_f64 v[66:67], v[84:85], v[70:71], v[68:69]
	v_add_f64 v[6:7], v[58:59], v[6:7]
	s_waitcnt lgkmcnt(5)
	v_mul_f64 v[116:117], v[36:37], v[100:101]
	v_mul_f64 v[118:119], v[34:35], v[100:101]
	v_mul_f64 v[120:121], v[36:37], v[104:105]
	v_mul_f64 v[122:123], v[34:35], v[104:105]
	s_waitcnt lgkmcnt(1)
	v_mul_f64 v[62:63], v[52:53], v[100:101]
	v_fma_f64 v[68:69], v[78:79], v[90:91], -v[72:73]
	v_fma_f64 v[70:71], v[80:81], v[90:91], v[106:107]
	v_fma_f64 v[72:73], v[78:79], v[94:95], -v[108:109]
	v_fma_f64 v[78:79], v[80:81], v[94:95], v[110:111]
	;; [unrolled: 2-line block ×3, first 2 shown]
	v_add_f64 v[4:5], v[4:5], v[112:113]
	v_add_f64 v[20:21], v[114:115], v[20:21]
	;; [unrolled: 1-line block ×3, first 2 shown]
	v_mul_f64 v[74:75], v[52:53], v[104:105]
	v_add_f64 v[18:19], v[76:77], v[18:19]
	v_add_f64 v[14:15], v[14:15], v[60:61]
	v_mul_f64 v[60:61], v[50:51], v[100:101]
	v_mul_f64 v[76:77], v[50:51], v[104:105]
	v_fma_f64 v[86:87], v[86:87], v[94:95], -v[128:129]
	v_add_f64 v[12:13], v[22:23], v[12:13]
	v_add_f64 v[8:9], v[8:9], v[64:65]
	v_fma_f64 v[88:89], v[88:89], v[94:95], v[96:97]
	v_add_f64 v[66:67], v[66:67], v[6:7]
	v_mul_f64 v[80:81], v[40:41], v[44:45]
	v_mul_f64 v[82:83], v[38:39], v[44:45]
	;; [unrolled: 1-line block ×3, first 2 shown]
	v_fma_f64 v[90:91], v[34:35], v[98:99], -v[116:117]
	v_fma_f64 v[92:93], v[36:37], v[98:99], v[118:119]
	v_fma_f64 v[34:35], v[34:35], v[102:103], -v[120:121]
	v_fma_f64 v[36:37], v[36:37], v[102:103], v[122:123]
	v_fma_f64 v[62:63], v[50:51], v[98:99], -v[62:63]
	v_mul_f64 v[94:95], v[38:39], v[48:49]
	v_add_f64 v[68:69], v[4:5], v[68:69]
	v_add_f64 v[70:71], v[70:71], v[20:21]
	;; [unrolled: 1-line block ×3, first 2 shown]
	s_waitcnt lgkmcnt(0)
	v_mul_f64 v[96:97], v[56:57], v[44:45]
	v_add_f64 v[78:79], v[78:79], v[18:19]
	v_add_f64 v[58:59], v[14:15], v[58:59]
	v_mul_f64 v[44:45], v[54:55], v[44:45]
	v_mul_f64 v[100:101], v[56:57], v[48:49]
	v_mul_f64 v[48:49], v[54:55], v[48:49]
	v_fma_f64 v[60:61], v[52:53], v[98:99], v[60:61]
	v_fma_f64 v[50:51], v[50:51], v[102:103], -v[74:75]
	v_add_f64 v[74:75], v[84:85], v[12:13]
	v_add_f64 v[8:9], v[8:9], v[86:87]
	v_fma_f64 v[52:53], v[52:53], v[102:103], v[76:77]
	v_add_f64 v[66:67], v[88:89], v[66:67]
	ds_read_b128 v[4:7], v26 offset:96
	ds_read_b128 v[12:15], v25 offset:3072
	;; [unrolled: 1-line block ×4, first 2 shown]
	v_fma_f64 v[76:77], v[38:39], v[42:43], -v[80:81]
	v_fma_f64 v[64:65], v[38:39], v[46:47], -v[64:65]
	v_fma_f64 v[80:81], v[40:41], v[46:47], v[94:95]
	v_add_f64 v[68:69], v[68:69], v[90:91]
	v_add_f64 v[70:71], v[92:93], v[70:71]
	;; [unrolled: 1-line block ×5, first 2 shown]
	v_fma_f64 v[62:63], v[40:41], v[42:43], v[82:83]
	v_fma_f64 v[82:83], v[54:55], v[42:43], -v[96:97]
	v_fma_f64 v[84:85], v[56:57], v[42:43], v[44:45]
	v_fma_f64 v[54:55], v[54:55], v[46:47], -v[100:101]
	v_fma_f64 v[56:57], v[56:57], v[46:47], v[48:49]
	v_add_f64 v[60:61], v[60:61], v[74:75]
	v_add_f64 v[8:9], v[8:9], v[50:51]
	s_waitcnt lgkmcnt(2)
	v_mul_f64 v[50:51], v[6:7], v[14:15]
	v_mul_f64 v[74:75], v[4:5], v[14:15]
	s_waitcnt lgkmcnt(1)
	v_mul_f64 v[86:87], v[6:7], v[18:19]
	v_mul_f64 v[88:89], v[4:5], v[18:19]
	;; [unrolled: 3-line block ×3, first 2 shown]
	v_mul_f64 v[92:93], v[22:23], v[18:19]
	v_add_f64 v[52:53], v[52:53], v[66:67]
	v_mul_f64 v[18:19], v[20:21], v[18:19]
	ds_read_b128 v[34:37], v26 offset:112
	ds_read_b128 v[38:41], v26 offset:2160
	;; [unrolled: 1-line block ×4, first 2 shown]
	v_add_f64 v[66:67], v[68:69], v[76:77]
	v_add_f64 v[64:65], v[72:73], v[64:65]
	;; [unrolled: 1-line block ×5, first 2 shown]
	s_waitcnt lgkmcnt(0)
	s_barrier
	buffer_gl0_inv
	v_add_f64 v[60:61], v[84:85], v[60:61]
	v_add_f64 v[8:9], v[8:9], v[54:55]
	v_fma_f64 v[50:51], v[4:5], v[12:13], -v[50:51]
	v_fma_f64 v[54:55], v[6:7], v[12:13], v[74:75]
	v_fma_f64 v[4:5], v[4:5], v[16:17], -v[86:87]
	v_fma_f64 v[6:7], v[6:7], v[16:17], v[88:89]
	;; [unrolled: 2-line block ×3, first 2 shown]
	v_fma_f64 v[14:15], v[20:21], v[16:17], -v[92:93]
	v_add_f64 v[20:21], v[56:57], v[52:53]
	v_fma_f64 v[16:17], v[22:23], v[16:17], v[18:19]
	v_mul_f64 v[18:19], v[36:37], v[44:45]
	v_mul_f64 v[22:23], v[34:35], v[44:45]
	;; [unrolled: 1-line block ×8, first 2 shown]
	v_add_f64 v[50:51], v[66:67], v[50:51]
	v_add_f64 v[54:55], v[54:55], v[62:63]
	v_add_f64 v[4:5], v[64:65], v[4:5]
	v_add_f64 v[6:7], v[6:7], v[68:69]
	v_add_f64 v[58:59], v[58:59], v[70:71]
	v_add_f64 v[12:13], v[12:13], v[60:61]
	v_add_f64 v[8:9], v[8:9], v[14:15]
	v_add_f64 v[60:61], v[16:17], v[20:21]
	v_fma_f64 v[14:15], v[34:35], v[42:43], -v[18:19]
	v_fma_f64 v[16:17], v[36:37], v[42:43], v[22:23]
	v_fma_f64 v[18:19], v[34:35], v[46:47], -v[52:53]
	v_fma_f64 v[34:35], v[36:37], v[46:47], v[56:57]
	;; [unrolled: 2-line block ×4, first 2 shown]
	v_add_f64 v[20:21], v[50:51], v[14:15]
	v_add_f64 v[22:23], v[16:17], v[54:55]
	;; [unrolled: 1-line block ×8, first 2 shown]
	s_cbranch_vccz .LBB562_17
.LBB562_7:                              ; =>This Inner Loop Header: Depth=1
	s_mov_b32 s21, s18
	s_mov_b32 s19, 0
	s_and_saveexec_b32 s20, s0
	s_cbranch_execnz .LBB562_15
; %bb.8:                                ;   in Loop: Header=BB562_7 Depth=1
	s_or_b32 exec_lo, exec_lo, s20
	s_and_saveexec_b32 s20, s21
	s_xor_b32 s20, exec_lo, s20
	s_cbranch_execnz .LBB562_16
.LBB562_9:                              ;   in Loop: Header=BB562_7 Depth=1
	s_or_b32 exec_lo, exec_lo, s20
	s_and_saveexec_b32 s20, s19
	s_cbranch_execz .LBB562_11
.LBB562_10:                             ;   in Loop: Header=BB562_7 Depth=1
	v_lshlrev_b64 v[4:5], 4, v[10:11]
	v_add_co_u32 v4, vcc_lo, v32, v4
	v_add_co_ci_u32_e64 v5, null, v33, v5, vcc_lo
	flat_load_dwordx4 v[34:37], v[4:5]
	s_waitcnt vmcnt(0) lgkmcnt(0)
	ds_write2_b64 v28, v[34:35], v[36:37] offset1:1
.LBB562_11:                             ;   in Loop: Header=BB562_7 Depth=1
	s_or_b32 exec_lo, exec_lo, s20
	v_add_nc_u32_e32 v2, s4, v24
	v_cmp_le_u64_e32 vcc_lo, s[12:13], v[2:3]
	s_or_b32 s19, vcc_lo, s1
	s_and_saveexec_b32 s20, s19
	s_xor_b32 s19, exec_lo, s20
	s_cbranch_execz .LBB562_13
; %bb.12:                               ;   in Loop: Header=BB562_7 Depth=1
	v_mov_b32_e32 v2, v3
	v_mov_b32_e32 v4, v3
	;; [unrolled: 1-line block ×3, first 2 shown]
	ds_write_b128 v29, v[2:5]
.LBB562_13:                             ;   in Loop: Header=BB562_7 Depth=1
	s_andn2_saveexec_b32 s19, s19
	s_cbranch_execz .LBB562_6
; %bb.14:                               ;   in Loop: Header=BB562_7 Depth=1
	v_mad_u64_u32 v[4:5], null, s26, v2, 0
	v_mad_u64_u32 v[34:35], null, s27, v2, v[5:6]
	v_mov_b32_e32 v5, v34
	v_lshlrev_b64 v[4:5], 4, v[4:5]
	v_add_co_u32 v4, vcc_lo, v30, v4
	v_add_co_ci_u32_e64 v5, null, v31, v5, vcc_lo
	flat_load_dwordx4 v[34:37], v[4:5]
	s_waitcnt vmcnt(0) lgkmcnt(0)
	ds_write2_b64 v29, v[34:35], v[36:37] offset1:1
	s_branch .LBB562_6
.LBB562_15:                             ;   in Loop: Header=BB562_7 Depth=1
	v_add_nc_u32_e32 v2, s4, v27
	v_mov_b32_e32 v11, v3
	s_andn2_b32 s21, s18, exec_lo
	s_mov_b32 s19, exec_lo
	v_cmp_le_u64_e32 vcc_lo, s[12:13], v[2:3]
	v_mov_b32_e32 v10, v2
	s_and_b32 s22, vcc_lo, exec_lo
	s_or_b32 s21, s21, s22
	s_or_b32 exec_lo, exec_lo, s20
	s_and_saveexec_b32 s20, s21
	s_xor_b32 s20, exec_lo, s20
	s_cbranch_execz .LBB562_9
.LBB562_16:                             ;   in Loop: Header=BB562_7 Depth=1
	v_mov_b32_e32 v2, v3
	v_mov_b32_e32 v4, v3
	;; [unrolled: 1-line block ×3, first 2 shown]
	s_andn2_b32 s19, s19, exec_lo
	ds_write_b128 v28, v[2:5]
	s_or_b32 exec_lo, exec_lo, s20
	s_and_saveexec_b32 s20, s19
	s_cbranch_execnz .LBB562_10
	s_branch .LBB562_11
.LBB562_17:
	v_add_nc_u32_e32 v25, s7, v1
	v_cmp_neq_f64_e64 s4, s[38:39], 0
	s_waitcnt lgkmcnt(0)
	s_lshl_b64 s[0:1], s[10:11], 4
	s_add_u32 s2, s2, s0
	v_ashrrev_i32_e32 v3, 31, v25
	v_mul_lo_u32 v4, s9, v25
	v_mad_u64_u32 v[1:2], null, s8, v25, 0
	s_addc_u32 s3, s3, s1
	v_mul_lo_u32 v3, s8, v3
	s_xor_b32 s5, s29, -1
	v_cmp_gt_i32_e64 s0, s28, v25
	v_add3_u32 v2, v2, v3, v4
	v_add_nc_u32_e32 v4, s6, v0
	s_or_b32 s4, s4, s5
	v_lshlrev_b64 v[0:1], 4, v[1:2]
	v_cmp_le_i32_e32 vcc_lo, v4, v25
	v_ashrrev_i32_e32 v5, 31, v4
	v_cndmask_b32_e64 v24, 0, 1, s4
	s_and_b32 s5, s0, vcc_lo
	v_add_co_u32 v26, s1, s2, v0
	v_add_co_ci_u32_e64 v27, null, s3, v1, s1
	s_and_saveexec_b32 s1, s5
	s_cbranch_execz .LBB562_21
; %bb.18:
	v_mul_f64 v[0:1], s[16:17], v[22:23]
	v_mul_f64 v[2:3], s[14:15], v[22:23]
	v_lshlrev_b64 v[10:11], 4, v[4:5]
	v_add_co_u32 v10, vcc_lo, v26, v10
	v_add_co_ci_u32_e64 v11, null, v27, v11, vcc_lo
	s_andn2_b32 vcc_lo, exec_lo, s4
	v_fma_f64 v[0:1], s[14:15], v[20:21], -v[0:1]
	v_fma_f64 v[2:3], s[16:17], v[20:21], v[2:3]
	s_cbranch_vccnz .LBB562_20
; %bb.19:
	flat_load_dwordx4 v[20:23], v[10:11]
	s_waitcnt vmcnt(0) lgkmcnt(0)
	v_mul_f64 v[28:29], s[40:41], v[22:23]
	v_mul_f64 v[22:23], s[38:39], v[22:23]
	v_fma_f64 v[28:29], s[38:39], v[20:21], -v[28:29]
	v_fma_f64 v[20:21], s[40:41], v[20:21], v[22:23]
	v_add_f64 v[0:1], v[0:1], v[28:29]
	v_add_f64 v[2:3], v[2:3], v[20:21]
.LBB562_20:
	flat_store_dwordx4 v[10:11], v[0:3]
.LBB562_21:
	s_or_b32 exec_lo, exec_lo, s1
	v_add_nc_u32_e32 v10, 16, v4
	v_cmp_le_i32_e32 vcc_lo, v10, v25
	v_ashrrev_i32_e32 v11, 31, v10
	s_and_b32 s0, s0, vcc_lo
	s_and_saveexec_b32 s1, s0
	s_cbranch_execz .LBB562_25
; %bb.22:
	v_mul_f64 v[0:1], s[16:17], v[18:19]
	v_mul_f64 v[2:3], s[14:15], v[18:19]
	v_cmp_ne_u32_e32 vcc_lo, 1, v24
	s_and_b32 vcc_lo, exec_lo, vcc_lo
	v_fma_f64 v[0:1], s[14:15], v[16:17], -v[0:1]
	v_fma_f64 v[2:3], s[16:17], v[16:17], v[2:3]
	v_lshlrev_b64 v[16:17], 4, v[10:11]
	v_add_co_u32 v16, s0, v26, v16
	v_add_co_ci_u32_e64 v17, null, v27, v17, s0
	s_cbranch_vccnz .LBB562_24
; %bb.23:
	flat_load_dwordx4 v[18:21], v[16:17]
	s_waitcnt vmcnt(0) lgkmcnt(0)
	v_mul_f64 v[22:23], s[40:41], v[20:21]
	v_mul_f64 v[20:21], s[38:39], v[20:21]
	v_fma_f64 v[22:23], s[38:39], v[18:19], -v[22:23]
	v_fma_f64 v[18:19], s[40:41], v[18:19], v[20:21]
	v_add_f64 v[0:1], v[0:1], v[22:23]
	v_add_f64 v[2:3], v[2:3], v[18:19]
.LBB562_24:
	flat_store_dwordx4 v[16:17], v[0:3]
.LBB562_25:
	s_or_b32 exec_lo, exec_lo, s1
	v_add_nc_u32_e32 v18, 16, v25
	v_ashrrev_i32_e32 v2, 31, v18
	v_mul_lo_u32 v3, s9, v18
	v_mad_u64_u32 v[0:1], null, s8, v18, 0
	v_cmp_gt_i32_e64 s0, s28, v18
	v_mul_lo_u32 v2, s8, v2
	v_cmp_le_i32_e32 vcc_lo, v4, v18
	v_add3_u32 v1, v1, v2, v3
	v_lshlrev_b64 v[0:1], 4, v[0:1]
	v_add_co_u32 v16, s1, s2, v0
	v_add_co_ci_u32_e64 v17, null, s3, v1, s1
	s_and_b32 s1, s0, vcc_lo
	s_and_saveexec_b32 s2, s1
	s_cbranch_execz .LBB562_29
; %bb.26:
	v_mul_f64 v[0:1], s[16:17], v[12:13]
	v_mul_f64 v[2:3], s[14:15], v[12:13]
	v_lshlrev_b64 v[4:5], 4, v[4:5]
	v_cmp_ne_u32_e32 vcc_lo, 1, v24
	s_and_b32 vcc_lo, exec_lo, vcc_lo
	v_add_co_u32 v4, s1, v16, v4
	v_add_co_ci_u32_e64 v5, null, v17, v5, s1
	v_fma_f64 v[0:1], s[14:15], v[14:15], -v[0:1]
	v_fma_f64 v[2:3], s[16:17], v[14:15], v[2:3]
	s_cbranch_vccnz .LBB562_28
; %bb.27:
	flat_load_dwordx4 v[12:15], v[4:5]
	s_waitcnt vmcnt(0) lgkmcnt(0)
	v_mul_f64 v[19:20], s[40:41], v[14:15]
	v_mul_f64 v[14:15], s[38:39], v[14:15]
	v_fma_f64 v[19:20], s[38:39], v[12:13], -v[19:20]
	v_fma_f64 v[12:13], s[40:41], v[12:13], v[14:15]
	v_add_f64 v[0:1], v[0:1], v[19:20]
	v_add_f64 v[2:3], v[2:3], v[12:13]
.LBB562_28:
	flat_store_dwordx4 v[4:5], v[0:3]
.LBB562_29:
	s_or_b32 exec_lo, exec_lo, s2
	v_cmp_le_i32_e32 vcc_lo, v10, v18
	s_and_b32 s0, s0, vcc_lo
	s_and_saveexec_b32 s1, s0
	s_cbranch_execz .LBB562_34
; %bb.30:
	v_mul_f64 v[0:1], s[16:17], v[6:7]
	v_mul_f64 v[2:3], s[14:15], v[6:7]
	v_lshlrev_b64 v[4:5], 4, v[10:11]
	v_cmp_ne_u32_e32 vcc_lo, 1, v24
	s_and_b32 vcc_lo, exec_lo, vcc_lo
	v_add_co_u32 v4, s0, v16, v4
	v_add_co_ci_u32_e64 v5, null, v17, v5, s0
	v_fma_f64 v[0:1], s[14:15], v[8:9], -v[0:1]
	v_fma_f64 v[2:3], s[16:17], v[8:9], v[2:3]
	s_cbranch_vccnz .LBB562_32
; %bb.31:
	flat_load_dwordx4 v[6:9], v[4:5]
	s_waitcnt vmcnt(0) lgkmcnt(0)
	v_mul_f64 v[10:11], s[40:41], v[8:9]
	v_mul_f64 v[8:9], s[38:39], v[8:9]
	v_fma_f64 v[10:11], s[38:39], v[6:7], -v[10:11]
	v_fma_f64 v[6:7], s[40:41], v[6:7], v[8:9]
	v_add_f64 v[0:1], v[0:1], v[10:11]
	v_add_f64 v[2:3], v[2:3], v[6:7]
.LBB562_32:
	flat_store_dwordx4 v[4:5], v[0:3]
	s_endpgm
.LBB562_33:
.LBB562_34:
	s_endpgm
	.section	.rodata,"a",@progbits
	.p2align	6, 0x0
	.amdhsa_kernel _ZL29rocblas_internal_gemmt_kernelIlLi16ELi32ELi8ELc84ELc84ELc85ELb0ELb0E19rocblas_complex_numIdES1_PKPKS1_PKPS1_EviT_T9_T10_S9_lSB_S9_lSA_T11_S9_li
		.amdhsa_group_segment_fixed_size 8192
		.amdhsa_private_segment_fixed_size 0
		.amdhsa_kernarg_size 124
		.amdhsa_user_sgpr_count 6
		.amdhsa_user_sgpr_private_segment_buffer 1
		.amdhsa_user_sgpr_dispatch_ptr 0
		.amdhsa_user_sgpr_queue_ptr 0
		.amdhsa_user_sgpr_kernarg_segment_ptr 1
		.amdhsa_user_sgpr_dispatch_id 0
		.amdhsa_user_sgpr_flat_scratch_init 0
		.amdhsa_user_sgpr_private_segment_size 0
		.amdhsa_wavefront_size32 1
		.amdhsa_uses_dynamic_stack 0
		.amdhsa_system_sgpr_private_segment_wavefront_offset 0
		.amdhsa_system_sgpr_workgroup_id_x 1
		.amdhsa_system_sgpr_workgroup_id_y 1
		.amdhsa_system_sgpr_workgroup_id_z 1
		.amdhsa_system_sgpr_workgroup_info 0
		.amdhsa_system_vgpr_workitem_id 1
		.amdhsa_next_free_vgpr 142
		.amdhsa_next_free_sgpr 44
		.amdhsa_reserve_vcc 1
		.amdhsa_reserve_flat_scratch 0
		.amdhsa_float_round_mode_32 0
		.amdhsa_float_round_mode_16_64 0
		.amdhsa_float_denorm_mode_32 3
		.amdhsa_float_denorm_mode_16_64 3
		.amdhsa_dx10_clamp 1
		.amdhsa_ieee_mode 1
		.amdhsa_fp16_overflow 0
		.amdhsa_workgroup_processor_mode 1
		.amdhsa_memory_ordered 1
		.amdhsa_forward_progress 1
		.amdhsa_shared_vgpr_count 0
		.amdhsa_exception_fp_ieee_invalid_op 0
		.amdhsa_exception_fp_denorm_src 0
		.amdhsa_exception_fp_ieee_div_zero 0
		.amdhsa_exception_fp_ieee_overflow 0
		.amdhsa_exception_fp_ieee_underflow 0
		.amdhsa_exception_fp_ieee_inexact 0
		.amdhsa_exception_int_div_zero 0
	.end_amdhsa_kernel
	.section	.text._ZL29rocblas_internal_gemmt_kernelIlLi16ELi32ELi8ELc84ELc84ELc85ELb0ELb0E19rocblas_complex_numIdES1_PKPKS1_PKPS1_EviT_T9_T10_S9_lSB_S9_lSA_T11_S9_li,"axG",@progbits,_ZL29rocblas_internal_gemmt_kernelIlLi16ELi32ELi8ELc84ELc84ELc85ELb0ELb0E19rocblas_complex_numIdES1_PKPKS1_PKPS1_EviT_T9_T10_S9_lSB_S9_lSA_T11_S9_li,comdat
.Lfunc_end562:
	.size	_ZL29rocblas_internal_gemmt_kernelIlLi16ELi32ELi8ELc84ELc84ELc85ELb0ELb0E19rocblas_complex_numIdES1_PKPKS1_PKPS1_EviT_T9_T10_S9_lSB_S9_lSA_T11_S9_li, .Lfunc_end562-_ZL29rocblas_internal_gemmt_kernelIlLi16ELi32ELi8ELc84ELc84ELc85ELb0ELb0E19rocblas_complex_numIdES1_PKPKS1_PKPS1_EviT_T9_T10_S9_lSB_S9_lSA_T11_S9_li
                                        ; -- End function
	.set _ZL29rocblas_internal_gemmt_kernelIlLi16ELi32ELi8ELc84ELc84ELc85ELb0ELb0E19rocblas_complex_numIdES1_PKPKS1_PKPS1_EviT_T9_T10_S9_lSB_S9_lSA_T11_S9_li.num_vgpr, 142
	.set _ZL29rocblas_internal_gemmt_kernelIlLi16ELi32ELi8ELc84ELc84ELc85ELb0ELb0E19rocblas_complex_numIdES1_PKPKS1_PKPS1_EviT_T9_T10_S9_lSB_S9_lSA_T11_S9_li.num_agpr, 0
	.set _ZL29rocblas_internal_gemmt_kernelIlLi16ELi32ELi8ELc84ELc84ELc85ELb0ELb0E19rocblas_complex_numIdES1_PKPKS1_PKPS1_EviT_T9_T10_S9_lSB_S9_lSA_T11_S9_li.numbered_sgpr, 44
	.set _ZL29rocblas_internal_gemmt_kernelIlLi16ELi32ELi8ELc84ELc84ELc85ELb0ELb0E19rocblas_complex_numIdES1_PKPKS1_PKPS1_EviT_T9_T10_S9_lSB_S9_lSA_T11_S9_li.num_named_barrier, 0
	.set _ZL29rocblas_internal_gemmt_kernelIlLi16ELi32ELi8ELc84ELc84ELc85ELb0ELb0E19rocblas_complex_numIdES1_PKPKS1_PKPS1_EviT_T9_T10_S9_lSB_S9_lSA_T11_S9_li.private_seg_size, 0
	.set _ZL29rocblas_internal_gemmt_kernelIlLi16ELi32ELi8ELc84ELc84ELc85ELb0ELb0E19rocblas_complex_numIdES1_PKPKS1_PKPS1_EviT_T9_T10_S9_lSB_S9_lSA_T11_S9_li.uses_vcc, 1
	.set _ZL29rocblas_internal_gemmt_kernelIlLi16ELi32ELi8ELc84ELc84ELc85ELb0ELb0E19rocblas_complex_numIdES1_PKPKS1_PKPS1_EviT_T9_T10_S9_lSB_S9_lSA_T11_S9_li.uses_flat_scratch, 0
	.set _ZL29rocblas_internal_gemmt_kernelIlLi16ELi32ELi8ELc84ELc84ELc85ELb0ELb0E19rocblas_complex_numIdES1_PKPKS1_PKPS1_EviT_T9_T10_S9_lSB_S9_lSA_T11_S9_li.has_dyn_sized_stack, 0
	.set _ZL29rocblas_internal_gemmt_kernelIlLi16ELi32ELi8ELc84ELc84ELc85ELb0ELb0E19rocblas_complex_numIdES1_PKPKS1_PKPS1_EviT_T9_T10_S9_lSB_S9_lSA_T11_S9_li.has_recursion, 0
	.set _ZL29rocblas_internal_gemmt_kernelIlLi16ELi32ELi8ELc84ELc84ELc85ELb0ELb0E19rocblas_complex_numIdES1_PKPKS1_PKPS1_EviT_T9_T10_S9_lSB_S9_lSA_T11_S9_li.has_indirect_call, 0
	.section	.AMDGPU.csdata,"",@progbits
; Kernel info:
; codeLenInByte = 3616
; TotalNumSgprs: 46
; NumVgprs: 142
; ScratchSize: 0
; MemoryBound: 0
; FloatMode: 240
; IeeeMode: 1
; LDSByteSize: 8192 bytes/workgroup (compile time only)
; SGPRBlocks: 0
; VGPRBlocks: 17
; NumSGPRsForWavesPerEU: 46
; NumVGPRsForWavesPerEU: 142
; Occupancy: 7
; WaveLimiterHint : 1
; COMPUTE_PGM_RSRC2:SCRATCH_EN: 0
; COMPUTE_PGM_RSRC2:USER_SGPR: 6
; COMPUTE_PGM_RSRC2:TRAP_HANDLER: 0
; COMPUTE_PGM_RSRC2:TGID_X_EN: 1
; COMPUTE_PGM_RSRC2:TGID_Y_EN: 1
; COMPUTE_PGM_RSRC2:TGID_Z_EN: 1
; COMPUTE_PGM_RSRC2:TIDIG_COMP_CNT: 1
	.section	.text._ZL29rocblas_internal_gemmt_kernelIlLi16ELi32ELi8ELc84ELc67ELc85ELb0ELb1E19rocblas_complex_numIdES1_PKPKS1_PKPS1_EviT_T9_T10_S9_lSB_S9_lSA_T11_S9_li,"axG",@progbits,_ZL29rocblas_internal_gemmt_kernelIlLi16ELi32ELi8ELc84ELc67ELc85ELb0ELb1E19rocblas_complex_numIdES1_PKPKS1_PKPS1_EviT_T9_T10_S9_lSB_S9_lSA_T11_S9_li,comdat
	.globl	_ZL29rocblas_internal_gemmt_kernelIlLi16ELi32ELi8ELc84ELc67ELc85ELb0ELb1E19rocblas_complex_numIdES1_PKPKS1_PKPS1_EviT_T9_T10_S9_lSB_S9_lSA_T11_S9_li ; -- Begin function _ZL29rocblas_internal_gemmt_kernelIlLi16ELi32ELi8ELc84ELc67ELc85ELb0ELb1E19rocblas_complex_numIdES1_PKPKS1_PKPS1_EviT_T9_T10_S9_lSB_S9_lSA_T11_S9_li
	.p2align	8
	.type	_ZL29rocblas_internal_gemmt_kernelIlLi16ELi32ELi8ELc84ELc67ELc85ELb0ELb1E19rocblas_complex_numIdES1_PKPKS1_PKPS1_EviT_T9_T10_S9_lSB_S9_lSA_T11_S9_li,@function
_ZL29rocblas_internal_gemmt_kernelIlLi16ELi32ELi8ELc84ELc67ELc85ELb0ELb1E19rocblas_complex_numIdES1_PKPKS1_PKPS1_EviT_T9_T10_S9_lSB_S9_lSA_T11_S9_li: ; @_ZL29rocblas_internal_gemmt_kernelIlLi16ELi32ELi8ELc84ELc67ELc85ELb0ELb1E19rocblas_complex_numIdES1_PKPKS1_PKPS1_EviT_T9_T10_S9_lSB_S9_lSA_T11_S9_li
; %bb.0:
	s_clause 0x1
	s_load_dwordx8 s[36:43], s[4:5], 0x48
	s_load_dwordx16 s[12:27], s[4:5], 0x8
	s_waitcnt lgkmcnt(0)
	v_cmp_eq_f64_e64 s0, s[38:39], 1.0
	v_cmp_eq_f64_e64 s29, s[40:41], 0
	s_and_b32 s0, s0, s29
	s_andn2_b32 vcc_lo, exec_lo, s0
	s_mov_b32 s0, -1
	s_cbranch_vccnz .LBB563_3
; %bb.1:
	s_cmp_lg_u64 s[12:13], 0
	s_cbranch_scc0 .LBB563_31
; %bb.2:
	v_cmp_neq_f64_e64 s0, s[14:15], 0
	v_cmp_neq_f64_e64 s1, s[16:17], 0
	s_or_b32 s0, s0, s1
.LBB563_3:
	s_and_b32 vcc_lo, exec_lo, s0
	s_cbranch_vccz .LBB563_32
; %bb.4:
	v_cmp_eq_f64_e64 s30, s[14:15], 0
	v_cmp_eq_f64_e64 s31, s[16:17], 0
	s_mov_b32 s9, 0
	v_mov_b32_e32 v22, 0
	s_lshl_b64 s[0:1], s[8:9], 3
	v_mov_b32_e32 v24, 0
	s_add_u32 s2, s42, s0
	s_addc_u32 s3, s43, s1
	s_clause 0x1
	s_load_dwordx4 s[8:11], s[4:5], 0x68
	s_load_dword s28, s[4:5], 0x0
	s_load_dwordx2 s[2:3], s[2:3], 0x0
	v_cmp_lt_i64_e64 s4, s[12:13], 1
	v_mov_b32_e32 v18, 0
	v_mov_b32_e32 v20, 0
	;; [unrolled: 1-line block ×13, first 2 shown]
	s_and_b32 s5, s30, s31
	v_mov_b32_e32 v11, 0
	s_or_b32 s4, s5, s4
	s_lshl_b32 s6, s6, 5
	s_and_b32 vcc_lo, exec_lo, s4
	s_lshl_b32 s7, s7, 5
	s_cbranch_vccnz .LBB563_15
; %bb.5:
	s_add_u32 s4, s24, s0
	s_addc_u32 s5, s25, s1
	s_lshl_b64 s[24:25], s[36:37], 4
	s_load_dwordx2 s[4:5], s[4:5], 0x0
	v_lshl_add_u32 v2, v1, 4, v0
	v_and_b32_e32 v26, 7, v0
	v_mov_b32_e32 v10, 0
	v_mov_b32_e32 v12, 0
	;; [unrolled: 1-line block ×3, first 2 shown]
	v_and_b32_e32 v3, 31, v2
	v_lshrrev_b32_e32 v4, 3, v2
	v_lshlrev_b32_e32 v5, 4, v26
	v_lshrrev_b32_e32 v29, 5, v2
	v_mov_b32_e32 v14, 0
	v_or_b32_e32 v6, s6, v3
	v_add_nc_u32_e32 v2, s7, v4
	v_lshl_or_b32 v9, v4, 7, v5
	v_lshlrev_b32_e32 v8, 4, v3
	v_mov_b32_e32 v20, 0
	v_mul_lo_u32 v7, s21, v6
	v_mad_u64_u32 v[4:5], null, s20, v6, 0
	v_ashrrev_i32_e32 v3, 31, v2
	s_waitcnt lgkmcnt(0)
	s_add_u32 s24, s4, s24
	s_addc_u32 s25, s5, s25
	s_add_u32 s0, s18, s0
	s_addc_u32 s1, s19, s1
	s_lshl_b64 s[4:5], s[22:23], 4
	s_load_dwordx2 s[0:1], s[0:1], 0x0
	v_cmp_le_i32_e64 s18, s28, v6
	v_mov_b32_e32 v18, 0
	v_mov_b32_e32 v24, 0
	;; [unrolled: 1-line block ×3, first 2 shown]
	v_lshlrev_b32_e32 v27, 4, v0
	v_lshl_add_u32 v28, v1, 7, 0x1000
	v_mov_b32_e32 v11, 0
	v_mov_b32_e32 v13, 0
	v_mov_b32_e32 v17, 0
	v_mov_b32_e32 v15, 0
	v_mov_b32_e32 v21, 0
	v_mov_b32_e32 v19, 0
	v_mov_b32_e32 v25, 0
	v_mov_b32_e32 v23, 0
	v_lshl_or_b32 v30, v29, 9, v8
	v_add_nc_u32_e32 v31, 0x1000, v9
                                        ; implicit-def: $vgpr8_vgpr9
	s_waitcnt lgkmcnt(0)
	s_add_u32 s4, s0, s4
	s_addc_u32 s5, s1, s5
	s_ashr_i32 s1, s6, 31
	v_cmp_gt_i32_e64 s0, s28, v6
	s_mul_i32 s1, s20, s1
	v_add3_u32 v5, v5, s1, v7
	v_lshlrev_b64 v[6:7], 4, v[2:3]
	v_cmp_gt_i32_e64 s1, s28, v2
	v_lshlrev_b64 v[2:3], 4, v[4:5]
	v_add_co_u32 v32, vcc_lo, s24, v6
	v_add_co_ci_u32_e64 v33, null, s25, v7, vcc_lo
	v_add_co_u32 v34, vcc_lo, s4, v2
	v_add_co_ci_u32_e64 v35, null, s5, v3, vcc_lo
	v_mov_b32_e32 v3, 0
	s_mov_b64 s[4:5], 0
	s_branch .LBB563_7
.LBB563_6:                              ;   in Loop: Header=BB563_7 Depth=1
	s_or_b32 exec_lo, exec_lo, s19
	ds_write_b128 v31, v[4:7]
	s_waitcnt lgkmcnt(0)
	s_barrier
	buffer_gl0_inv
	ds_read_b128 v[4:7], v28
	ds_read_b128 v[36:39], v27
	ds_read_b128 v[40:43], v27 offset:256
	ds_read_b128 v[44:47], v28 offset:2048
	;; [unrolled: 1-line block ×11, first 2 shown]
	s_add_u32 s4, s4, 8
	s_addc_u32 s5, s5, 0
	v_cmp_gt_i64_e64 s19, s[12:13], s[4:5]
	s_waitcnt lgkmcnt(11)
	v_mul_f64 v[84:85], v[6:7], v[38:39]
	v_mul_f64 v[86:87], v[4:5], v[38:39]
	s_waitcnt lgkmcnt(10)
	v_mul_f64 v[88:89], v[6:7], v[42:43]
	v_mul_f64 v[90:91], v[4:5], v[42:43]
	;; [unrolled: 3-line block ×3, first 2 shown]
	v_mul_f64 v[94:95], v[46:47], v[42:43]
	v_mul_f64 v[42:43], v[44:45], v[42:43]
	s_waitcnt lgkmcnt(7)
	v_mul_f64 v[96:97], v[50:51], v[54:55]
	v_mul_f64 v[98:99], v[48:49], v[54:55]
	s_waitcnt lgkmcnt(6)
	v_mul_f64 v[100:101], v[50:51], v[58:59]
	s_waitcnt lgkmcnt(5)
	v_mul_f64 v[104:105], v[62:63], v[54:55]
	v_mul_f64 v[54:55], v[60:61], v[54:55]
	;; [unrolled: 1-line block ×5, first 2 shown]
	s_waitcnt lgkmcnt(3)
	v_mul_f64 v[108:109], v[70:71], v[66:67]
	v_mul_f64 v[110:111], v[68:69], v[66:67]
	s_and_b32 vcc_lo, exec_lo, s19
	v_fma_f64 v[84:85], v[4:5], v[36:37], -v[84:85]
	v_fma_f64 v[86:87], v[6:7], v[36:37], v[86:87]
	v_fma_f64 v[88:89], v[4:5], v[40:41], -v[88:89]
	v_fma_f64 v[90:91], v[6:7], v[40:41], v[90:91]
	;; [unrolled: 2-line block ×3, first 2 shown]
	v_fma_f64 v[94:95], v[44:45], v[40:41], -v[94:95]
	ds_read_b128 v[4:7], v27 offset:1536
	s_waitcnt lgkmcnt(3)
	v_mul_f64 v[112:113], v[70:71], v[74:75]
	v_mul_f64 v[114:115], v[68:69], v[74:75]
	v_fma_f64 v[118:119], v[46:47], v[40:41], v[42:43]
	v_fma_f64 v[96:97], v[48:49], v[52:53], -v[96:97]
	v_fma_f64 v[98:99], v[50:51], v[52:53], v[98:99]
	v_fma_f64 v[48:49], v[48:49], v[56:57], -v[100:101]
	s_waitcnt lgkmcnt(2)
	v_mul_f64 v[44:45], v[78:79], v[66:67]
	v_fma_f64 v[100:101], v[60:61], v[52:53], -v[104:105]
	v_fma_f64 v[52:53], v[62:63], v[52:53], v[54:55]
	v_mul_f64 v[46:47], v[76:77], v[66:67]
	v_mul_f64 v[54:55], v[78:79], v[74:75]
	;; [unrolled: 1-line block ×3, first 2 shown]
	v_fma_f64 v[50:51], v[50:51], v[56:57], v[102:103]
	v_fma_f64 v[60:61], v[60:61], v[56:57], -v[106:107]
	v_fma_f64 v[56:57], v[62:63], v[56:57], v[58:59]
	v_fma_f64 v[58:59], v[68:69], v[64:65], -v[108:109]
	v_fma_f64 v[62:63], v[70:71], v[64:65], v[110:111]
	v_add_f64 v[84:85], v[22:23], v[84:85]
	v_add_f64 v[86:87], v[86:87], v[24:25]
	v_add_f64 v[88:89], v[18:19], v[88:89]
	v_add_f64 v[90:91], v[90:91], v[20:21]
	v_add_f64 v[92:93], v[14:15], v[92:93]
	v_fma_f64 v[68:69], v[68:69], v[72:73], -v[112:113]
	v_fma_f64 v[70:71], v[70:71], v[72:73], v[114:115]
	v_add_f64 v[106:107], v[116:117], v[16:17]
	ds_read_b128 v[36:39], v27 offset:1792
	ds_read_b128 v[40:43], v28 offset:2096
	s_waitcnt lgkmcnt(2)
	v_mul_f64 v[74:75], v[82:83], v[6:7]
	v_mul_f64 v[102:103], v[80:81], v[6:7]
	v_fma_f64 v[110:111], v[76:77], v[64:65], -v[44:45]
	ds_read_b128 v[14:17], v28 offset:64
	v_fma_f64 v[64:65], v[78:79], v[64:65], v[46:47]
	v_fma_f64 v[76:77], v[76:77], v[72:73], -v[54:55]
	v_fma_f64 v[66:67], v[78:79], v[72:73], v[66:67]
	v_add_f64 v[54:55], v[12:13], v[94:95]
	v_add_f64 v[72:73], v[118:119], v[10:11]
	ds_read_b128 v[18:21], v27 offset:2048
	ds_read_b128 v[22:25], v27 offset:2304
	;; [unrolled: 1-line block ×4, first 2 shown]
	v_add_f64 v[84:85], v[84:85], v[96:97]
	v_add_f64 v[86:87], v[98:99], v[86:87]
	;; [unrolled: 1-line block ×5, first 2 shown]
	s_waitcnt lgkmcnt(6)
	v_mul_f64 v[104:105], v[82:83], v[38:39]
	v_mul_f64 v[108:109], v[80:81], v[38:39]
	s_waitcnt lgkmcnt(5)
	v_mul_f64 v[112:113], v[42:43], v[6:7]
	v_mul_f64 v[6:7], v[40:41], v[6:7]
	v_add_f64 v[52:53], v[52:53], v[106:107]
	v_mul_f64 v[94:95], v[42:43], v[38:39]
	v_mul_f64 v[38:39], v[40:41], v[38:39]
	v_fma_f64 v[74:75], v[80:81], v[4:5], -v[74:75]
	v_fma_f64 v[78:79], v[82:83], v[4:5], v[102:103]
	ds_read_b128 v[48:51], v28 offset:2128
	s_waitcnt lgkmcnt(4)
	v_mul_f64 v[100:101], v[16:17], v[20:21]
	v_mul_f64 v[102:103], v[14:15], v[20:21]
	v_add_f64 v[60:61], v[54:55], v[60:61]
	v_add_f64 v[56:57], v[56:57], v[72:73]
	s_waitcnt lgkmcnt(3)
	v_mul_f64 v[106:107], v[14:15], v[24:25]
	s_waitcnt lgkmcnt(2)
	v_mul_f64 v[72:73], v[46:47], v[20:21]
	v_mul_f64 v[20:21], v[44:45], v[20:21]
	v_add_f64 v[58:59], v[84:85], v[58:59]
	v_add_f64 v[62:63], v[62:63], v[86:87]
	v_add_f64 v[68:69], v[88:89], v[68:69]
	v_add_f64 v[70:71], v[70:71], v[90:91]
	v_add_f64 v[84:85], v[92:93], v[110:111]
	v_fma_f64 v[80:81], v[80:81], v[36:37], -v[104:105]
	v_fma_f64 v[82:83], v[82:83], v[36:37], v[108:109]
	v_fma_f64 v[96:97], v[40:41], v[4:5], -v[112:113]
	v_fma_f64 v[98:99], v[42:43], v[4:5], v[6:7]
	v_mul_f64 v[104:105], v[16:17], v[24:25]
	v_add_f64 v[64:65], v[64:65], v[52:53]
	v_mul_f64 v[86:87], v[46:47], v[24:25]
	v_mul_f64 v[24:25], v[44:45], v[24:25]
	v_fma_f64 v[40:41], v[40:41], v[36:37], -v[94:95]
	v_fma_f64 v[42:43], v[42:43], v[36:37], v[38:39]
	ds_read_b128 v[4:7], v28 offset:80
	ds_read_b128 v[52:55], v27 offset:2816
	v_add_f64 v[60:61], v[60:61], v[76:77]
	v_add_f64 v[56:57], v[66:67], v[56:57]
	v_fma_f64 v[90:91], v[14:15], v[18:19], -v[100:101]
	v_fma_f64 v[92:93], v[16:17], v[18:19], v[102:103]
	v_fma_f64 v[100:101], v[16:17], v[22:23], v[106:107]
	v_fma_f64 v[66:67], v[44:45], v[18:19], -v[72:73]
	v_add_f64 v[58:59], v[58:59], v[74:75]
	v_add_f64 v[62:63], v[78:79], v[62:63]
	v_fma_f64 v[72:73], v[46:47], v[18:19], v[20:21]
	v_add_f64 v[68:69], v[68:69], v[80:81]
	v_add_f64 v[70:71], v[82:83], v[70:71]
	;; [unrolled: 1-line block ×3, first 2 shown]
	s_waitcnt lgkmcnt(2)
	v_mul_f64 v[82:83], v[50:51], v[12:13]
	v_fma_f64 v[94:95], v[14:15], v[22:23], -v[104:105]
	v_add_f64 v[64:65], v[98:99], v[64:65]
	v_fma_f64 v[44:45], v[44:45], v[22:23], -v[86:87]
	v_fma_f64 v[46:47], v[46:47], v[22:23], v[24:25]
	s_waitcnt lgkmcnt(1)
	v_mul_f64 v[88:89], v[6:7], v[12:13]
	v_mul_f64 v[76:77], v[4:5], v[12:13]
	s_waitcnt lgkmcnt(0)
	v_mul_f64 v[78:79], v[6:7], v[54:55]
	v_mul_f64 v[80:81], v[4:5], v[54:55]
	;; [unrolled: 1-line block ×5, first 2 shown]
	v_add_f64 v[40:41], v[60:61], v[40:41]
	v_add_f64 v[42:43], v[42:43], v[56:57]
	ds_read_b128 v[14:17], v28 offset:96
	ds_read_b128 v[18:21], v27 offset:3072
	;; [unrolled: 1-line block ×4, first 2 shown]
	v_add_f64 v[56:57], v[58:59], v[90:91]
	v_add_f64 v[58:59], v[92:93], v[62:63]
	;; [unrolled: 1-line block ×3, first 2 shown]
	v_fma_f64 v[82:83], v[48:49], v[10:11], -v[82:83]
	v_add_f64 v[62:63], v[68:69], v[94:95]
	v_add_f64 v[68:69], v[100:101], v[70:71]
	;; [unrolled: 1-line block ×3, first 2 shown]
	v_fma_f64 v[60:61], v[4:5], v[10:11], -v[88:89]
	v_fma_f64 v[70:71], v[6:7], v[10:11], v[76:77]
	v_fma_f64 v[72:73], v[4:5], v[52:53], -v[78:79]
	v_fma_f64 v[74:75], v[6:7], v[52:53], v[80:81]
	ds_read_b128 v[4:7], v28 offset:112
	v_fma_f64 v[88:89], v[50:51], v[10:11], v[12:13]
	s_waitcnt lgkmcnt(3)
	v_mul_f64 v[76:77], v[16:17], v[20:21]
	v_mul_f64 v[78:79], v[14:15], v[20:21]
	s_waitcnt lgkmcnt(2)
	v_mul_f64 v[80:81], v[16:17], v[38:39]
	v_mul_f64 v[86:87], v[14:15], v[38:39]
	v_fma_f64 v[48:49], v[48:49], v[52:53], -v[84:85]
	v_fma_f64 v[50:51], v[50:51], v[52:53], v[54:55]
	v_add_f64 v[52:53], v[40:41], v[44:45]
	v_add_f64 v[46:47], v[46:47], v[42:43]
	s_waitcnt lgkmcnt(1)
	v_mul_f64 v[54:55], v[24:25], v[20:21]
	v_mul_f64 v[20:21], v[22:23], v[20:21]
	;; [unrolled: 1-line block ×4, first 2 shown]
	ds_read_b128 v[10:13], v28 offset:2160
	ds_read_b128 v[38:41], v27 offset:3584
	ds_read_b128 v[42:45], v27 offset:3840
	v_add_f64 v[66:67], v[66:67], v[82:83]
	s_waitcnt lgkmcnt(0)
	v_add_f64 v[56:57], v[56:57], v[60:61]
	v_add_f64 v[58:59], v[70:71], v[58:59]
	;; [unrolled: 1-line block ×4, first 2 shown]
	s_barrier
	v_add_f64 v[64:65], v[88:89], v[64:65]
	v_fma_f64 v[60:61], v[14:15], v[18:19], -v[76:77]
	v_fma_f64 v[70:71], v[16:17], v[18:19], v[78:79]
	v_fma_f64 v[14:15], v[14:15], v[36:37], -v[80:81]
	v_fma_f64 v[16:17], v[16:17], v[36:37], v[86:87]
	buffer_gl0_inv
	v_add_f64 v[48:49], v[52:53], v[48:49]
	v_add_f64 v[46:47], v[50:51], v[46:47]
	v_fma_f64 v[50:51], v[22:23], v[18:19], -v[54:55]
	v_fma_f64 v[18:19], v[24:25], v[18:19], v[20:21]
	v_fma_f64 v[20:21], v[22:23], v[36:37], -v[84:85]
	v_fma_f64 v[22:23], v[24:25], v[36:37], v[90:91]
	v_mul_f64 v[24:25], v[6:7], v[40:41]
	v_mul_f64 v[36:37], v[4:5], v[40:41]
	;; [unrolled: 1-line block ×8, first 2 shown]
	v_add_f64 v[56:57], v[56:57], v[60:61]
	v_add_f64 v[58:59], v[70:71], v[58:59]
	;; [unrolled: 1-line block ×8, first 2 shown]
	v_fma_f64 v[18:19], v[4:5], v[38:39], -v[24:25]
	v_fma_f64 v[20:21], v[6:7], v[38:39], v[36:37]
	v_fma_f64 v[4:5], v[4:5], v[42:43], -v[52:53]
	v_fma_f64 v[6:7], v[6:7], v[42:43], v[54:55]
	;; [unrolled: 2-line block ×4, first 2 shown]
	v_add_f64 v[22:23], v[56:57], v[18:19]
	v_add_f64 v[24:25], v[20:21], v[58:59]
	v_add_f64 v[18:19], v[14:15], v[4:5]
	v_add_f64 v[20:21], v[6:7], v[16:17]
	v_add_f64 v[14:15], v[50:51], v[36:37]
	v_add_f64 v[16:17], v[38:39], v[60:61]
	v_add_f64 v[12:13], v[48:49], v[10:11]
	v_add_f64 v[10:11], v[40:41], v[46:47]
	s_cbranch_vccz .LBB563_15
.LBB563_7:                              ; =>This Inner Loop Header: Depth=1
	s_mov_b32 s21, s18
	s_mov_b32 s19, 0
	s_and_saveexec_b32 s20, s0
	s_cbranch_execnz .LBB563_13
; %bb.8:                                ;   in Loop: Header=BB563_7 Depth=1
	s_or_b32 exec_lo, exec_lo, s20
	s_and_saveexec_b32 s20, s21
	s_xor_b32 s20, exec_lo, s20
	s_cbranch_execnz .LBB563_14
.LBB563_9:                              ;   in Loop: Header=BB563_7 Depth=1
	s_or_b32 exec_lo, exec_lo, s20
	s_and_saveexec_b32 s20, s19
	s_cbranch_execz .LBB563_11
.LBB563_10:                             ;   in Loop: Header=BB563_7 Depth=1
	v_lshlrev_b64 v[4:5], 4, v[8:9]
	v_add_co_u32 v4, vcc_lo, v34, v4
	v_add_co_ci_u32_e64 v5, null, v35, v5, vcc_lo
	flat_load_dwordx4 v[4:7], v[4:5]
	s_waitcnt vmcnt(0) lgkmcnt(0)
	ds_write2_b64 v30, v[4:5], v[6:7] offset1:1
.LBB563_11:                             ;   in Loop: Header=BB563_7 Depth=1
	s_or_b32 exec_lo, exec_lo, s20
	v_add_nc_u32_e32 v2, s4, v26
	v_mov_b32_e32 v4, 0
	v_mov_b32_e32 v6, 0
	;; [unrolled: 1-line block ×4, first 2 shown]
	v_cmp_gt_u64_e32 vcc_lo, s[12:13], v[2:3]
	s_and_b32 s20, vcc_lo, s1
	s_and_saveexec_b32 s19, s20
	s_cbranch_execz .LBB563_6
; %bb.12:                               ;   in Loop: Header=BB563_7 Depth=1
	v_mad_u64_u32 v[4:5], null, s26, v2, 0
	v_mad_u64_u32 v[5:6], null, s27, v2, v[5:6]
	v_lshlrev_b64 v[4:5], 4, v[4:5]
	v_add_co_u32 v4, vcc_lo, v32, v4
	v_add_co_ci_u32_e64 v5, null, v33, v5, vcc_lo
	flat_load_dwordx4 v[4:7], v[4:5]
	s_waitcnt vmcnt(0) lgkmcnt(0)
	v_xor_b32_e32 v7, 0x80000000, v7
	s_branch .LBB563_6
.LBB563_13:                             ;   in Loop: Header=BB563_7 Depth=1
	v_add_nc_u32_e32 v2, s4, v29
	v_mov_b32_e32 v9, v3
	s_andn2_b32 s21, s18, exec_lo
	s_mov_b32 s19, exec_lo
	v_cmp_le_u64_e32 vcc_lo, s[12:13], v[2:3]
	v_mov_b32_e32 v8, v2
	s_and_b32 s22, vcc_lo, exec_lo
	s_or_b32 s21, s21, s22
	s_or_b32 exec_lo, exec_lo, s20
	s_and_saveexec_b32 s20, s21
	s_xor_b32 s20, exec_lo, s20
	s_cbranch_execz .LBB563_9
.LBB563_14:                             ;   in Loop: Header=BB563_7 Depth=1
	v_mov_b32_e32 v2, v3
	v_mov_b32_e32 v4, v3
	;; [unrolled: 1-line block ×3, first 2 shown]
	s_andn2_b32 s19, s19, exec_lo
	ds_write_b128 v30, v[2:5]
	s_or_b32 exec_lo, exec_lo, s20
	s_and_saveexec_b32 s20, s19
	s_cbranch_execnz .LBB563_10
	s_branch .LBB563_11
.LBB563_15:
	v_add_nc_u32_e32 v27, s7, v1
	v_cmp_neq_f64_e64 s4, s[38:39], 0
	s_waitcnt lgkmcnt(0)
	s_lshl_b64 s[0:1], s[10:11], 4
	s_add_u32 s2, s2, s0
	v_ashrrev_i32_e32 v3, 31, v27
	v_mul_lo_u32 v4, s9, v27
	v_mad_u64_u32 v[1:2], null, s8, v27, 0
	s_addc_u32 s3, s3, s1
	v_mul_lo_u32 v3, s8, v3
	s_xor_b32 s5, s29, -1
	v_cmp_gt_i32_e64 s0, s28, v27
	v_add3_u32 v2, v2, v3, v4
	v_add_nc_u32_e32 v4, s6, v0
	s_or_b32 s4, s4, s5
	v_lshlrev_b64 v[0:1], 4, v[1:2]
	v_cmp_le_i32_e32 vcc_lo, v4, v27
	v_ashrrev_i32_e32 v5, 31, v4
	v_cndmask_b32_e64 v26, 0, 1, s4
	s_and_b32 s5, s0, vcc_lo
	v_add_co_u32 v8, s1, s2, v0
	v_add_co_ci_u32_e64 v9, null, s3, v1, s1
	s_and_saveexec_b32 s1, s5
	s_cbranch_execz .LBB563_19
; %bb.16:
	v_mul_f64 v[0:1], s[16:17], v[24:25]
	v_mul_f64 v[2:3], s[14:15], v[24:25]
	v_lshlrev_b64 v[6:7], 4, v[4:5]
	v_add_co_u32 v6, vcc_lo, v8, v6
	v_add_co_ci_u32_e64 v7, null, v9, v7, vcc_lo
	s_andn2_b32 vcc_lo, exec_lo, s4
	v_fma_f64 v[0:1], s[14:15], v[22:23], -v[0:1]
	v_fma_f64 v[2:3], s[16:17], v[22:23], v[2:3]
	s_cbranch_vccnz .LBB563_18
; %bb.17:
	flat_load_dwordx4 v[22:25], v[6:7]
	s_waitcnt vmcnt(0) lgkmcnt(0)
	v_mul_f64 v[28:29], s[40:41], v[24:25]
	v_mul_f64 v[24:25], s[38:39], v[24:25]
	v_fma_f64 v[28:29], s[38:39], v[22:23], -v[28:29]
	v_fma_f64 v[22:23], s[40:41], v[22:23], v[24:25]
	v_add_f64 v[0:1], v[0:1], v[28:29]
	v_add_f64 v[2:3], v[2:3], v[22:23]
.LBB563_18:
	flat_store_dwordx4 v[6:7], v[0:3]
.LBB563_19:
	s_or_b32 exec_lo, exec_lo, s1
	v_add_nc_u32_e32 v6, 16, v4
	v_cmp_le_i32_e32 vcc_lo, v6, v27
	v_ashrrev_i32_e32 v7, 31, v6
	s_and_b32 s0, s0, vcc_lo
	s_and_saveexec_b32 s1, s0
	s_cbranch_execz .LBB563_23
; %bb.20:
	v_mul_f64 v[0:1], s[16:17], v[20:21]
	v_mul_f64 v[2:3], s[14:15], v[20:21]
	v_cmp_ne_u32_e32 vcc_lo, 1, v26
	s_and_b32 vcc_lo, exec_lo, vcc_lo
	v_fma_f64 v[0:1], s[14:15], v[18:19], -v[0:1]
	v_fma_f64 v[2:3], s[16:17], v[18:19], v[2:3]
	v_lshlrev_b64 v[18:19], 4, v[6:7]
	v_add_co_u32 v8, s0, v8, v18
	v_add_co_ci_u32_e64 v9, null, v9, v19, s0
	s_cbranch_vccnz .LBB563_22
; %bb.21:
	flat_load_dwordx4 v[18:21], v[8:9]
	s_waitcnt vmcnt(0) lgkmcnt(0)
	v_mul_f64 v[22:23], s[40:41], v[20:21]
	v_mul_f64 v[20:21], s[38:39], v[20:21]
	v_fma_f64 v[22:23], s[38:39], v[18:19], -v[22:23]
	v_fma_f64 v[18:19], s[40:41], v[18:19], v[20:21]
	v_add_f64 v[0:1], v[0:1], v[22:23]
	v_add_f64 v[2:3], v[2:3], v[18:19]
.LBB563_22:
	flat_store_dwordx4 v[8:9], v[0:3]
.LBB563_23:
	s_or_b32 exec_lo, exec_lo, s1
	v_add_nc_u32_e32 v18, 16, v27
	v_ashrrev_i32_e32 v2, 31, v18
	v_mul_lo_u32 v3, s9, v18
	v_mad_u64_u32 v[0:1], null, s8, v18, 0
	v_cmp_gt_i32_e64 s0, s28, v18
	v_mul_lo_u32 v2, s8, v2
	v_cmp_le_i32_e32 vcc_lo, v4, v18
	v_add3_u32 v1, v1, v2, v3
	v_lshlrev_b64 v[0:1], 4, v[0:1]
	v_add_co_u32 v8, s1, s2, v0
	v_add_co_ci_u32_e64 v9, null, s3, v1, s1
	s_and_b32 s1, s0, vcc_lo
	s_and_saveexec_b32 s2, s1
	s_cbranch_execz .LBB563_27
; %bb.24:
	v_mul_f64 v[0:1], s[16:17], v[16:17]
	v_mul_f64 v[2:3], s[14:15], v[16:17]
	v_lshlrev_b64 v[4:5], 4, v[4:5]
	v_cmp_ne_u32_e32 vcc_lo, 1, v26
	s_and_b32 vcc_lo, exec_lo, vcc_lo
	v_add_co_u32 v4, s1, v8, v4
	v_add_co_ci_u32_e64 v5, null, v9, v5, s1
	v_fma_f64 v[0:1], s[14:15], v[14:15], -v[0:1]
	v_fma_f64 v[2:3], s[16:17], v[14:15], v[2:3]
	s_cbranch_vccnz .LBB563_26
; %bb.25:
	flat_load_dwordx4 v[14:17], v[4:5]
	s_waitcnt vmcnt(0) lgkmcnt(0)
	v_mul_f64 v[19:20], s[40:41], v[16:17]
	v_mul_f64 v[16:17], s[38:39], v[16:17]
	v_fma_f64 v[19:20], s[38:39], v[14:15], -v[19:20]
	v_fma_f64 v[14:15], s[40:41], v[14:15], v[16:17]
	v_add_f64 v[0:1], v[0:1], v[19:20]
	v_add_f64 v[2:3], v[2:3], v[14:15]
.LBB563_26:
	flat_store_dwordx4 v[4:5], v[0:3]
.LBB563_27:
	s_or_b32 exec_lo, exec_lo, s2
	v_cmp_le_i32_e32 vcc_lo, v6, v18
	s_and_b32 s0, s0, vcc_lo
	s_and_saveexec_b32 s1, s0
	s_cbranch_execz .LBB563_32
; %bb.28:
	v_mul_f64 v[0:1], s[16:17], v[10:11]
	v_mul_f64 v[2:3], s[14:15], v[10:11]
	v_lshlrev_b64 v[4:5], 4, v[6:7]
	v_cmp_ne_u32_e32 vcc_lo, 1, v26
	s_and_b32 vcc_lo, exec_lo, vcc_lo
	v_add_co_u32 v4, s0, v8, v4
	v_add_co_ci_u32_e64 v5, null, v9, v5, s0
	v_fma_f64 v[0:1], s[14:15], v[12:13], -v[0:1]
	v_fma_f64 v[2:3], s[16:17], v[12:13], v[2:3]
	s_cbranch_vccnz .LBB563_30
; %bb.29:
	flat_load_dwordx4 v[6:9], v[4:5]
	s_waitcnt vmcnt(0) lgkmcnt(0)
	v_mul_f64 v[10:11], s[40:41], v[8:9]
	v_mul_f64 v[8:9], s[38:39], v[8:9]
	v_fma_f64 v[10:11], s[38:39], v[6:7], -v[10:11]
	v_fma_f64 v[6:7], s[40:41], v[6:7], v[8:9]
	v_add_f64 v[0:1], v[0:1], v[10:11]
	v_add_f64 v[2:3], v[2:3], v[6:7]
.LBB563_30:
	flat_store_dwordx4 v[4:5], v[0:3]
	s_endpgm
.LBB563_31:
.LBB563_32:
	s_endpgm
	.section	.rodata,"a",@progbits
	.p2align	6, 0x0
	.amdhsa_kernel _ZL29rocblas_internal_gemmt_kernelIlLi16ELi32ELi8ELc84ELc67ELc85ELb0ELb1E19rocblas_complex_numIdES1_PKPKS1_PKPS1_EviT_T9_T10_S9_lSB_S9_lSA_T11_S9_li
		.amdhsa_group_segment_fixed_size 8192
		.amdhsa_private_segment_fixed_size 0
		.amdhsa_kernarg_size 124
		.amdhsa_user_sgpr_count 6
		.amdhsa_user_sgpr_private_segment_buffer 1
		.amdhsa_user_sgpr_dispatch_ptr 0
		.amdhsa_user_sgpr_queue_ptr 0
		.amdhsa_user_sgpr_kernarg_segment_ptr 1
		.amdhsa_user_sgpr_dispatch_id 0
		.amdhsa_user_sgpr_flat_scratch_init 0
		.amdhsa_user_sgpr_private_segment_size 0
		.amdhsa_wavefront_size32 1
		.amdhsa_uses_dynamic_stack 0
		.amdhsa_system_sgpr_private_segment_wavefront_offset 0
		.amdhsa_system_sgpr_workgroup_id_x 1
		.amdhsa_system_sgpr_workgroup_id_y 1
		.amdhsa_system_sgpr_workgroup_id_z 1
		.amdhsa_system_sgpr_workgroup_info 0
		.amdhsa_system_vgpr_workitem_id 1
		.amdhsa_next_free_vgpr 120
		.amdhsa_next_free_sgpr 44
		.amdhsa_reserve_vcc 1
		.amdhsa_reserve_flat_scratch 0
		.amdhsa_float_round_mode_32 0
		.amdhsa_float_round_mode_16_64 0
		.amdhsa_float_denorm_mode_32 3
		.amdhsa_float_denorm_mode_16_64 3
		.amdhsa_dx10_clamp 1
		.amdhsa_ieee_mode 1
		.amdhsa_fp16_overflow 0
		.amdhsa_workgroup_processor_mode 1
		.amdhsa_memory_ordered 1
		.amdhsa_forward_progress 1
		.amdhsa_shared_vgpr_count 0
		.amdhsa_exception_fp_ieee_invalid_op 0
		.amdhsa_exception_fp_denorm_src 0
		.amdhsa_exception_fp_ieee_div_zero 0
		.amdhsa_exception_fp_ieee_overflow 0
		.amdhsa_exception_fp_ieee_underflow 0
		.amdhsa_exception_fp_ieee_inexact 0
		.amdhsa_exception_int_div_zero 0
	.end_amdhsa_kernel
	.section	.text._ZL29rocblas_internal_gemmt_kernelIlLi16ELi32ELi8ELc84ELc67ELc85ELb0ELb1E19rocblas_complex_numIdES1_PKPKS1_PKPS1_EviT_T9_T10_S9_lSB_S9_lSA_T11_S9_li,"axG",@progbits,_ZL29rocblas_internal_gemmt_kernelIlLi16ELi32ELi8ELc84ELc67ELc85ELb0ELb1E19rocblas_complex_numIdES1_PKPKS1_PKPS1_EviT_T9_T10_S9_lSB_S9_lSA_T11_S9_li,comdat
.Lfunc_end563:
	.size	_ZL29rocblas_internal_gemmt_kernelIlLi16ELi32ELi8ELc84ELc67ELc85ELb0ELb1E19rocblas_complex_numIdES1_PKPKS1_PKPS1_EviT_T9_T10_S9_lSB_S9_lSA_T11_S9_li, .Lfunc_end563-_ZL29rocblas_internal_gemmt_kernelIlLi16ELi32ELi8ELc84ELc67ELc85ELb0ELb1E19rocblas_complex_numIdES1_PKPKS1_PKPS1_EviT_T9_T10_S9_lSB_S9_lSA_T11_S9_li
                                        ; -- End function
	.set _ZL29rocblas_internal_gemmt_kernelIlLi16ELi32ELi8ELc84ELc67ELc85ELb0ELb1E19rocblas_complex_numIdES1_PKPKS1_PKPS1_EviT_T9_T10_S9_lSB_S9_lSA_T11_S9_li.num_vgpr, 120
	.set _ZL29rocblas_internal_gemmt_kernelIlLi16ELi32ELi8ELc84ELc67ELc85ELb0ELb1E19rocblas_complex_numIdES1_PKPKS1_PKPS1_EviT_T9_T10_S9_lSB_S9_lSA_T11_S9_li.num_agpr, 0
	.set _ZL29rocblas_internal_gemmt_kernelIlLi16ELi32ELi8ELc84ELc67ELc85ELb0ELb1E19rocblas_complex_numIdES1_PKPKS1_PKPS1_EviT_T9_T10_S9_lSB_S9_lSA_T11_S9_li.numbered_sgpr, 44
	.set _ZL29rocblas_internal_gemmt_kernelIlLi16ELi32ELi8ELc84ELc67ELc85ELb0ELb1E19rocblas_complex_numIdES1_PKPKS1_PKPS1_EviT_T9_T10_S9_lSB_S9_lSA_T11_S9_li.num_named_barrier, 0
	.set _ZL29rocblas_internal_gemmt_kernelIlLi16ELi32ELi8ELc84ELc67ELc85ELb0ELb1E19rocblas_complex_numIdES1_PKPKS1_PKPS1_EviT_T9_T10_S9_lSB_S9_lSA_T11_S9_li.private_seg_size, 0
	.set _ZL29rocblas_internal_gemmt_kernelIlLi16ELi32ELi8ELc84ELc67ELc85ELb0ELb1E19rocblas_complex_numIdES1_PKPKS1_PKPS1_EviT_T9_T10_S9_lSB_S9_lSA_T11_S9_li.uses_vcc, 1
	.set _ZL29rocblas_internal_gemmt_kernelIlLi16ELi32ELi8ELc84ELc67ELc85ELb0ELb1E19rocblas_complex_numIdES1_PKPKS1_PKPS1_EviT_T9_T10_S9_lSB_S9_lSA_T11_S9_li.uses_flat_scratch, 0
	.set _ZL29rocblas_internal_gemmt_kernelIlLi16ELi32ELi8ELc84ELc67ELc85ELb0ELb1E19rocblas_complex_numIdES1_PKPKS1_PKPS1_EviT_T9_T10_S9_lSB_S9_lSA_T11_S9_li.has_dyn_sized_stack, 0
	.set _ZL29rocblas_internal_gemmt_kernelIlLi16ELi32ELi8ELc84ELc67ELc85ELb0ELb1E19rocblas_complex_numIdES1_PKPKS1_PKPS1_EviT_T9_T10_S9_lSB_S9_lSA_T11_S9_li.has_recursion, 0
	.set _ZL29rocblas_internal_gemmt_kernelIlLi16ELi32ELi8ELc84ELc67ELc85ELb0ELb1E19rocblas_complex_numIdES1_PKPKS1_PKPS1_EviT_T9_T10_S9_lSB_S9_lSA_T11_S9_li.has_indirect_call, 0
	.section	.AMDGPU.csdata,"",@progbits
; Kernel info:
; codeLenInByte = 3624
; TotalNumSgprs: 46
; NumVgprs: 120
; ScratchSize: 0
; MemoryBound: 1
; FloatMode: 240
; IeeeMode: 1
; LDSByteSize: 8192 bytes/workgroup (compile time only)
; SGPRBlocks: 0
; VGPRBlocks: 14
; NumSGPRsForWavesPerEU: 46
; NumVGPRsForWavesPerEU: 120
; Occupancy: 8
; WaveLimiterHint : 1
; COMPUTE_PGM_RSRC2:SCRATCH_EN: 0
; COMPUTE_PGM_RSRC2:USER_SGPR: 6
; COMPUTE_PGM_RSRC2:TRAP_HANDLER: 0
; COMPUTE_PGM_RSRC2:TGID_X_EN: 1
; COMPUTE_PGM_RSRC2:TGID_Y_EN: 1
; COMPUTE_PGM_RSRC2:TGID_Z_EN: 1
; COMPUTE_PGM_RSRC2:TIDIG_COMP_CNT: 1
	.section	.text._ZL29rocblas_internal_gemmt_kernelIlLi16ELi32ELi8ELc67ELc78ELc85ELb1ELb0E19rocblas_complex_numIdES1_PKPKS1_PKPS1_EviT_T9_T10_S9_lSB_S9_lSA_T11_S9_li,"axG",@progbits,_ZL29rocblas_internal_gemmt_kernelIlLi16ELi32ELi8ELc67ELc78ELc85ELb1ELb0E19rocblas_complex_numIdES1_PKPKS1_PKPS1_EviT_T9_T10_S9_lSB_S9_lSA_T11_S9_li,comdat
	.globl	_ZL29rocblas_internal_gemmt_kernelIlLi16ELi32ELi8ELc67ELc78ELc85ELb1ELb0E19rocblas_complex_numIdES1_PKPKS1_PKPS1_EviT_T9_T10_S9_lSB_S9_lSA_T11_S9_li ; -- Begin function _ZL29rocblas_internal_gemmt_kernelIlLi16ELi32ELi8ELc67ELc78ELc85ELb1ELb0E19rocblas_complex_numIdES1_PKPKS1_PKPS1_EviT_T9_T10_S9_lSB_S9_lSA_T11_S9_li
	.p2align	8
	.type	_ZL29rocblas_internal_gemmt_kernelIlLi16ELi32ELi8ELc67ELc78ELc85ELb1ELb0E19rocblas_complex_numIdES1_PKPKS1_PKPS1_EviT_T9_T10_S9_lSB_S9_lSA_T11_S9_li,@function
_ZL29rocblas_internal_gemmt_kernelIlLi16ELi32ELi8ELc67ELc78ELc85ELb1ELb0E19rocblas_complex_numIdES1_PKPKS1_PKPS1_EviT_T9_T10_S9_lSB_S9_lSA_T11_S9_li: ; @_ZL29rocblas_internal_gemmt_kernelIlLi16ELi32ELi8ELc67ELc78ELc85ELb1ELb0E19rocblas_complex_numIdES1_PKPKS1_PKPS1_EviT_T9_T10_S9_lSB_S9_lSA_T11_S9_li
; %bb.0:
	s_clause 0x1
	s_load_dwordx8 s[36:43], s[4:5], 0x48
	s_load_dwordx16 s[12:27], s[4:5], 0x8
	s_waitcnt lgkmcnt(0)
	v_cmp_eq_f64_e64 s0, s[38:39], 1.0
	v_cmp_eq_f64_e64 s29, s[40:41], 0
	s_and_b32 s0, s0, s29
	s_andn2_b32 vcc_lo, exec_lo, s0
	s_mov_b32 s0, -1
	s_cbranch_vccnz .LBB564_3
; %bb.1:
	s_cmp_lg_u64 s[12:13], 0
	s_cbranch_scc0 .LBB564_31
; %bb.2:
	v_cmp_neq_f64_e64 s0, s[14:15], 0
	v_cmp_neq_f64_e64 s1, s[16:17], 0
	s_or_b32 s0, s0, s1
.LBB564_3:
	s_and_b32 vcc_lo, exec_lo, s0
	s_cbranch_vccz .LBB564_32
; %bb.4:
	v_cmp_eq_f64_e64 s30, s[14:15], 0
	v_cmp_eq_f64_e64 s31, s[16:17], 0
	s_mov_b32 s9, 0
	v_mov_b32_e32 v20, 0
	s_lshl_b64 s[0:1], s[8:9], 3
	v_mov_b32_e32 v22, 0
	s_add_u32 s2, s42, s0
	s_addc_u32 s3, s43, s1
	s_clause 0x1
	s_load_dwordx4 s[8:11], s[4:5], 0x68
	s_load_dword s28, s[4:5], 0x0
	s_load_dwordx2 s[2:3], s[2:3], 0x0
	v_cmp_lt_i64_e64 s4, s[12:13], 1
	v_mov_b32_e32 v18, 0
	v_mov_b32_e32 v16, 0
	v_mov_b32_e32 v14, 0
	v_mov_b32_e32 v12, 0
	v_mov_b32_e32 v10, 0
	v_mov_b32_e32 v8, 0
	v_mov_b32_e32 v21, 0
	v_mov_b32_e32 v23, 0
	v_mov_b32_e32 v19, 0
	v_mov_b32_e32 v17, 0
	v_mov_b32_e32 v15, 0
	v_mov_b32_e32 v13, 0
	v_mov_b32_e32 v11, 0
	s_and_b32 s5, s30, s31
	v_mov_b32_e32 v9, 0
	s_or_b32 s4, s5, s4
	s_lshl_b32 s6, s6, 5
	s_and_b32 vcc_lo, exec_lo, s4
	s_lshl_b32 s7, s7, 5
	s_cbranch_vccnz .LBB564_15
; %bb.5:
	s_add_u32 s4, s24, s0
	s_addc_u32 s5, s25, s1
	s_lshl_b64 s[24:25], s[36:37], 4
	s_load_dwordx2 s[4:5], s[4:5], 0x0
	v_lshl_add_u32 v4, v1, 4, v0
	v_and_b32_e32 v24, 7, v0
	v_mov_b32_e32 v8, 0
	v_mov_b32_e32 v10, 0
	;; [unrolled: 1-line block ×3, first 2 shown]
	v_lshrrev_b32_e32 v6, 3, v4
	v_and_b32_e32 v5, 31, v4
	v_lshlrev_b32_e32 v31, 4, v24
	v_mov_b32_e32 v14, 0
	v_mov_b32_e32 v16, 0
	v_add_nc_u32_e32 v7, s7, v6
	v_or_b32_e32 v28, s6, v5
	v_lshlrev_b32_e32 v32, 4, v5
	v_lshl_or_b32 v6, v6, 7, v31
	v_mov_b32_e32 v18, 0
	v_ashrrev_i32_e32 v27, 31, v7
	v_mul_lo_u32 v29, s27, v7
	v_mad_u64_u32 v[2:3], null, s26, v7, 0
	s_waitcnt lgkmcnt(0)
	s_add_u32 s24, s4, s24
	s_addc_u32 s25, s5, s25
	s_add_u32 s0, s18, s0
	s_addc_u32 s1, s19, s1
	v_mul_lo_u32 v30, s26, v27
	s_load_dwordx2 s[0:1], s[0:1], 0x0
	v_lshrrev_b32_e32 v27, 5, v4
	v_mul_lo_u32 v33, s21, v28
	v_mad_u64_u32 v[4:5], null, s20, v28, 0
	s_lshl_b64 s[4:5], s[22:23], 4
	v_cmp_gt_i32_e32 vcc_lo, s28, v7
	v_add3_u32 v3, v3, v30, v29
	v_mov_b32_e32 v22, 0
	v_mov_b32_e32 v20, 0
	v_lshlrev_b32_e32 v25, 4, v0
	v_lshl_add_u32 v26, v1, 7, 0x1000
	v_lshlrev_b64 v[2:3], 4, v[2:3]
	v_mov_b32_e32 v9, 0
	v_mov_b32_e32 v11, 0
	;; [unrolled: 1-line block ×7, first 2 shown]
	s_waitcnt lgkmcnt(0)
	s_add_u32 s4, s0, s4
	s_addc_u32 s5, s1, s5
	s_ashr_i32 s0, s6, 31
	v_mov_b32_e32 v21, 0
	s_mul_i32 s1, s20, s0
	v_cmp_gt_i32_e64 s0, s28, v28
	v_add3_u32 v5, v5, s1, v33
	v_add_co_u32 v30, s1, s24, v2
	v_lshl_or_b32 v28, v27, 9, v32
	v_add_co_ci_u32_e64 v31, null, s25, v3, s1
	v_lshlrev_b64 v[4:5], 4, v[4:5]
	v_add_nc_u32_e32 v29, 0x1000, v6
	v_mov_b32_e32 v3, 0
	v_add_co_u32 v32, s1, s4, v4
	v_add_co_ci_u32_e64 v33, null, s5, v5, s1
	s_mov_b64 s[4:5], 0
	s_xor_b32 s1, vcc_lo, -1
	s_branch .LBB564_7
.LBB564_6:                              ;   in Loop: Header=BB564_7 Depth=1
	s_or_b32 exec_lo, exec_lo, s18
	s_waitcnt lgkmcnt(0)
	s_barrier
	buffer_gl0_inv
	ds_read_b128 v[4:7], v26
	ds_read_b128 v[34:37], v25
	ds_read_b128 v[38:41], v25 offset:256
	ds_read_b128 v[42:45], v26 offset:2048
	ds_read_b128 v[46:49], v26 offset:16
	ds_read_b128 v[50:53], v25 offset:512
	ds_read_b128 v[54:57], v25 offset:768
	ds_read_b128 v[58:61], v26 offset:2064
	ds_read_b128 v[62:65], v25 offset:1024
	ds_read_b128 v[66:69], v25 offset:1280
	ds_read_b128 v[70:73], v26 offset:32
	ds_read_b128 v[74:77], v26 offset:48
	ds_read_b128 v[78:81], v26 offset:2080
	ds_read_b128 v[82:85], v26 offset:2096
	s_add_u32 s4, s4, 8
	s_addc_u32 s5, s5, 0
	v_cmp_gt_i64_e64 s18, s[12:13], s[4:5]
	s_and_b32 vcc_lo, exec_lo, s18
	s_waitcnt lgkmcnt(12)
	v_mul_f64 v[86:87], v[6:7], v[36:37]
	v_mul_f64 v[88:89], v[4:5], v[36:37]
	s_waitcnt lgkmcnt(11)
	v_mul_f64 v[90:91], v[6:7], v[40:41]
	v_mul_f64 v[92:93], v[4:5], v[40:41]
	;; [unrolled: 3-line block ×3, first 2 shown]
	v_mul_f64 v[96:97], v[44:45], v[40:41]
	v_mul_f64 v[40:41], v[42:43], v[40:41]
	s_waitcnt lgkmcnt(8)
	v_mul_f64 v[98:99], v[48:49], v[52:53]
	v_mul_f64 v[100:101], v[46:47], v[52:53]
	s_waitcnt lgkmcnt(7)
	;; [unrolled: 3-line block ×3, first 2 shown]
	v_mul_f64 v[106:107], v[60:61], v[52:53]
	v_mul_f64 v[52:53], v[58:59], v[52:53]
	;; [unrolled: 1-line block ×4, first 2 shown]
	s_waitcnt lgkmcnt(3)
	v_mul_f64 v[112:113], v[72:73], v[64:65]
	v_mul_f64 v[116:117], v[70:71], v[64:65]
	;; [unrolled: 1-line block ×4, first 2 shown]
	s_waitcnt lgkmcnt(1)
	v_mul_f64 v[122:123], v[80:81], v[64:65]
	v_mul_f64 v[64:65], v[78:79], v[64:65]
	v_fma_f64 v[86:87], v[4:5], v[34:35], -v[86:87]
	v_fma_f64 v[88:89], v[6:7], v[34:35], v[88:89]
	v_fma_f64 v[90:91], v[4:5], v[38:39], -v[90:91]
	v_fma_f64 v[92:93], v[6:7], v[38:39], v[92:93]
	;; [unrolled: 2-line block ×8, first 2 shown]
	ds_read_b128 v[4:7], v25 offset:1536
	ds_read_b128 v[34:37], v25 offset:1792
	;; [unrolled: 1-line block ×6, first 2 shown]
	v_add_f64 v[54:55], v[20:21], v[86:87]
	v_add_f64 v[22:23], v[88:89], v[22:23]
	;; [unrolled: 1-line block ×3, first 2 shown]
	v_mul_f64 v[86:87], v[80:81], v[68:69]
	v_mul_f64 v[68:69], v[78:79], v[68:69]
	v_add_f64 v[88:89], v[92:93], v[16:17]
	v_add_f64 v[92:93], v[14:15], v[94:95]
	;; [unrolled: 1-line block ×5, first 2 shown]
	v_fma_f64 v[90:91], v[70:71], v[62:63], -v[112:113]
	v_fma_f64 v[94:95], v[72:73], v[62:63], v[116:117]
	v_fma_f64 v[70:71], v[70:71], v[66:67], -v[118:119]
	v_fma_f64 v[72:73], v[72:73], v[66:67], v[120:121]
	s_waitcnt lgkmcnt(5)
	v_mul_f64 v[108:109], v[76:77], v[6:7]
	v_mul_f64 v[110:111], v[74:75], v[6:7]
	v_fma_f64 v[112:113], v[78:79], v[62:63], -v[122:123]
	v_fma_f64 v[62:63], v[80:81], v[62:63], v[64:65]
	s_waitcnt lgkmcnt(4)
	v_mul_f64 v[64:65], v[76:77], v[36:37]
	v_mul_f64 v[116:117], v[74:75], v[36:37]
	ds_read_b128 v[14:17], v25 offset:2560
	ds_read_b128 v[18:21], v25 offset:2816
	v_add_f64 v[98:99], v[54:55], v[98:99]
	v_add_f64 v[22:23], v[100:101], v[22:23]
	;; [unrolled: 1-line block ×3, first 2 shown]
	v_mul_f64 v[102:103], v[84:85], v[6:7]
	v_mul_f64 v[6:7], v[82:83], v[6:7]
	v_add_f64 v[88:89], v[104:105], v[88:89]
	v_add_f64 v[92:93], v[92:93], v[106:107]
	v_fma_f64 v[78:79], v[78:79], v[66:67], -v[86:87]
	v_fma_f64 v[66:67], v[80:81], v[66:67], v[68:69]
	v_mul_f64 v[68:69], v[84:85], v[36:37]
	v_mul_f64 v[36:37], v[82:83], v[36:37]
	v_add_f64 v[12:13], v[124:125], v[12:13]
	v_add_f64 v[58:59], v[96:97], v[58:59]
	;; [unrolled: 1-line block ×3, first 2 shown]
	ds_read_b128 v[8:11], v26 offset:2112
	ds_read_b128 v[54:57], v26 offset:2128
	s_waitcnt lgkmcnt(5)
	v_mul_f64 v[80:81], v[48:49], v[40:41]
	v_mul_f64 v[86:87], v[46:47], v[40:41]
	;; [unrolled: 1-line block ×4, first 2 shown]
	v_fma_f64 v[106:107], v[74:75], v[4:5], -v[108:109]
	v_fma_f64 v[108:109], v[76:77], v[4:5], v[110:111]
	v_fma_f64 v[64:65], v[74:75], v[34:35], -v[64:65]
	v_fma_f64 v[74:75], v[76:77], v[34:35], v[116:117]
	v_add_f64 v[90:91], v[98:99], v[90:91]
	v_add_f64 v[22:23], v[94:95], v[22:23]
	;; [unrolled: 1-line block ×3, first 2 shown]
	v_fma_f64 v[94:95], v[82:83], v[4:5], -v[102:103]
	v_add_f64 v[72:73], v[72:73], v[88:89]
	v_add_f64 v[88:89], v[92:93], v[112:113]
	v_fma_f64 v[4:5], v[84:85], v[4:5], v[6:7]
	s_waitcnt lgkmcnt(3)
	v_mul_f64 v[98:99], v[52:53], v[16:17]
	v_fma_f64 v[6:7], v[82:83], v[34:35], -v[68:69]
	v_fma_f64 v[68:69], v[84:85], v[34:35], v[36:37]
	s_waitcnt lgkmcnt(1)
	v_mul_f64 v[76:77], v[10:11], v[40:41]
	v_mul_f64 v[40:41], v[8:9], v[40:41]
	;; [unrolled: 1-line block ×4, first 2 shown]
	v_add_f64 v[12:13], v[62:63], v[12:13]
	v_add_f64 v[58:59], v[58:59], v[78:79]
	;; [unrolled: 1-line block ×3, first 2 shown]
	v_mul_f64 v[100:101], v[50:51], v[16:17]
	v_mul_f64 v[62:63], v[52:53], v[20:21]
	v_fma_f64 v[78:79], v[46:47], v[38:39], -v[80:81]
	v_fma_f64 v[80:81], v[48:49], v[38:39], v[86:87]
	v_fma_f64 v[46:47], v[46:47], v[42:43], -v[104:105]
	v_fma_f64 v[48:49], v[48:49], v[42:43], v[96:97]
	v_add_f64 v[66:67], v[90:91], v[106:107]
	v_add_f64 v[82:83], v[108:109], v[22:23]
	;; [unrolled: 1-line block ×5, first 2 shown]
	s_waitcnt lgkmcnt(0)
	v_mul_f64 v[84:85], v[56:57], v[16:17]
	v_mul_f64 v[16:17], v[54:55], v[16:17]
	;; [unrolled: 1-line block ×4, first 2 shown]
	v_fma_f64 v[70:71], v[8:9], v[38:39], -v[76:77]
	v_mul_f64 v[76:77], v[50:51], v[20:21]
	v_fma_f64 v[90:91], v[10:11], v[38:39], v[40:41]
	v_fma_f64 v[8:9], v[8:9], v[42:43], -v[92:93]
	v_add_f64 v[12:13], v[4:5], v[12:13]
	v_add_f64 v[58:59], v[58:59], v[6:7]
	v_fma_f64 v[42:43], v[10:11], v[42:43], v[44:45]
	v_add_f64 v[44:45], v[68:69], v[60:61]
	ds_read_b128 v[4:7], v26 offset:96
	ds_read_b128 v[20:23], v25 offset:3072
	;; [unrolled: 1-line block ×4, first 2 shown]
	v_add_f64 v[60:61], v[66:67], v[78:79]
	v_add_f64 v[66:67], v[80:81], v[82:83]
	;; [unrolled: 1-line block ×3, first 2 shown]
	v_fma_f64 v[64:65], v[50:51], v[14:15], -v[98:99]
	v_add_f64 v[48:49], v[48:49], v[72:73]
	v_fma_f64 v[50:51], v[50:51], v[18:19], -v[62:63]
	v_fma_f64 v[62:63], v[54:55], v[14:15], -v[84:85]
	v_fma_f64 v[72:73], v[56:57], v[14:15], v[16:17]
	v_fma_f64 v[54:55], v[54:55], v[18:19], -v[86:87]
	v_add_f64 v[68:69], v[74:75], v[70:71]
	v_fma_f64 v[70:71], v[52:53], v[14:15], v[100:101]
	v_fma_f64 v[52:53], v[52:53], v[18:19], v[76:77]
	;; [unrolled: 1-line block ×3, first 2 shown]
	v_add_f64 v[74:75], v[90:91], v[12:13]
	v_add_f64 v[58:59], v[58:59], v[8:9]
	s_waitcnt lgkmcnt(2)
	v_mul_f64 v[76:77], v[6:7], v[22:23]
	v_mul_f64 v[78:79], v[4:5], v[22:23]
	s_waitcnt lgkmcnt(1)
	v_mul_f64 v[80:81], v[6:7], v[36:37]
	v_mul_f64 v[82:83], v[4:5], v[36:37]
	;; [unrolled: 3-line block ×3, first 2 shown]
	v_mul_f64 v[86:87], v[40:41], v[36:37]
	v_add_f64 v[88:89], v[42:43], v[44:45]
	v_mul_f64 v[36:37], v[38:39], v[36:37]
	ds_read_b128 v[8:11], v26 offset:112
	ds_read_b128 v[12:15], v26 offset:2160
	;; [unrolled: 1-line block ×4, first 2 shown]
	v_add_f64 v[60:61], v[60:61], v[64:65]
	v_add_f64 v[46:47], v[46:47], v[50:51]
	s_waitcnt lgkmcnt(0)
	s_barrier
	v_add_f64 v[50:51], v[68:69], v[62:63]
	v_add_f64 v[64:65], v[70:71], v[66:67]
	;; [unrolled: 1-line block ×3, first 2 shown]
	buffer_gl0_inv
	v_add_f64 v[52:53], v[72:73], v[74:75]
	v_add_f64 v[54:55], v[58:59], v[54:55]
	v_fma_f64 v[58:59], v[4:5], v[20:21], -v[76:77]
	v_fma_f64 v[62:63], v[6:7], v[20:21], v[78:79]
	v_fma_f64 v[4:5], v[4:5], v[34:35], -v[80:81]
	v_fma_f64 v[6:7], v[6:7], v[34:35], v[82:83]
	;; [unrolled: 2-line block ×3, first 2 shown]
	v_fma_f64 v[22:23], v[38:39], v[34:35], -v[86:87]
	v_add_f64 v[38:39], v[56:57], v[88:89]
	v_fma_f64 v[34:35], v[40:41], v[34:35], v[36:37]
	v_mul_f64 v[36:37], v[10:11], v[18:19]
	v_mul_f64 v[40:41], v[8:9], v[18:19]
	v_mul_f64 v[56:57], v[10:11], v[44:45]
	v_mul_f64 v[68:69], v[8:9], v[44:45]
	v_mul_f64 v[70:71], v[14:15], v[18:19]
	v_mul_f64 v[18:19], v[12:13], v[18:19]
	v_mul_f64 v[72:73], v[14:15], v[44:45]
	v_mul_f64 v[44:45], v[12:13], v[44:45]
	v_add_f64 v[58:59], v[60:61], v[58:59]
	v_add_f64 v[60:61], v[62:63], v[64:65]
	;; [unrolled: 1-line block ×8, first 2 shown]
	v_fma_f64 v[20:21], v[8:9], v[16:17], -v[36:37]
	v_fma_f64 v[22:23], v[10:11], v[16:17], v[40:41]
	v_fma_f64 v[8:9], v[8:9], v[42:43], -v[56:57]
	v_fma_f64 v[10:11], v[10:11], v[42:43], v[68:69]
	;; [unrolled: 2-line block ×4, first 2 shown]
	v_add_f64 v[20:21], v[58:59], v[20:21]
	v_add_f64 v[22:23], v[22:23], v[60:61]
	;; [unrolled: 1-line block ×8, first 2 shown]
	s_cbranch_vccz .LBB564_15
.LBB564_7:                              ; =>This Inner Loop Header: Depth=1
	v_mov_b32_e32 v4, 0
	v_mov_b32_e32 v6, 0
	;; [unrolled: 1-line block ×4, first 2 shown]
	s_and_saveexec_b32 s18, s0
	s_cbranch_execz .LBB564_11
; %bb.8:                                ;   in Loop: Header=BB564_7 Depth=1
	v_mov_b32_e32 v6, 0
	v_mov_b32_e32 v4, 0
	v_add_nc_u32_e32 v2, s4, v27
	v_mov_b32_e32 v7, 0
	v_mov_b32_e32 v5, 0
	s_mov_b32 s19, exec_lo
	v_cmpx_gt_u64_e64 s[12:13], v[2:3]
	s_cbranch_execz .LBB564_10
; %bb.9:                                ;   in Loop: Header=BB564_7 Depth=1
	v_lshlrev_b64 v[4:5], 4, v[2:3]
	v_add_co_u32 v4, vcc_lo, v32, v4
	v_add_co_ci_u32_e64 v5, null, v33, v5, vcc_lo
	flat_load_dwordx4 v[4:7], v[4:5]
	s_waitcnt vmcnt(0) lgkmcnt(0)
	v_xor_b32_e32 v7, 0x80000000, v7
.LBB564_10:                             ;   in Loop: Header=BB564_7 Depth=1
	s_or_b32 exec_lo, exec_lo, s19
.LBB564_11:                             ;   in Loop: Header=BB564_7 Depth=1
	s_or_b32 exec_lo, exec_lo, s18
	v_add_nc_u32_e32 v2, s4, v24
	ds_write_b128 v28, v[4:7]
	v_cmp_le_u64_e32 vcc_lo, s[12:13], v[2:3]
	s_or_b32 s18, vcc_lo, s1
	s_and_saveexec_b32 s19, s18
	s_xor_b32 s18, exec_lo, s19
	s_cbranch_execz .LBB564_13
; %bb.12:                               ;   in Loop: Header=BB564_7 Depth=1
	v_mov_b32_e32 v2, v3
	v_mov_b32_e32 v4, v3
	v_mov_b32_e32 v5, v3
	ds_write_b128 v29, v[2:5]
.LBB564_13:                             ;   in Loop: Header=BB564_7 Depth=1
	s_andn2_saveexec_b32 s18, s18
	s_cbranch_execz .LBB564_6
; %bb.14:                               ;   in Loop: Header=BB564_7 Depth=1
	v_lshlrev_b64 v[4:5], 4, v[2:3]
	v_add_co_u32 v4, vcc_lo, v30, v4
	v_add_co_ci_u32_e64 v5, null, v31, v5, vcc_lo
	flat_load_dwordx4 v[4:7], v[4:5]
	s_waitcnt vmcnt(0) lgkmcnt(0)
	ds_write2_b64 v29, v[4:5], v[6:7] offset1:1
	s_branch .LBB564_6
.LBB564_15:
	v_add_nc_u32_e32 v25, s7, v1
	v_cmp_neq_f64_e64 s4, s[38:39], 0
	s_waitcnt lgkmcnt(0)
	s_lshl_b64 s[0:1], s[10:11], 4
	s_add_u32 s2, s2, s0
	v_ashrrev_i32_e32 v3, 31, v25
	v_mul_lo_u32 v4, s9, v25
	v_mad_u64_u32 v[1:2], null, s8, v25, 0
	s_addc_u32 s3, s3, s1
	v_mul_lo_u32 v3, s8, v3
	s_xor_b32 s5, s29, -1
	v_cmp_gt_i32_e64 s0, s28, v25
	v_add3_u32 v2, v2, v3, v4
	v_add_nc_u32_e32 v4, s6, v0
	s_or_b32 s4, s4, s5
	v_lshlrev_b64 v[0:1], 4, v[1:2]
	v_cmp_le_i32_e32 vcc_lo, v4, v25
	v_ashrrev_i32_e32 v5, 31, v4
	v_cndmask_b32_e64 v24, 0, 1, s4
	s_and_b32 s5, s0, vcc_lo
	v_add_co_u32 v26, s1, s2, v0
	v_add_co_ci_u32_e64 v27, null, s3, v1, s1
	s_and_saveexec_b32 s1, s5
	s_cbranch_execz .LBB564_19
; %bb.16:
	v_mul_f64 v[0:1], s[16:17], v[22:23]
	v_mul_f64 v[2:3], s[14:15], v[22:23]
	v_lshlrev_b64 v[6:7], 4, v[4:5]
	v_add_co_u32 v6, vcc_lo, v26, v6
	v_add_co_ci_u32_e64 v7, null, v27, v7, vcc_lo
	s_andn2_b32 vcc_lo, exec_lo, s4
	v_fma_f64 v[0:1], s[14:15], v[20:21], -v[0:1]
	v_fma_f64 v[2:3], s[16:17], v[20:21], v[2:3]
	s_cbranch_vccnz .LBB564_18
; %bb.17:
	flat_load_dwordx4 v[20:23], v[6:7]
	s_waitcnt vmcnt(0) lgkmcnt(0)
	v_mul_f64 v[28:29], s[40:41], v[22:23]
	v_mul_f64 v[22:23], s[38:39], v[22:23]
	v_fma_f64 v[28:29], s[38:39], v[20:21], -v[28:29]
	v_fma_f64 v[20:21], s[40:41], v[20:21], v[22:23]
	v_add_f64 v[0:1], v[0:1], v[28:29]
	v_add_f64 v[2:3], v[2:3], v[20:21]
.LBB564_18:
	flat_store_dwordx4 v[6:7], v[0:3]
.LBB564_19:
	s_or_b32 exec_lo, exec_lo, s1
	v_add_nc_u32_e32 v6, 16, v4
	v_cmp_le_i32_e32 vcc_lo, v6, v25
	v_ashrrev_i32_e32 v7, 31, v6
	s_and_b32 s0, s0, vcc_lo
	s_and_saveexec_b32 s1, s0
	s_cbranch_execz .LBB564_23
; %bb.20:
	v_mul_f64 v[0:1], s[16:17], v[16:17]
	v_mul_f64 v[2:3], s[14:15], v[16:17]
	v_lshlrev_b64 v[16:17], 4, v[6:7]
	v_cmp_ne_u32_e32 vcc_lo, 1, v24
	s_and_b32 vcc_lo, exec_lo, vcc_lo
	v_add_co_u32 v16, s0, v26, v16
	v_add_co_ci_u32_e64 v17, null, v27, v17, s0
	v_fma_f64 v[0:1], s[14:15], v[18:19], -v[0:1]
	v_fma_f64 v[2:3], s[16:17], v[18:19], v[2:3]
	s_cbranch_vccnz .LBB564_22
; %bb.21:
	flat_load_dwordx4 v[18:21], v[16:17]
	s_waitcnt vmcnt(0) lgkmcnt(0)
	v_mul_f64 v[22:23], s[40:41], v[20:21]
	v_mul_f64 v[20:21], s[38:39], v[20:21]
	v_fma_f64 v[22:23], s[38:39], v[18:19], -v[22:23]
	v_fma_f64 v[18:19], s[40:41], v[18:19], v[20:21]
	v_add_f64 v[0:1], v[0:1], v[22:23]
	v_add_f64 v[2:3], v[2:3], v[18:19]
.LBB564_22:
	flat_store_dwordx4 v[16:17], v[0:3]
.LBB564_23:
	s_or_b32 exec_lo, exec_lo, s1
	v_add_nc_u32_e32 v18, 16, v25
	v_ashrrev_i32_e32 v2, 31, v18
	v_mul_lo_u32 v3, s9, v18
	v_mad_u64_u32 v[0:1], null, s8, v18, 0
	v_cmp_gt_i32_e64 s0, s28, v18
	v_mul_lo_u32 v2, s8, v2
	v_cmp_le_i32_e32 vcc_lo, v4, v18
	v_add3_u32 v1, v1, v2, v3
	v_lshlrev_b64 v[0:1], 4, v[0:1]
	v_add_co_u32 v16, s1, s2, v0
	v_add_co_ci_u32_e64 v17, null, s3, v1, s1
	s_and_b32 s1, s0, vcc_lo
	s_and_saveexec_b32 s2, s1
	s_cbranch_execz .LBB564_27
; %bb.24:
	v_mul_f64 v[0:1], s[16:17], v[12:13]
	v_mul_f64 v[2:3], s[14:15], v[12:13]
	v_lshlrev_b64 v[4:5], 4, v[4:5]
	v_cmp_ne_u32_e32 vcc_lo, 1, v24
	s_and_b32 vcc_lo, exec_lo, vcc_lo
	v_add_co_u32 v4, s1, v16, v4
	v_add_co_ci_u32_e64 v5, null, v17, v5, s1
	v_fma_f64 v[0:1], s[14:15], v[14:15], -v[0:1]
	v_fma_f64 v[2:3], s[16:17], v[14:15], v[2:3]
	s_cbranch_vccnz .LBB564_26
; %bb.25:
	flat_load_dwordx4 v[12:15], v[4:5]
	s_waitcnt vmcnt(0) lgkmcnt(0)
	v_mul_f64 v[19:20], s[40:41], v[14:15]
	v_mul_f64 v[14:15], s[38:39], v[14:15]
	v_fma_f64 v[19:20], s[38:39], v[12:13], -v[19:20]
	v_fma_f64 v[12:13], s[40:41], v[12:13], v[14:15]
	v_add_f64 v[0:1], v[0:1], v[19:20]
	v_add_f64 v[2:3], v[2:3], v[12:13]
.LBB564_26:
	flat_store_dwordx4 v[4:5], v[0:3]
.LBB564_27:
	s_or_b32 exec_lo, exec_lo, s2
	v_cmp_le_i32_e32 vcc_lo, v6, v18
	s_and_b32 s0, s0, vcc_lo
	s_and_saveexec_b32 s1, s0
	s_cbranch_execz .LBB564_32
; %bb.28:
	v_mul_f64 v[0:1], s[16:17], v[8:9]
	v_mul_f64 v[2:3], s[14:15], v[8:9]
	v_lshlrev_b64 v[4:5], 4, v[6:7]
	v_cmp_ne_u32_e32 vcc_lo, 1, v24
	s_and_b32 vcc_lo, exec_lo, vcc_lo
	v_add_co_u32 v4, s0, v16, v4
	v_add_co_ci_u32_e64 v5, null, v17, v5, s0
	v_fma_f64 v[0:1], s[14:15], v[10:11], -v[0:1]
	v_fma_f64 v[2:3], s[16:17], v[10:11], v[2:3]
	s_cbranch_vccnz .LBB564_30
; %bb.29:
	flat_load_dwordx4 v[6:9], v[4:5]
	s_waitcnt vmcnt(0) lgkmcnt(0)
	v_mul_f64 v[10:11], s[40:41], v[8:9]
	v_mul_f64 v[8:9], s[38:39], v[8:9]
	v_fma_f64 v[10:11], s[38:39], v[6:7], -v[10:11]
	v_fma_f64 v[6:7], s[40:41], v[6:7], v[8:9]
	v_add_f64 v[0:1], v[0:1], v[10:11]
	v_add_f64 v[2:3], v[2:3], v[6:7]
.LBB564_30:
	flat_store_dwordx4 v[4:5], v[0:3]
	s_endpgm
.LBB564_31:
.LBB564_32:
	s_endpgm
	.section	.rodata,"a",@progbits
	.p2align	6, 0x0
	.amdhsa_kernel _ZL29rocblas_internal_gemmt_kernelIlLi16ELi32ELi8ELc67ELc78ELc85ELb1ELb0E19rocblas_complex_numIdES1_PKPKS1_PKPS1_EviT_T9_T10_S9_lSB_S9_lSA_T11_S9_li
		.amdhsa_group_segment_fixed_size 8192
		.amdhsa_private_segment_fixed_size 0
		.amdhsa_kernarg_size 124
		.amdhsa_user_sgpr_count 6
		.amdhsa_user_sgpr_private_segment_buffer 1
		.amdhsa_user_sgpr_dispatch_ptr 0
		.amdhsa_user_sgpr_queue_ptr 0
		.amdhsa_user_sgpr_kernarg_segment_ptr 1
		.amdhsa_user_sgpr_dispatch_id 0
		.amdhsa_user_sgpr_flat_scratch_init 0
		.amdhsa_user_sgpr_private_segment_size 0
		.amdhsa_wavefront_size32 1
		.amdhsa_uses_dynamic_stack 0
		.amdhsa_system_sgpr_private_segment_wavefront_offset 0
		.amdhsa_system_sgpr_workgroup_id_x 1
		.amdhsa_system_sgpr_workgroup_id_y 1
		.amdhsa_system_sgpr_workgroup_id_z 1
		.amdhsa_system_sgpr_workgroup_info 0
		.amdhsa_system_vgpr_workitem_id 1
		.amdhsa_next_free_vgpr 126
		.amdhsa_next_free_sgpr 44
		.amdhsa_reserve_vcc 1
		.amdhsa_reserve_flat_scratch 0
		.amdhsa_float_round_mode_32 0
		.amdhsa_float_round_mode_16_64 0
		.amdhsa_float_denorm_mode_32 3
		.amdhsa_float_denorm_mode_16_64 3
		.amdhsa_dx10_clamp 1
		.amdhsa_ieee_mode 1
		.amdhsa_fp16_overflow 0
		.amdhsa_workgroup_processor_mode 1
		.amdhsa_memory_ordered 1
		.amdhsa_forward_progress 1
		.amdhsa_shared_vgpr_count 0
		.amdhsa_exception_fp_ieee_invalid_op 0
		.amdhsa_exception_fp_denorm_src 0
		.amdhsa_exception_fp_ieee_div_zero 0
		.amdhsa_exception_fp_ieee_overflow 0
		.amdhsa_exception_fp_ieee_underflow 0
		.amdhsa_exception_fp_ieee_inexact 0
		.amdhsa_exception_int_div_zero 0
	.end_amdhsa_kernel
	.section	.text._ZL29rocblas_internal_gemmt_kernelIlLi16ELi32ELi8ELc67ELc78ELc85ELb1ELb0E19rocblas_complex_numIdES1_PKPKS1_PKPS1_EviT_T9_T10_S9_lSB_S9_lSA_T11_S9_li,"axG",@progbits,_ZL29rocblas_internal_gemmt_kernelIlLi16ELi32ELi8ELc67ELc78ELc85ELb1ELb0E19rocblas_complex_numIdES1_PKPKS1_PKPS1_EviT_T9_T10_S9_lSB_S9_lSA_T11_S9_li,comdat
.Lfunc_end564:
	.size	_ZL29rocblas_internal_gemmt_kernelIlLi16ELi32ELi8ELc67ELc78ELc85ELb1ELb0E19rocblas_complex_numIdES1_PKPKS1_PKPS1_EviT_T9_T10_S9_lSB_S9_lSA_T11_S9_li, .Lfunc_end564-_ZL29rocblas_internal_gemmt_kernelIlLi16ELi32ELi8ELc67ELc78ELc85ELb1ELb0E19rocblas_complex_numIdES1_PKPKS1_PKPS1_EviT_T9_T10_S9_lSB_S9_lSA_T11_S9_li
                                        ; -- End function
	.set _ZL29rocblas_internal_gemmt_kernelIlLi16ELi32ELi8ELc67ELc78ELc85ELb1ELb0E19rocblas_complex_numIdES1_PKPKS1_PKPS1_EviT_T9_T10_S9_lSB_S9_lSA_T11_S9_li.num_vgpr, 126
	.set _ZL29rocblas_internal_gemmt_kernelIlLi16ELi32ELi8ELc67ELc78ELc85ELb1ELb0E19rocblas_complex_numIdES1_PKPKS1_PKPS1_EviT_T9_T10_S9_lSB_S9_lSA_T11_S9_li.num_agpr, 0
	.set _ZL29rocblas_internal_gemmt_kernelIlLi16ELi32ELi8ELc67ELc78ELc85ELb1ELb0E19rocblas_complex_numIdES1_PKPKS1_PKPS1_EviT_T9_T10_S9_lSB_S9_lSA_T11_S9_li.numbered_sgpr, 44
	.set _ZL29rocblas_internal_gemmt_kernelIlLi16ELi32ELi8ELc67ELc78ELc85ELb1ELb0E19rocblas_complex_numIdES1_PKPKS1_PKPS1_EviT_T9_T10_S9_lSB_S9_lSA_T11_S9_li.num_named_barrier, 0
	.set _ZL29rocblas_internal_gemmt_kernelIlLi16ELi32ELi8ELc67ELc78ELc85ELb1ELb0E19rocblas_complex_numIdES1_PKPKS1_PKPS1_EviT_T9_T10_S9_lSB_S9_lSA_T11_S9_li.private_seg_size, 0
	.set _ZL29rocblas_internal_gemmt_kernelIlLi16ELi32ELi8ELc67ELc78ELc85ELb1ELb0E19rocblas_complex_numIdES1_PKPKS1_PKPS1_EviT_T9_T10_S9_lSB_S9_lSA_T11_S9_li.uses_vcc, 1
	.set _ZL29rocblas_internal_gemmt_kernelIlLi16ELi32ELi8ELc67ELc78ELc85ELb1ELb0E19rocblas_complex_numIdES1_PKPKS1_PKPS1_EviT_T9_T10_S9_lSB_S9_lSA_T11_S9_li.uses_flat_scratch, 0
	.set _ZL29rocblas_internal_gemmt_kernelIlLi16ELi32ELi8ELc67ELc78ELc85ELb1ELb0E19rocblas_complex_numIdES1_PKPKS1_PKPS1_EviT_T9_T10_S9_lSB_S9_lSA_T11_S9_li.has_dyn_sized_stack, 0
	.set _ZL29rocblas_internal_gemmt_kernelIlLi16ELi32ELi8ELc67ELc78ELc85ELb1ELb0E19rocblas_complex_numIdES1_PKPKS1_PKPS1_EviT_T9_T10_S9_lSB_S9_lSA_T11_S9_li.has_recursion, 0
	.set _ZL29rocblas_internal_gemmt_kernelIlLi16ELi32ELi8ELc67ELc78ELc85ELb1ELb0E19rocblas_complex_numIdES1_PKPKS1_PKPS1_EviT_T9_T10_S9_lSB_S9_lSA_T11_S9_li.has_indirect_call, 0
	.section	.AMDGPU.csdata,"",@progbits
; Kernel info:
; codeLenInByte = 3564
; TotalNumSgprs: 46
; NumVgprs: 126
; ScratchSize: 0
; MemoryBound: 1
; FloatMode: 240
; IeeeMode: 1
; LDSByteSize: 8192 bytes/workgroup (compile time only)
; SGPRBlocks: 0
; VGPRBlocks: 15
; NumSGPRsForWavesPerEU: 46
; NumVGPRsForWavesPerEU: 126
; Occupancy: 8
; WaveLimiterHint : 1
; COMPUTE_PGM_RSRC2:SCRATCH_EN: 0
; COMPUTE_PGM_RSRC2:USER_SGPR: 6
; COMPUTE_PGM_RSRC2:TRAP_HANDLER: 0
; COMPUTE_PGM_RSRC2:TGID_X_EN: 1
; COMPUTE_PGM_RSRC2:TGID_Y_EN: 1
; COMPUTE_PGM_RSRC2:TGID_Z_EN: 1
; COMPUTE_PGM_RSRC2:TIDIG_COMP_CNT: 1
	.section	.text._ZL29rocblas_internal_gemmt_kernelIlLi16ELi32ELi8ELc67ELc84ELc85ELb1ELb0E19rocblas_complex_numIdES1_PKPKS1_PKPS1_EviT_T9_T10_S9_lSB_S9_lSA_T11_S9_li,"axG",@progbits,_ZL29rocblas_internal_gemmt_kernelIlLi16ELi32ELi8ELc67ELc84ELc85ELb1ELb0E19rocblas_complex_numIdES1_PKPKS1_PKPS1_EviT_T9_T10_S9_lSB_S9_lSA_T11_S9_li,comdat
	.globl	_ZL29rocblas_internal_gemmt_kernelIlLi16ELi32ELi8ELc67ELc84ELc85ELb1ELb0E19rocblas_complex_numIdES1_PKPKS1_PKPS1_EviT_T9_T10_S9_lSB_S9_lSA_T11_S9_li ; -- Begin function _ZL29rocblas_internal_gemmt_kernelIlLi16ELi32ELi8ELc67ELc84ELc85ELb1ELb0E19rocblas_complex_numIdES1_PKPKS1_PKPS1_EviT_T9_T10_S9_lSB_S9_lSA_T11_S9_li
	.p2align	8
	.type	_ZL29rocblas_internal_gemmt_kernelIlLi16ELi32ELi8ELc67ELc84ELc85ELb1ELb0E19rocblas_complex_numIdES1_PKPKS1_PKPS1_EviT_T9_T10_S9_lSB_S9_lSA_T11_S9_li,@function
_ZL29rocblas_internal_gemmt_kernelIlLi16ELi32ELi8ELc67ELc84ELc85ELb1ELb0E19rocblas_complex_numIdES1_PKPKS1_PKPS1_EviT_T9_T10_S9_lSB_S9_lSA_T11_S9_li: ; @_ZL29rocblas_internal_gemmt_kernelIlLi16ELi32ELi8ELc67ELc84ELc85ELb1ELb0E19rocblas_complex_numIdES1_PKPKS1_PKPS1_EviT_T9_T10_S9_lSB_S9_lSA_T11_S9_li
; %bb.0:
	s_clause 0x1
	s_load_dwordx8 s[36:43], s[4:5], 0x48
	s_load_dwordx16 s[12:27], s[4:5], 0x8
	s_waitcnt lgkmcnt(0)
	v_cmp_eq_f64_e64 s0, s[38:39], 1.0
	v_cmp_eq_f64_e64 s29, s[40:41], 0
	s_and_b32 s0, s0, s29
	s_andn2_b32 vcc_lo, exec_lo, s0
	s_mov_b32 s0, -1
	s_cbranch_vccnz .LBB565_3
; %bb.1:
	s_cmp_lg_u64 s[12:13], 0
	s_cbranch_scc0 .LBB565_31
; %bb.2:
	v_cmp_neq_f64_e64 s0, s[14:15], 0
	v_cmp_neq_f64_e64 s1, s[16:17], 0
	s_or_b32 s0, s0, s1
.LBB565_3:
	s_and_b32 vcc_lo, exec_lo, s0
	s_cbranch_vccz .LBB565_32
; %bb.4:
	v_cmp_eq_f64_e64 s30, s[14:15], 0
	v_cmp_eq_f64_e64 s31, s[16:17], 0
	s_mov_b32 s9, 0
	v_mov_b32_e32 v20, 0
	s_lshl_b64 s[0:1], s[8:9], 3
	v_mov_b32_e32 v22, 0
	s_add_u32 s2, s42, s0
	s_addc_u32 s3, s43, s1
	s_clause 0x1
	s_load_dwordx4 s[8:11], s[4:5], 0x68
	s_load_dword s28, s[4:5], 0x0
	s_load_dwordx2 s[2:3], s[2:3], 0x0
	v_cmp_lt_i64_e64 s4, s[12:13], 1
	v_mov_b32_e32 v18, 0
	v_mov_b32_e32 v16, 0
	;; [unrolled: 1-line block ×13, first 2 shown]
	s_and_b32 s5, s30, s31
	v_mov_b32_e32 v9, 0
	s_or_b32 s4, s5, s4
	s_lshl_b32 s6, s6, 5
	s_and_b32 vcc_lo, exec_lo, s4
	s_lshl_b32 s7, s7, 5
	s_cbranch_vccnz .LBB565_15
; %bb.5:
	s_add_u32 s4, s24, s0
	s_addc_u32 s5, s25, s1
	s_lshl_b64 s[24:25], s[36:37], 4
	s_load_dwordx2 s[4:5], s[4:5], 0x0
	v_lshl_add_u32 v2, v1, 4, v0
	v_and_b32_e32 v24, 7, v0
	v_mov_b32_e32 v8, 0
	v_mov_b32_e32 v10, 0
	;; [unrolled: 1-line block ×3, first 2 shown]
	v_and_b32_e32 v3, 31, v2
	v_lshrrev_b32_e32 v6, 3, v2
	v_lshrrev_b32_e32 v27, 5, v2
	v_lshlrev_b32_e32 v28, 4, v24
	v_mov_b32_e32 v14, 0
	v_or_b32_e32 v7, s6, v3
	v_add_nc_u32_e32 v2, s7, v6
	v_lshlrev_b32_e32 v29, 4, v3
	v_lshl_or_b32 v31, v6, 7, v28
	v_mov_b32_e32 v16, 0
	v_mul_lo_u32 v30, s21, v7
	v_mad_u64_u32 v[4:5], null, s20, v7, 0
	v_ashrrev_i32_e32 v3, 31, v2
	s_waitcnt lgkmcnt(0)
	s_add_u32 s24, s4, s24
	s_addc_u32 s25, s5, s25
	s_add_u32 s0, s18, s0
	s_addc_u32 s1, s19, s1
	s_lshl_b64 s[4:5], s[22:23], 4
	s_load_dwordx2 s[0:1], s[0:1], 0x0
	v_cmp_gt_i32_e32 vcc_lo, s28, v2
	v_lshl_or_b32 v28, v27, 9, v29
	v_add_nc_u32_e32 v29, 0x1000, v31
	v_mov_b32_e32 v18, 0
	v_mov_b32_e32 v22, 0
	;; [unrolled: 1-line block ×3, first 2 shown]
	v_lshlrev_b32_e32 v25, 4, v0
	v_lshl_add_u32 v26, v1, 7, 0x1000
	v_mov_b32_e32 v9, 0
	v_mov_b32_e32 v11, 0
	;; [unrolled: 1-line block ×8, first 2 shown]
	s_waitcnt lgkmcnt(0)
	s_add_u32 s4, s0, s4
	s_addc_u32 s5, s1, s5
	s_ashr_i32 s0, s6, 31
	s_mul_i32 s1, s20, s0
	v_cmp_gt_i32_e64 s0, s28, v7
	v_add3_u32 v5, v5, s1, v30
	v_lshlrev_b64 v[6:7], 4, v[2:3]
	v_lshlrev_b64 v[2:3], 4, v[4:5]
	v_add_co_u32 v30, s1, s24, v6
	v_add_co_ci_u32_e64 v31, null, s25, v7, s1
	v_add_co_u32 v32, s1, s4, v2
	v_add_co_ci_u32_e64 v33, null, s5, v3, s1
	v_mov_b32_e32 v3, 0
	s_mov_b64 s[4:5], 0
	s_xor_b32 s1, vcc_lo, -1
	s_branch .LBB565_7
.LBB565_6:                              ;   in Loop: Header=BB565_7 Depth=1
	s_or_b32 exec_lo, exec_lo, s18
	s_waitcnt lgkmcnt(0)
	s_barrier
	buffer_gl0_inv
	ds_read_b128 v[4:7], v26
	ds_read_b128 v[34:37], v25
	ds_read_b128 v[38:41], v25 offset:256
	ds_read_b128 v[42:45], v26 offset:2048
	;; [unrolled: 1-line block ×12, first 2 shown]
	s_add_u32 s4, s4, 8
	s_addc_u32 s5, s5, 0
	v_cmp_gt_i64_e64 s18, s[12:13], s[4:5]
	s_and_b32 vcc_lo, exec_lo, s18
	s_waitcnt lgkmcnt(12)
	v_mul_f64 v[86:87], v[6:7], v[36:37]
	v_mul_f64 v[88:89], v[4:5], v[36:37]
	s_waitcnt lgkmcnt(11)
	v_mul_f64 v[90:91], v[6:7], v[40:41]
	v_mul_f64 v[92:93], v[4:5], v[40:41]
	;; [unrolled: 3-line block ×3, first 2 shown]
	v_mul_f64 v[96:97], v[44:45], v[40:41]
	v_mul_f64 v[40:41], v[42:43], v[40:41]
	s_waitcnt lgkmcnt(8)
	v_mul_f64 v[98:99], v[48:49], v[52:53]
	v_mul_f64 v[100:101], v[46:47], v[52:53]
	s_waitcnt lgkmcnt(7)
	;; [unrolled: 3-line block ×3, first 2 shown]
	v_mul_f64 v[106:107], v[60:61], v[52:53]
	v_mul_f64 v[52:53], v[58:59], v[52:53]
	;; [unrolled: 1-line block ×4, first 2 shown]
	s_waitcnt lgkmcnt(3)
	v_mul_f64 v[112:113], v[72:73], v[64:65]
	v_mul_f64 v[116:117], v[70:71], v[64:65]
	;; [unrolled: 1-line block ×4, first 2 shown]
	s_waitcnt lgkmcnt(1)
	v_mul_f64 v[122:123], v[80:81], v[64:65]
	v_mul_f64 v[64:65], v[78:79], v[64:65]
	v_fma_f64 v[86:87], v[4:5], v[34:35], -v[86:87]
	v_fma_f64 v[88:89], v[6:7], v[34:35], v[88:89]
	v_fma_f64 v[90:91], v[4:5], v[38:39], -v[90:91]
	v_fma_f64 v[92:93], v[6:7], v[38:39], v[92:93]
	;; [unrolled: 2-line block ×8, first 2 shown]
	ds_read_b128 v[4:7], v25 offset:1536
	ds_read_b128 v[34:37], v25 offset:1792
	;; [unrolled: 1-line block ×6, first 2 shown]
	v_add_f64 v[54:55], v[20:21], v[86:87]
	v_add_f64 v[22:23], v[88:89], v[22:23]
	;; [unrolled: 1-line block ×3, first 2 shown]
	v_mul_f64 v[86:87], v[80:81], v[68:69]
	v_mul_f64 v[68:69], v[78:79], v[68:69]
	v_add_f64 v[88:89], v[92:93], v[16:17]
	v_add_f64 v[92:93], v[14:15], v[94:95]
	;; [unrolled: 1-line block ×5, first 2 shown]
	v_fma_f64 v[90:91], v[70:71], v[62:63], -v[112:113]
	v_fma_f64 v[94:95], v[72:73], v[62:63], v[116:117]
	v_fma_f64 v[70:71], v[70:71], v[66:67], -v[118:119]
	v_fma_f64 v[72:73], v[72:73], v[66:67], v[120:121]
	s_waitcnt lgkmcnt(5)
	v_mul_f64 v[108:109], v[76:77], v[6:7]
	v_mul_f64 v[110:111], v[74:75], v[6:7]
	v_fma_f64 v[112:113], v[78:79], v[62:63], -v[122:123]
	v_fma_f64 v[62:63], v[80:81], v[62:63], v[64:65]
	s_waitcnt lgkmcnt(4)
	v_mul_f64 v[64:65], v[76:77], v[36:37]
	v_mul_f64 v[116:117], v[74:75], v[36:37]
	ds_read_b128 v[14:17], v25 offset:2560
	ds_read_b128 v[18:21], v25 offset:2816
	v_add_f64 v[98:99], v[54:55], v[98:99]
	v_add_f64 v[22:23], v[100:101], v[22:23]
	v_add_f64 v[100:101], v[56:57], v[102:103]
	v_mul_f64 v[102:103], v[84:85], v[6:7]
	v_mul_f64 v[6:7], v[82:83], v[6:7]
	v_add_f64 v[88:89], v[104:105], v[88:89]
	v_add_f64 v[92:93], v[92:93], v[106:107]
	v_fma_f64 v[78:79], v[78:79], v[66:67], -v[86:87]
	v_fma_f64 v[66:67], v[80:81], v[66:67], v[68:69]
	v_mul_f64 v[68:69], v[84:85], v[36:37]
	v_mul_f64 v[36:37], v[82:83], v[36:37]
	v_add_f64 v[12:13], v[124:125], v[12:13]
	v_add_f64 v[58:59], v[96:97], v[58:59]
	;; [unrolled: 1-line block ×3, first 2 shown]
	ds_read_b128 v[8:11], v26 offset:2112
	ds_read_b128 v[54:57], v26 offset:2128
	s_waitcnt lgkmcnt(5)
	v_mul_f64 v[80:81], v[48:49], v[40:41]
	v_mul_f64 v[86:87], v[46:47], v[40:41]
	;; [unrolled: 1-line block ×4, first 2 shown]
	v_fma_f64 v[106:107], v[74:75], v[4:5], -v[108:109]
	v_fma_f64 v[108:109], v[76:77], v[4:5], v[110:111]
	v_fma_f64 v[64:65], v[74:75], v[34:35], -v[64:65]
	v_fma_f64 v[74:75], v[76:77], v[34:35], v[116:117]
	v_add_f64 v[90:91], v[98:99], v[90:91]
	v_add_f64 v[22:23], v[94:95], v[22:23]
	;; [unrolled: 1-line block ×3, first 2 shown]
	v_fma_f64 v[94:95], v[82:83], v[4:5], -v[102:103]
	v_add_f64 v[72:73], v[72:73], v[88:89]
	v_add_f64 v[88:89], v[92:93], v[112:113]
	v_fma_f64 v[4:5], v[84:85], v[4:5], v[6:7]
	s_waitcnt lgkmcnt(3)
	v_mul_f64 v[98:99], v[52:53], v[16:17]
	v_fma_f64 v[6:7], v[82:83], v[34:35], -v[68:69]
	v_fma_f64 v[68:69], v[84:85], v[34:35], v[36:37]
	s_waitcnt lgkmcnt(1)
	v_mul_f64 v[76:77], v[10:11], v[40:41]
	v_mul_f64 v[40:41], v[8:9], v[40:41]
	;; [unrolled: 1-line block ×4, first 2 shown]
	v_add_f64 v[12:13], v[62:63], v[12:13]
	v_add_f64 v[58:59], v[58:59], v[78:79]
	;; [unrolled: 1-line block ×3, first 2 shown]
	v_mul_f64 v[100:101], v[50:51], v[16:17]
	v_mul_f64 v[62:63], v[52:53], v[20:21]
	v_fma_f64 v[78:79], v[46:47], v[38:39], -v[80:81]
	v_fma_f64 v[80:81], v[48:49], v[38:39], v[86:87]
	v_fma_f64 v[46:47], v[46:47], v[42:43], -v[104:105]
	v_fma_f64 v[48:49], v[48:49], v[42:43], v[96:97]
	v_add_f64 v[66:67], v[90:91], v[106:107]
	v_add_f64 v[82:83], v[108:109], v[22:23]
	;; [unrolled: 1-line block ×5, first 2 shown]
	s_waitcnt lgkmcnt(0)
	v_mul_f64 v[84:85], v[56:57], v[16:17]
	v_mul_f64 v[16:17], v[54:55], v[16:17]
	;; [unrolled: 1-line block ×4, first 2 shown]
	v_fma_f64 v[70:71], v[8:9], v[38:39], -v[76:77]
	v_mul_f64 v[76:77], v[50:51], v[20:21]
	v_fma_f64 v[90:91], v[10:11], v[38:39], v[40:41]
	v_fma_f64 v[8:9], v[8:9], v[42:43], -v[92:93]
	v_add_f64 v[12:13], v[4:5], v[12:13]
	v_add_f64 v[58:59], v[58:59], v[6:7]
	v_fma_f64 v[42:43], v[10:11], v[42:43], v[44:45]
	v_add_f64 v[44:45], v[68:69], v[60:61]
	ds_read_b128 v[4:7], v26 offset:96
	ds_read_b128 v[20:23], v25 offset:3072
	;; [unrolled: 1-line block ×4, first 2 shown]
	v_add_f64 v[60:61], v[66:67], v[78:79]
	v_add_f64 v[66:67], v[80:81], v[82:83]
	;; [unrolled: 1-line block ×3, first 2 shown]
	v_fma_f64 v[64:65], v[50:51], v[14:15], -v[98:99]
	v_add_f64 v[48:49], v[48:49], v[72:73]
	v_fma_f64 v[50:51], v[50:51], v[18:19], -v[62:63]
	v_fma_f64 v[62:63], v[54:55], v[14:15], -v[84:85]
	v_fma_f64 v[72:73], v[56:57], v[14:15], v[16:17]
	v_fma_f64 v[54:55], v[54:55], v[18:19], -v[86:87]
	v_add_f64 v[68:69], v[74:75], v[70:71]
	v_fma_f64 v[70:71], v[52:53], v[14:15], v[100:101]
	v_fma_f64 v[52:53], v[52:53], v[18:19], v[76:77]
	v_fma_f64 v[56:57], v[56:57], v[18:19], v[88:89]
	v_add_f64 v[74:75], v[90:91], v[12:13]
	v_add_f64 v[58:59], v[58:59], v[8:9]
	s_waitcnt lgkmcnt(2)
	v_mul_f64 v[76:77], v[6:7], v[22:23]
	v_mul_f64 v[78:79], v[4:5], v[22:23]
	s_waitcnt lgkmcnt(1)
	v_mul_f64 v[80:81], v[6:7], v[36:37]
	v_mul_f64 v[82:83], v[4:5], v[36:37]
	;; [unrolled: 3-line block ×3, first 2 shown]
	v_mul_f64 v[86:87], v[40:41], v[36:37]
	v_add_f64 v[88:89], v[42:43], v[44:45]
	v_mul_f64 v[36:37], v[38:39], v[36:37]
	ds_read_b128 v[8:11], v26 offset:112
	ds_read_b128 v[12:15], v26 offset:2160
	;; [unrolled: 1-line block ×4, first 2 shown]
	v_add_f64 v[60:61], v[60:61], v[64:65]
	v_add_f64 v[46:47], v[46:47], v[50:51]
	s_waitcnt lgkmcnt(0)
	s_barrier
	v_add_f64 v[50:51], v[68:69], v[62:63]
	v_add_f64 v[64:65], v[70:71], v[66:67]
	;; [unrolled: 1-line block ×3, first 2 shown]
	buffer_gl0_inv
	v_add_f64 v[52:53], v[72:73], v[74:75]
	v_add_f64 v[54:55], v[58:59], v[54:55]
	v_fma_f64 v[58:59], v[4:5], v[20:21], -v[76:77]
	v_fma_f64 v[62:63], v[6:7], v[20:21], v[78:79]
	v_fma_f64 v[4:5], v[4:5], v[34:35], -v[80:81]
	v_fma_f64 v[6:7], v[6:7], v[34:35], v[82:83]
	;; [unrolled: 2-line block ×3, first 2 shown]
	v_fma_f64 v[22:23], v[38:39], v[34:35], -v[86:87]
	v_add_f64 v[38:39], v[56:57], v[88:89]
	v_fma_f64 v[34:35], v[40:41], v[34:35], v[36:37]
	v_mul_f64 v[36:37], v[10:11], v[18:19]
	v_mul_f64 v[40:41], v[8:9], v[18:19]
	;; [unrolled: 1-line block ×8, first 2 shown]
	v_add_f64 v[58:59], v[60:61], v[58:59]
	v_add_f64 v[60:61], v[62:63], v[64:65]
	;; [unrolled: 1-line block ×8, first 2 shown]
	v_fma_f64 v[20:21], v[8:9], v[16:17], -v[36:37]
	v_fma_f64 v[22:23], v[10:11], v[16:17], v[40:41]
	v_fma_f64 v[8:9], v[8:9], v[42:43], -v[56:57]
	v_fma_f64 v[10:11], v[10:11], v[42:43], v[68:69]
	;; [unrolled: 2-line block ×4, first 2 shown]
	v_add_f64 v[20:21], v[58:59], v[20:21]
	v_add_f64 v[22:23], v[22:23], v[60:61]
	;; [unrolled: 1-line block ×8, first 2 shown]
	s_cbranch_vccz .LBB565_15
.LBB565_7:                              ; =>This Inner Loop Header: Depth=1
	v_mov_b32_e32 v4, 0
	v_mov_b32_e32 v6, 0
	;; [unrolled: 1-line block ×4, first 2 shown]
	s_and_saveexec_b32 s18, s0
	s_cbranch_execz .LBB565_11
; %bb.8:                                ;   in Loop: Header=BB565_7 Depth=1
	v_mov_b32_e32 v6, 0
	v_mov_b32_e32 v4, 0
	v_add_nc_u32_e32 v2, s4, v27
	v_mov_b32_e32 v7, 0
	v_mov_b32_e32 v5, 0
	s_mov_b32 s19, exec_lo
	v_cmpx_gt_u64_e64 s[12:13], v[2:3]
	s_cbranch_execz .LBB565_10
; %bb.9:                                ;   in Loop: Header=BB565_7 Depth=1
	v_lshlrev_b64 v[4:5], 4, v[2:3]
	v_add_co_u32 v4, vcc_lo, v32, v4
	v_add_co_ci_u32_e64 v5, null, v33, v5, vcc_lo
	flat_load_dwordx4 v[4:7], v[4:5]
	s_waitcnt vmcnt(0) lgkmcnt(0)
	v_xor_b32_e32 v7, 0x80000000, v7
.LBB565_10:                             ;   in Loop: Header=BB565_7 Depth=1
	s_or_b32 exec_lo, exec_lo, s19
.LBB565_11:                             ;   in Loop: Header=BB565_7 Depth=1
	s_or_b32 exec_lo, exec_lo, s18
	v_add_nc_u32_e32 v2, s4, v24
	ds_write_b128 v28, v[4:7]
	v_cmp_le_u64_e32 vcc_lo, s[12:13], v[2:3]
	s_or_b32 s18, vcc_lo, s1
	s_and_saveexec_b32 s19, s18
	s_xor_b32 s18, exec_lo, s19
	s_cbranch_execz .LBB565_13
; %bb.12:                               ;   in Loop: Header=BB565_7 Depth=1
	v_mov_b32_e32 v2, v3
	v_mov_b32_e32 v4, v3
	;; [unrolled: 1-line block ×3, first 2 shown]
	ds_write_b128 v29, v[2:5]
.LBB565_13:                             ;   in Loop: Header=BB565_7 Depth=1
	s_andn2_saveexec_b32 s18, s18
	s_cbranch_execz .LBB565_6
; %bb.14:                               ;   in Loop: Header=BB565_7 Depth=1
	v_mad_u64_u32 v[4:5], null, s26, v2, 0
	v_mad_u64_u32 v[5:6], null, s27, v2, v[5:6]
	v_lshlrev_b64 v[4:5], 4, v[4:5]
	v_add_co_u32 v4, vcc_lo, v30, v4
	v_add_co_ci_u32_e64 v5, null, v31, v5, vcc_lo
	flat_load_dwordx4 v[4:7], v[4:5]
	s_waitcnt vmcnt(0) lgkmcnt(0)
	ds_write2_b64 v29, v[4:5], v[6:7] offset1:1
	s_branch .LBB565_6
.LBB565_15:
	v_add_nc_u32_e32 v25, s7, v1
	v_cmp_neq_f64_e64 s4, s[38:39], 0
	s_waitcnt lgkmcnt(0)
	s_lshl_b64 s[0:1], s[10:11], 4
	s_add_u32 s2, s2, s0
	v_ashrrev_i32_e32 v3, 31, v25
	v_mul_lo_u32 v4, s9, v25
	v_mad_u64_u32 v[1:2], null, s8, v25, 0
	s_addc_u32 s3, s3, s1
	v_mul_lo_u32 v3, s8, v3
	s_xor_b32 s5, s29, -1
	v_cmp_gt_i32_e64 s0, s28, v25
	v_add3_u32 v2, v2, v3, v4
	v_add_nc_u32_e32 v4, s6, v0
	s_or_b32 s4, s4, s5
	v_lshlrev_b64 v[0:1], 4, v[1:2]
	v_cmp_le_i32_e32 vcc_lo, v4, v25
	v_ashrrev_i32_e32 v5, 31, v4
	v_cndmask_b32_e64 v24, 0, 1, s4
	s_and_b32 s5, s0, vcc_lo
	v_add_co_u32 v26, s1, s2, v0
	v_add_co_ci_u32_e64 v27, null, s3, v1, s1
	s_and_saveexec_b32 s1, s5
	s_cbranch_execz .LBB565_19
; %bb.16:
	v_mul_f64 v[0:1], s[16:17], v[22:23]
	v_mul_f64 v[2:3], s[14:15], v[22:23]
	v_lshlrev_b64 v[6:7], 4, v[4:5]
	v_add_co_u32 v6, vcc_lo, v26, v6
	v_add_co_ci_u32_e64 v7, null, v27, v7, vcc_lo
	s_andn2_b32 vcc_lo, exec_lo, s4
	v_fma_f64 v[0:1], s[14:15], v[20:21], -v[0:1]
	v_fma_f64 v[2:3], s[16:17], v[20:21], v[2:3]
	s_cbranch_vccnz .LBB565_18
; %bb.17:
	flat_load_dwordx4 v[20:23], v[6:7]
	s_waitcnt vmcnt(0) lgkmcnt(0)
	v_mul_f64 v[28:29], s[40:41], v[22:23]
	v_mul_f64 v[22:23], s[38:39], v[22:23]
	v_fma_f64 v[28:29], s[38:39], v[20:21], -v[28:29]
	v_fma_f64 v[20:21], s[40:41], v[20:21], v[22:23]
	v_add_f64 v[0:1], v[0:1], v[28:29]
	v_add_f64 v[2:3], v[2:3], v[20:21]
.LBB565_18:
	flat_store_dwordx4 v[6:7], v[0:3]
.LBB565_19:
	s_or_b32 exec_lo, exec_lo, s1
	v_add_nc_u32_e32 v6, 16, v4
	v_cmp_le_i32_e32 vcc_lo, v6, v25
	v_ashrrev_i32_e32 v7, 31, v6
	s_and_b32 s0, s0, vcc_lo
	s_and_saveexec_b32 s1, s0
	s_cbranch_execz .LBB565_23
; %bb.20:
	v_mul_f64 v[0:1], s[16:17], v[16:17]
	v_mul_f64 v[2:3], s[14:15], v[16:17]
	v_lshlrev_b64 v[16:17], 4, v[6:7]
	v_cmp_ne_u32_e32 vcc_lo, 1, v24
	s_and_b32 vcc_lo, exec_lo, vcc_lo
	v_add_co_u32 v16, s0, v26, v16
	v_add_co_ci_u32_e64 v17, null, v27, v17, s0
	v_fma_f64 v[0:1], s[14:15], v[18:19], -v[0:1]
	v_fma_f64 v[2:3], s[16:17], v[18:19], v[2:3]
	s_cbranch_vccnz .LBB565_22
; %bb.21:
	flat_load_dwordx4 v[18:21], v[16:17]
	s_waitcnt vmcnt(0) lgkmcnt(0)
	v_mul_f64 v[22:23], s[40:41], v[20:21]
	v_mul_f64 v[20:21], s[38:39], v[20:21]
	v_fma_f64 v[22:23], s[38:39], v[18:19], -v[22:23]
	v_fma_f64 v[18:19], s[40:41], v[18:19], v[20:21]
	v_add_f64 v[0:1], v[0:1], v[22:23]
	v_add_f64 v[2:3], v[2:3], v[18:19]
.LBB565_22:
	flat_store_dwordx4 v[16:17], v[0:3]
.LBB565_23:
	s_or_b32 exec_lo, exec_lo, s1
	v_add_nc_u32_e32 v18, 16, v25
	v_ashrrev_i32_e32 v2, 31, v18
	v_mul_lo_u32 v3, s9, v18
	v_mad_u64_u32 v[0:1], null, s8, v18, 0
	v_cmp_gt_i32_e64 s0, s28, v18
	v_mul_lo_u32 v2, s8, v2
	v_cmp_le_i32_e32 vcc_lo, v4, v18
	v_add3_u32 v1, v1, v2, v3
	v_lshlrev_b64 v[0:1], 4, v[0:1]
	v_add_co_u32 v16, s1, s2, v0
	v_add_co_ci_u32_e64 v17, null, s3, v1, s1
	s_and_b32 s1, s0, vcc_lo
	s_and_saveexec_b32 s2, s1
	s_cbranch_execz .LBB565_27
; %bb.24:
	v_mul_f64 v[0:1], s[16:17], v[12:13]
	v_mul_f64 v[2:3], s[14:15], v[12:13]
	v_lshlrev_b64 v[4:5], 4, v[4:5]
	v_cmp_ne_u32_e32 vcc_lo, 1, v24
	s_and_b32 vcc_lo, exec_lo, vcc_lo
	v_add_co_u32 v4, s1, v16, v4
	v_add_co_ci_u32_e64 v5, null, v17, v5, s1
	v_fma_f64 v[0:1], s[14:15], v[14:15], -v[0:1]
	v_fma_f64 v[2:3], s[16:17], v[14:15], v[2:3]
	s_cbranch_vccnz .LBB565_26
; %bb.25:
	flat_load_dwordx4 v[12:15], v[4:5]
	s_waitcnt vmcnt(0) lgkmcnt(0)
	v_mul_f64 v[19:20], s[40:41], v[14:15]
	v_mul_f64 v[14:15], s[38:39], v[14:15]
	v_fma_f64 v[19:20], s[38:39], v[12:13], -v[19:20]
	v_fma_f64 v[12:13], s[40:41], v[12:13], v[14:15]
	v_add_f64 v[0:1], v[0:1], v[19:20]
	v_add_f64 v[2:3], v[2:3], v[12:13]
.LBB565_26:
	flat_store_dwordx4 v[4:5], v[0:3]
.LBB565_27:
	s_or_b32 exec_lo, exec_lo, s2
	v_cmp_le_i32_e32 vcc_lo, v6, v18
	s_and_b32 s0, s0, vcc_lo
	s_and_saveexec_b32 s1, s0
	s_cbranch_execz .LBB565_32
; %bb.28:
	v_mul_f64 v[0:1], s[16:17], v[8:9]
	v_mul_f64 v[2:3], s[14:15], v[8:9]
	v_lshlrev_b64 v[4:5], 4, v[6:7]
	v_cmp_ne_u32_e32 vcc_lo, 1, v24
	s_and_b32 vcc_lo, exec_lo, vcc_lo
	v_add_co_u32 v4, s0, v16, v4
	v_add_co_ci_u32_e64 v5, null, v17, v5, s0
	v_fma_f64 v[0:1], s[14:15], v[10:11], -v[0:1]
	v_fma_f64 v[2:3], s[16:17], v[10:11], v[2:3]
	s_cbranch_vccnz .LBB565_30
; %bb.29:
	flat_load_dwordx4 v[6:9], v[4:5]
	s_waitcnt vmcnt(0) lgkmcnt(0)
	v_mul_f64 v[10:11], s[40:41], v[8:9]
	v_mul_f64 v[8:9], s[38:39], v[8:9]
	v_fma_f64 v[10:11], s[38:39], v[6:7], -v[10:11]
	v_fma_f64 v[6:7], s[40:41], v[6:7], v[8:9]
	v_add_f64 v[0:1], v[0:1], v[10:11]
	v_add_f64 v[2:3], v[2:3], v[6:7]
.LBB565_30:
	flat_store_dwordx4 v[4:5], v[0:3]
	s_endpgm
.LBB565_31:
.LBB565_32:
	s_endpgm
	.section	.rodata,"a",@progbits
	.p2align	6, 0x0
	.amdhsa_kernel _ZL29rocblas_internal_gemmt_kernelIlLi16ELi32ELi8ELc67ELc84ELc85ELb1ELb0E19rocblas_complex_numIdES1_PKPKS1_PKPS1_EviT_T9_T10_S9_lSB_S9_lSA_T11_S9_li
		.amdhsa_group_segment_fixed_size 8192
		.amdhsa_private_segment_fixed_size 0
		.amdhsa_kernarg_size 124
		.amdhsa_user_sgpr_count 6
		.amdhsa_user_sgpr_private_segment_buffer 1
		.amdhsa_user_sgpr_dispatch_ptr 0
		.amdhsa_user_sgpr_queue_ptr 0
		.amdhsa_user_sgpr_kernarg_segment_ptr 1
		.amdhsa_user_sgpr_dispatch_id 0
		.amdhsa_user_sgpr_flat_scratch_init 0
		.amdhsa_user_sgpr_private_segment_size 0
		.amdhsa_wavefront_size32 1
		.amdhsa_uses_dynamic_stack 0
		.amdhsa_system_sgpr_private_segment_wavefront_offset 0
		.amdhsa_system_sgpr_workgroup_id_x 1
		.amdhsa_system_sgpr_workgroup_id_y 1
		.amdhsa_system_sgpr_workgroup_id_z 1
		.amdhsa_system_sgpr_workgroup_info 0
		.amdhsa_system_vgpr_workitem_id 1
		.amdhsa_next_free_vgpr 126
		.amdhsa_next_free_sgpr 44
		.amdhsa_reserve_vcc 1
		.amdhsa_reserve_flat_scratch 0
		.amdhsa_float_round_mode_32 0
		.amdhsa_float_round_mode_16_64 0
		.amdhsa_float_denorm_mode_32 3
		.amdhsa_float_denorm_mode_16_64 3
		.amdhsa_dx10_clamp 1
		.amdhsa_ieee_mode 1
		.amdhsa_fp16_overflow 0
		.amdhsa_workgroup_processor_mode 1
		.amdhsa_memory_ordered 1
		.amdhsa_forward_progress 1
		.amdhsa_shared_vgpr_count 0
		.amdhsa_exception_fp_ieee_invalid_op 0
		.amdhsa_exception_fp_denorm_src 0
		.amdhsa_exception_fp_ieee_div_zero 0
		.amdhsa_exception_fp_ieee_overflow 0
		.amdhsa_exception_fp_ieee_underflow 0
		.amdhsa_exception_fp_ieee_inexact 0
		.amdhsa_exception_int_div_zero 0
	.end_amdhsa_kernel
	.section	.text._ZL29rocblas_internal_gemmt_kernelIlLi16ELi32ELi8ELc67ELc84ELc85ELb1ELb0E19rocblas_complex_numIdES1_PKPKS1_PKPS1_EviT_T9_T10_S9_lSB_S9_lSA_T11_S9_li,"axG",@progbits,_ZL29rocblas_internal_gemmt_kernelIlLi16ELi32ELi8ELc67ELc84ELc85ELb1ELb0E19rocblas_complex_numIdES1_PKPKS1_PKPS1_EviT_T9_T10_S9_lSB_S9_lSA_T11_S9_li,comdat
.Lfunc_end565:
	.size	_ZL29rocblas_internal_gemmt_kernelIlLi16ELi32ELi8ELc67ELc84ELc85ELb1ELb0E19rocblas_complex_numIdES1_PKPKS1_PKPS1_EviT_T9_T10_S9_lSB_S9_lSA_T11_S9_li, .Lfunc_end565-_ZL29rocblas_internal_gemmt_kernelIlLi16ELi32ELi8ELc67ELc84ELc85ELb1ELb0E19rocblas_complex_numIdES1_PKPKS1_PKPS1_EviT_T9_T10_S9_lSB_S9_lSA_T11_S9_li
                                        ; -- End function
	.set _ZL29rocblas_internal_gemmt_kernelIlLi16ELi32ELi8ELc67ELc84ELc85ELb1ELb0E19rocblas_complex_numIdES1_PKPKS1_PKPS1_EviT_T9_T10_S9_lSB_S9_lSA_T11_S9_li.num_vgpr, 126
	.set _ZL29rocblas_internal_gemmt_kernelIlLi16ELi32ELi8ELc67ELc84ELc85ELb1ELb0E19rocblas_complex_numIdES1_PKPKS1_PKPS1_EviT_T9_T10_S9_lSB_S9_lSA_T11_S9_li.num_agpr, 0
	.set _ZL29rocblas_internal_gemmt_kernelIlLi16ELi32ELi8ELc67ELc84ELc85ELb1ELb0E19rocblas_complex_numIdES1_PKPKS1_PKPS1_EviT_T9_T10_S9_lSB_S9_lSA_T11_S9_li.numbered_sgpr, 44
	.set _ZL29rocblas_internal_gemmt_kernelIlLi16ELi32ELi8ELc67ELc84ELc85ELb1ELb0E19rocblas_complex_numIdES1_PKPKS1_PKPS1_EviT_T9_T10_S9_lSB_S9_lSA_T11_S9_li.num_named_barrier, 0
	.set _ZL29rocblas_internal_gemmt_kernelIlLi16ELi32ELi8ELc67ELc84ELc85ELb1ELb0E19rocblas_complex_numIdES1_PKPKS1_PKPS1_EviT_T9_T10_S9_lSB_S9_lSA_T11_S9_li.private_seg_size, 0
	.set _ZL29rocblas_internal_gemmt_kernelIlLi16ELi32ELi8ELc67ELc84ELc85ELb1ELb0E19rocblas_complex_numIdES1_PKPKS1_PKPS1_EviT_T9_T10_S9_lSB_S9_lSA_T11_S9_li.uses_vcc, 1
	.set _ZL29rocblas_internal_gemmt_kernelIlLi16ELi32ELi8ELc67ELc84ELc85ELb1ELb0E19rocblas_complex_numIdES1_PKPKS1_PKPS1_EviT_T9_T10_S9_lSB_S9_lSA_T11_S9_li.uses_flat_scratch, 0
	.set _ZL29rocblas_internal_gemmt_kernelIlLi16ELi32ELi8ELc67ELc84ELc85ELb1ELb0E19rocblas_complex_numIdES1_PKPKS1_PKPS1_EviT_T9_T10_S9_lSB_S9_lSA_T11_S9_li.has_dyn_sized_stack, 0
	.set _ZL29rocblas_internal_gemmt_kernelIlLi16ELi32ELi8ELc67ELc84ELc85ELb1ELb0E19rocblas_complex_numIdES1_PKPKS1_PKPS1_EviT_T9_T10_S9_lSB_S9_lSA_T11_S9_li.has_recursion, 0
	.set _ZL29rocblas_internal_gemmt_kernelIlLi16ELi32ELi8ELc67ELc84ELc85ELb1ELb0E19rocblas_complex_numIdES1_PKPKS1_PKPS1_EviT_T9_T10_S9_lSB_S9_lSA_T11_S9_li.has_indirect_call, 0
	.section	.AMDGPU.csdata,"",@progbits
; Kernel info:
; codeLenInByte = 3548
; TotalNumSgprs: 46
; NumVgprs: 126
; ScratchSize: 0
; MemoryBound: 1
; FloatMode: 240
; IeeeMode: 1
; LDSByteSize: 8192 bytes/workgroup (compile time only)
; SGPRBlocks: 0
; VGPRBlocks: 15
; NumSGPRsForWavesPerEU: 46
; NumVGPRsForWavesPerEU: 126
; Occupancy: 8
; WaveLimiterHint : 1
; COMPUTE_PGM_RSRC2:SCRATCH_EN: 0
; COMPUTE_PGM_RSRC2:USER_SGPR: 6
; COMPUTE_PGM_RSRC2:TRAP_HANDLER: 0
; COMPUTE_PGM_RSRC2:TGID_X_EN: 1
; COMPUTE_PGM_RSRC2:TGID_Y_EN: 1
; COMPUTE_PGM_RSRC2:TGID_Z_EN: 1
; COMPUTE_PGM_RSRC2:TIDIG_COMP_CNT: 1
	.section	.text._ZL29rocblas_internal_gemmt_kernelIlLi16ELi32ELi8ELc67ELc67ELc85ELb1ELb1E19rocblas_complex_numIdES1_PKPKS1_PKPS1_EviT_T9_T10_S9_lSB_S9_lSA_T11_S9_li,"axG",@progbits,_ZL29rocblas_internal_gemmt_kernelIlLi16ELi32ELi8ELc67ELc67ELc85ELb1ELb1E19rocblas_complex_numIdES1_PKPKS1_PKPS1_EviT_T9_T10_S9_lSB_S9_lSA_T11_S9_li,comdat
	.globl	_ZL29rocblas_internal_gemmt_kernelIlLi16ELi32ELi8ELc67ELc67ELc85ELb1ELb1E19rocblas_complex_numIdES1_PKPKS1_PKPS1_EviT_T9_T10_S9_lSB_S9_lSA_T11_S9_li ; -- Begin function _ZL29rocblas_internal_gemmt_kernelIlLi16ELi32ELi8ELc67ELc67ELc85ELb1ELb1E19rocblas_complex_numIdES1_PKPKS1_PKPS1_EviT_T9_T10_S9_lSB_S9_lSA_T11_S9_li
	.p2align	8
	.type	_ZL29rocblas_internal_gemmt_kernelIlLi16ELi32ELi8ELc67ELc67ELc85ELb1ELb1E19rocblas_complex_numIdES1_PKPKS1_PKPS1_EviT_T9_T10_S9_lSB_S9_lSA_T11_S9_li,@function
_ZL29rocblas_internal_gemmt_kernelIlLi16ELi32ELi8ELc67ELc67ELc85ELb1ELb1E19rocblas_complex_numIdES1_PKPKS1_PKPS1_EviT_T9_T10_S9_lSB_S9_lSA_T11_S9_li: ; @_ZL29rocblas_internal_gemmt_kernelIlLi16ELi32ELi8ELc67ELc67ELc85ELb1ELb1E19rocblas_complex_numIdES1_PKPKS1_PKPS1_EviT_T9_T10_S9_lSB_S9_lSA_T11_S9_li
; %bb.0:
	s_clause 0x1
	s_load_dwordx8 s[36:43], s[4:5], 0x48
	s_load_dwordx16 s[12:27], s[4:5], 0x8
	s_waitcnt lgkmcnt(0)
	v_cmp_eq_f64_e64 s0, s[38:39], 1.0
	v_cmp_eq_f64_e64 s29, s[40:41], 0
	s_and_b32 s0, s0, s29
	s_andn2_b32 vcc_lo, exec_lo, s0
	s_mov_b32 s0, -1
	s_cbranch_vccnz .LBB566_3
; %bb.1:
	s_cmp_lg_u64 s[12:13], 0
	s_cbranch_scc0 .LBB566_29
; %bb.2:
	v_cmp_neq_f64_e64 s0, s[14:15], 0
	v_cmp_neq_f64_e64 s1, s[16:17], 0
	s_or_b32 s0, s0, s1
.LBB566_3:
	s_and_b32 vcc_lo, exec_lo, s0
	s_cbranch_vccz .LBB566_30
; %bb.4:
	v_cmp_eq_f64_e64 s30, s[14:15], 0
	v_cmp_eq_f64_e64 s31, s[16:17], 0
	s_mov_b32 s9, 0
	v_mov_b32_e32 v24, 0
	s_lshl_b64 s[0:1], s[8:9], 3
	v_mov_b32_e32 v26, 0
	s_add_u32 s2, s42, s0
	s_addc_u32 s3, s43, s1
	s_clause 0x1
	s_load_dwordx4 s[8:11], s[4:5], 0x68
	s_load_dword s28, s[4:5], 0x0
	s_load_dwordx2 s[2:3], s[2:3], 0x0
	v_cmp_lt_i64_e64 s4, s[12:13], 1
	v_mov_b32_e32 v20, 0
	v_mov_b32_e32 v22, 0
	;; [unrolled: 1-line block ×13, first 2 shown]
	s_and_b32 s5, s30, s31
	v_mov_b32_e32 v13, 0
	s_or_b32 s4, s5, s4
	s_lshl_b32 s6, s6, 5
	s_and_b32 vcc_lo, exec_lo, s4
	s_lshl_b32 s7, s7, 5
	s_cbranch_vccnz .LBB566_13
; %bb.5:
	s_add_u32 s4, s24, s0
	s_addc_u32 s5, s25, s1
	s_lshl_b64 s[24:25], s[36:37], 4
	s_load_dwordx2 s[4:5], s[4:5], 0x0
	v_lshl_add_u32 v2, v1, 4, v0
	v_and_b32_e32 v28, 7, v0
	v_mov_b32_e32 v12, 0
	v_mov_b32_e32 v14, 0
	;; [unrolled: 1-line block ×3, first 2 shown]
	v_and_b32_e32 v3, 31, v2
	v_lshrrev_b32_e32 v6, 3, v2
	v_lshrrev_b32_e32 v31, 5, v2
	v_lshlrev_b32_e32 v8, 4, v28
	v_mov_b32_e32 v16, 0
	v_or_b32_e32 v7, s6, v3
	v_add_nc_u32_e32 v2, s7, v6
	v_lshlrev_b32_e32 v9, 4, v3
	v_lshl_or_b32 v8, v6, 7, v8
	v_mov_b32_e32 v22, 0
	v_mul_lo_u32 v10, s21, v7
	v_mad_u64_u32 v[4:5], null, s20, v7, 0
	v_ashrrev_i32_e32 v3, 31, v2
	s_waitcnt lgkmcnt(0)
	s_add_u32 s24, s4, s24
	s_addc_u32 s25, s5, s25
	s_add_u32 s0, s18, s0
	s_addc_u32 s1, s19, s1
	s_lshl_b64 s[4:5], s[22:23], 4
	s_load_dwordx2 s[0:1], s[0:1], 0x0
	v_mov_b32_e32 v20, 0
	v_mov_b32_e32 v26, 0
	;; [unrolled: 1-line block ×3, first 2 shown]
	v_lshlrev_b32_e32 v29, 4, v0
	v_lshl_add_u32 v30, v1, 7, 0x1000
	v_mov_b32_e32 v13, 0
	v_mov_b32_e32 v15, 0
	;; [unrolled: 1-line block ×8, first 2 shown]
	v_lshl_or_b32 v32, v31, 9, v9
	v_add_nc_u32_e32 v33, 0x1000, v8
	v_mov_b32_e32 v11, 0
	s_waitcnt lgkmcnt(0)
	s_add_u32 s4, s0, s4
	s_addc_u32 s5, s1, s5
	s_ashr_i32 s0, s6, 31
	s_mul_i32 s1, s20, s0
	v_cmp_gt_i32_e64 s0, s28, v7
	v_add3_u32 v5, v5, s1, v10
	v_lshlrev_b64 v[6:7], 4, v[2:3]
	v_cmp_gt_i32_e64 s1, s28, v2
	v_lshlrev_b64 v[2:3], 4, v[4:5]
	v_add_co_u32 v34, vcc_lo, s24, v6
	v_add_co_ci_u32_e64 v35, null, s25, v7, vcc_lo
	v_add_co_u32 v36, vcc_lo, s4, v2
	v_add_co_ci_u32_e64 v37, null, s5, v3, vcc_lo
	s_mov_b64 s[4:5], 0
	s_branch .LBB566_7
.LBB566_6:                              ;   in Loop: Header=BB566_7 Depth=1
	s_or_b32 exec_lo, exec_lo, s18
	ds_write_b128 v33, v[6:9]
	s_waitcnt lgkmcnt(0)
	s_barrier
	buffer_gl0_inv
	ds_read_b128 v[2:5], v30
	ds_read_b128 v[6:9], v29
	ds_read_b128 v[38:41], v29 offset:256
	ds_read_b128 v[42:45], v30 offset:2048
	;; [unrolled: 1-line block ×11, first 2 shown]
	s_add_u32 s4, s4, 8
	s_addc_u32 s5, s5, 0
	v_cmp_gt_i64_e64 s18, s[12:13], s[4:5]
	s_waitcnt lgkmcnt(11)
	v_mul_f64 v[82:83], v[4:5], v[8:9]
	v_mul_f64 v[84:85], v[2:3], v[8:9]
	s_waitcnt lgkmcnt(10)
	v_mul_f64 v[86:87], v[4:5], v[40:41]
	v_mul_f64 v[88:89], v[2:3], v[40:41]
	;; [unrolled: 3-line block ×3, first 2 shown]
	v_mul_f64 v[92:93], v[44:45], v[40:41]
	v_mul_f64 v[40:41], v[42:43], v[40:41]
	s_waitcnt lgkmcnt(7)
	v_mul_f64 v[94:95], v[48:49], v[52:53]
	v_mul_f64 v[96:97], v[46:47], v[52:53]
	s_waitcnt lgkmcnt(6)
	v_mul_f64 v[98:99], v[48:49], v[56:57]
	s_waitcnt lgkmcnt(5)
	v_mul_f64 v[102:103], v[60:61], v[52:53]
	v_mul_f64 v[52:53], v[58:59], v[52:53]
	;; [unrolled: 1-line block ×5, first 2 shown]
	s_waitcnt lgkmcnt(3)
	v_mul_f64 v[106:107], v[68:69], v[64:65]
	v_mul_f64 v[108:109], v[66:67], v[64:65]
	s_and_b32 vcc_lo, exec_lo, s18
	v_fma_f64 v[82:83], v[2:3], v[6:7], -v[82:83]
	v_fma_f64 v[84:85], v[4:5], v[6:7], v[84:85]
	v_fma_f64 v[86:87], v[2:3], v[38:39], -v[86:87]
	v_fma_f64 v[88:89], v[4:5], v[38:39], v[88:89]
	;; [unrolled: 2-line block ×3, first 2 shown]
	v_fma_f64 v[92:93], v[42:43], v[38:39], -v[92:93]
	ds_read_b128 v[2:5], v29 offset:1536
	s_waitcnt lgkmcnt(3)
	v_mul_f64 v[110:111], v[68:69], v[72:73]
	v_mul_f64 v[112:113], v[66:67], v[72:73]
	v_fma_f64 v[116:117], v[44:45], v[38:39], v[40:41]
	v_fma_f64 v[94:95], v[46:47], v[50:51], -v[94:95]
	v_fma_f64 v[96:97], v[48:49], v[50:51], v[96:97]
	v_fma_f64 v[46:47], v[46:47], v[54:55], -v[98:99]
	s_waitcnt lgkmcnt(2)
	v_mul_f64 v[42:43], v[76:77], v[64:65]
	v_fma_f64 v[98:99], v[58:59], v[50:51], -v[102:103]
	v_fma_f64 v[50:51], v[60:61], v[50:51], v[52:53]
	v_mul_f64 v[44:45], v[74:75], v[64:65]
	v_mul_f64 v[52:53], v[76:77], v[72:73]
	;; [unrolled: 1-line block ×3, first 2 shown]
	v_fma_f64 v[48:49], v[48:49], v[54:55], v[100:101]
	v_fma_f64 v[58:59], v[58:59], v[54:55], -v[104:105]
	v_fma_f64 v[54:55], v[60:61], v[54:55], v[56:57]
	v_fma_f64 v[56:57], v[66:67], v[62:63], -v[106:107]
	v_fma_f64 v[60:61], v[68:69], v[62:63], v[108:109]
	v_add_f64 v[82:83], v[24:25], v[82:83]
	v_add_f64 v[84:85], v[84:85], v[26:27]
	;; [unrolled: 1-line block ×5, first 2 shown]
	v_fma_f64 v[66:67], v[66:67], v[70:71], -v[110:111]
	v_fma_f64 v[68:69], v[68:69], v[70:71], v[112:113]
	v_add_f64 v[104:105], v[114:115], v[18:19]
	ds_read_b128 v[6:9], v29 offset:1792
	ds_read_b128 v[38:41], v30 offset:2096
	s_waitcnt lgkmcnt(2)
	v_mul_f64 v[72:73], v[80:81], v[4:5]
	v_mul_f64 v[100:101], v[78:79], v[4:5]
	v_fma_f64 v[108:109], v[74:75], v[62:63], -v[42:43]
	ds_read_b128 v[16:19], v30 offset:64
	v_fma_f64 v[62:63], v[76:77], v[62:63], v[44:45]
	v_fma_f64 v[74:75], v[74:75], v[70:71], -v[52:53]
	v_fma_f64 v[64:65], v[76:77], v[70:71], v[64:65]
	v_add_f64 v[52:53], v[14:15], v[92:93]
	v_add_f64 v[70:71], v[116:117], v[12:13]
	ds_read_b128 v[20:23], v29 offset:2048
	ds_read_b128 v[24:27], v29 offset:2304
	;; [unrolled: 1-line block ×4, first 2 shown]
	v_add_f64 v[82:83], v[82:83], v[94:95]
	v_add_f64 v[84:85], v[96:97], v[84:85]
	;; [unrolled: 1-line block ×5, first 2 shown]
	s_waitcnt lgkmcnt(6)
	v_mul_f64 v[102:103], v[80:81], v[8:9]
	v_mul_f64 v[106:107], v[78:79], v[8:9]
	s_waitcnt lgkmcnt(5)
	v_mul_f64 v[110:111], v[40:41], v[4:5]
	v_mul_f64 v[4:5], v[38:39], v[4:5]
	v_add_f64 v[50:51], v[50:51], v[104:105]
	v_mul_f64 v[92:93], v[40:41], v[8:9]
	v_mul_f64 v[8:9], v[38:39], v[8:9]
	v_fma_f64 v[72:73], v[78:79], v[2:3], -v[72:73]
	v_fma_f64 v[76:77], v[80:81], v[2:3], v[100:101]
	ds_read_b128 v[46:49], v30 offset:2128
	s_waitcnt lgkmcnt(4)
	v_mul_f64 v[98:99], v[18:19], v[22:23]
	v_mul_f64 v[100:101], v[16:17], v[22:23]
	v_add_f64 v[58:59], v[52:53], v[58:59]
	v_add_f64 v[54:55], v[54:55], v[70:71]
	s_waitcnt lgkmcnt(3)
	v_mul_f64 v[104:105], v[16:17], v[26:27]
	s_waitcnt lgkmcnt(2)
	v_mul_f64 v[70:71], v[44:45], v[22:23]
	v_mul_f64 v[22:23], v[42:43], v[22:23]
	v_add_f64 v[56:57], v[82:83], v[56:57]
	v_add_f64 v[60:61], v[60:61], v[84:85]
	v_add_f64 v[66:67], v[86:87], v[66:67]
	v_add_f64 v[68:69], v[68:69], v[88:89]
	v_add_f64 v[82:83], v[90:91], v[108:109]
	v_fma_f64 v[78:79], v[78:79], v[6:7], -v[102:103]
	v_fma_f64 v[80:81], v[80:81], v[6:7], v[106:107]
	v_fma_f64 v[94:95], v[38:39], v[2:3], -v[110:111]
	v_fma_f64 v[96:97], v[40:41], v[2:3], v[4:5]
	v_mul_f64 v[102:103], v[18:19], v[26:27]
	v_add_f64 v[62:63], v[62:63], v[50:51]
	v_mul_f64 v[84:85], v[44:45], v[26:27]
	v_mul_f64 v[26:27], v[42:43], v[26:27]
	v_fma_f64 v[38:39], v[38:39], v[6:7], -v[92:93]
	v_fma_f64 v[40:41], v[40:41], v[6:7], v[8:9]
	ds_read_b128 v[2:5], v30 offset:80
	ds_read_b128 v[50:53], v29 offset:2816
	v_add_f64 v[58:59], v[58:59], v[74:75]
	v_add_f64 v[54:55], v[64:65], v[54:55]
	v_fma_f64 v[88:89], v[16:17], v[20:21], -v[98:99]
	v_fma_f64 v[90:91], v[18:19], v[20:21], v[100:101]
	v_fma_f64 v[98:99], v[18:19], v[24:25], v[104:105]
	v_fma_f64 v[64:65], v[42:43], v[20:21], -v[70:71]
	v_add_f64 v[56:57], v[56:57], v[72:73]
	v_add_f64 v[60:61], v[76:77], v[60:61]
	v_fma_f64 v[70:71], v[44:45], v[20:21], v[22:23]
	v_add_f64 v[66:67], v[66:67], v[78:79]
	v_add_f64 v[68:69], v[80:81], v[68:69]
	;; [unrolled: 1-line block ×3, first 2 shown]
	s_waitcnt lgkmcnt(2)
	v_mul_f64 v[80:81], v[48:49], v[14:15]
	v_fma_f64 v[92:93], v[16:17], v[24:25], -v[102:103]
	v_add_f64 v[62:63], v[96:97], v[62:63]
	v_fma_f64 v[42:43], v[42:43], v[24:25], -v[84:85]
	v_fma_f64 v[44:45], v[44:45], v[24:25], v[26:27]
	s_waitcnt lgkmcnt(1)
	v_mul_f64 v[86:87], v[4:5], v[14:15]
	v_mul_f64 v[74:75], v[2:3], v[14:15]
	s_waitcnt lgkmcnt(0)
	v_mul_f64 v[76:77], v[4:5], v[52:53]
	v_mul_f64 v[78:79], v[2:3], v[52:53]
	;; [unrolled: 1-line block ×5, first 2 shown]
	v_add_f64 v[38:39], v[58:59], v[38:39]
	v_add_f64 v[40:41], v[40:41], v[54:55]
	ds_read_b128 v[6:9], v30 offset:96
	ds_read_b128 v[16:19], v29 offset:3072
	;; [unrolled: 1-line block ×4, first 2 shown]
	v_add_f64 v[54:55], v[56:57], v[88:89]
	v_add_f64 v[56:57], v[90:91], v[60:61]
	;; [unrolled: 1-line block ×3, first 2 shown]
	v_fma_f64 v[80:81], v[46:47], v[12:13], -v[80:81]
	v_add_f64 v[60:61], v[66:67], v[92:93]
	v_add_f64 v[66:67], v[98:99], v[68:69]
	;; [unrolled: 1-line block ×3, first 2 shown]
	v_fma_f64 v[58:59], v[2:3], v[12:13], -v[86:87]
	v_fma_f64 v[68:69], v[4:5], v[12:13], v[74:75]
	v_fma_f64 v[70:71], v[2:3], v[50:51], -v[76:77]
	v_fma_f64 v[72:73], v[4:5], v[50:51], v[78:79]
	ds_read_b128 v[2:5], v30 offset:112
	v_fma_f64 v[86:87], v[48:49], v[12:13], v[14:15]
	s_waitcnt lgkmcnt(3)
	v_mul_f64 v[74:75], v[8:9], v[18:19]
	v_mul_f64 v[76:77], v[6:7], v[18:19]
	s_waitcnt lgkmcnt(2)
	v_mul_f64 v[78:79], v[8:9], v[22:23]
	v_mul_f64 v[84:85], v[6:7], v[22:23]
	v_fma_f64 v[46:47], v[46:47], v[50:51], -v[82:83]
	v_fma_f64 v[48:49], v[48:49], v[50:51], v[52:53]
	v_add_f64 v[50:51], v[38:39], v[42:43]
	v_add_f64 v[52:53], v[44:45], v[40:41]
	s_waitcnt lgkmcnt(1)
	v_mul_f64 v[82:83], v[26:27], v[18:19]
	v_mul_f64 v[18:19], v[24:25], v[18:19]
	;; [unrolled: 1-line block ×4, first 2 shown]
	ds_read_b128 v[12:15], v30 offset:2160
	ds_read_b128 v[38:41], v29 offset:3584
	;; [unrolled: 1-line block ×3, first 2 shown]
	v_add_f64 v[64:65], v[64:65], v[80:81]
	s_waitcnt lgkmcnt(0)
	v_add_f64 v[54:55], v[54:55], v[58:59]
	v_add_f64 v[56:57], v[68:69], v[56:57]
	;; [unrolled: 1-line block ×4, first 2 shown]
	s_barrier
	v_add_f64 v[62:63], v[86:87], v[62:63]
	v_fma_f64 v[58:59], v[6:7], v[16:17], -v[74:75]
	v_fma_f64 v[68:69], v[8:9], v[16:17], v[76:77]
	v_fma_f64 v[6:7], v[6:7], v[20:21], -v[78:79]
	v_fma_f64 v[8:9], v[8:9], v[20:21], v[84:85]
	buffer_gl0_inv
	v_add_f64 v[46:47], v[50:51], v[46:47]
	v_add_f64 v[48:49], v[48:49], v[52:53]
	v_fma_f64 v[50:51], v[24:25], v[16:17], -v[82:83]
	v_fma_f64 v[16:17], v[26:27], v[16:17], v[18:19]
	v_fma_f64 v[18:19], v[24:25], v[20:21], -v[88:89]
	v_fma_f64 v[20:21], v[26:27], v[20:21], v[22:23]
	v_mul_f64 v[22:23], v[4:5], v[40:41]
	v_mul_f64 v[24:25], v[2:3], v[40:41]
	;; [unrolled: 1-line block ×8, first 2 shown]
	v_add_f64 v[54:55], v[54:55], v[58:59]
	v_add_f64 v[56:57], v[68:69], v[56:57]
	;; [unrolled: 1-line block ×8, first 2 shown]
	v_fma_f64 v[16:17], v[2:3], v[38:39], -v[22:23]
	v_fma_f64 v[18:19], v[4:5], v[38:39], v[24:25]
	v_fma_f64 v[2:3], v[2:3], v[42:43], -v[26:27]
	v_fma_f64 v[4:5], v[4:5], v[42:43], v[52:53]
	;; [unrolled: 2-line block ×4, first 2 shown]
	v_add_f64 v[24:25], v[54:55], v[16:17]
	v_add_f64 v[26:27], v[18:19], v[56:57]
	;; [unrolled: 1-line block ×8, first 2 shown]
	s_cbranch_vccz .LBB566_13
.LBB566_7:                              ; =>This Inner Loop Header: Depth=1
	v_mov_b32_e32 v2, 0
	v_mov_b32_e32 v4, 0
	;; [unrolled: 1-line block ×4, first 2 shown]
	s_and_saveexec_b32 s18, s0
	s_cbranch_execz .LBB566_11
; %bb.8:                                ;   in Loop: Header=BB566_7 Depth=1
	v_mov_b32_e32 v4, 0
	v_mov_b32_e32 v2, 0
	v_add_nc_u32_e32 v10, s4, v31
	v_mov_b32_e32 v5, 0
	v_mov_b32_e32 v3, 0
	s_mov_b32 s19, exec_lo
	v_cmpx_gt_u64_e64 s[12:13], v[10:11]
	s_cbranch_execz .LBB566_10
; %bb.9:                                ;   in Loop: Header=BB566_7 Depth=1
	v_lshlrev_b64 v[2:3], 4, v[10:11]
	v_add_co_u32 v2, vcc_lo, v36, v2
	v_add_co_ci_u32_e64 v3, null, v37, v3, vcc_lo
	flat_load_dwordx4 v[2:5], v[2:3]
	s_waitcnt vmcnt(0) lgkmcnt(0)
	v_xor_b32_e32 v5, 0x80000000, v5
.LBB566_10:                             ;   in Loop: Header=BB566_7 Depth=1
	s_or_b32 exec_lo, exec_lo, s19
.LBB566_11:                             ;   in Loop: Header=BB566_7 Depth=1
	s_or_b32 exec_lo, exec_lo, s18
	v_add_nc_u32_e32 v10, s4, v28
	v_mov_b32_e32 v6, 0
	v_mov_b32_e32 v8, 0
	;; [unrolled: 1-line block ×4, first 2 shown]
	v_cmp_gt_u64_e32 vcc_lo, s[12:13], v[10:11]
	ds_write_b128 v32, v[2:5]
	s_and_b32 s19, vcc_lo, s1
	s_and_saveexec_b32 s18, s19
	s_cbranch_execz .LBB566_6
; %bb.12:                               ;   in Loop: Header=BB566_7 Depth=1
	v_mad_u64_u32 v[2:3], null, s26, v10, 0
	v_mad_u64_u32 v[3:4], null, s27, v10, v[3:4]
	v_lshlrev_b64 v[2:3], 4, v[2:3]
	v_add_co_u32 v2, vcc_lo, v34, v2
	v_add_co_ci_u32_e64 v3, null, v35, v3, vcc_lo
	flat_load_dwordx4 v[6:9], v[2:3]
	s_waitcnt vmcnt(0) lgkmcnt(0)
	v_xor_b32_e32 v9, 0x80000000, v9
	s_branch .LBB566_6
.LBB566_13:
	v_add_nc_u32_e32 v11, s7, v1
	v_cmp_neq_f64_e64 s4, s[38:39], 0
	s_waitcnt lgkmcnt(0)
	s_lshl_b64 s[0:1], s[10:11], 4
	s_add_u32 s2, s2, s0
	v_ashrrev_i32_e32 v3, 31, v11
	v_mul_lo_u32 v4, s9, v11
	v_mad_u64_u32 v[1:2], null, s8, v11, 0
	s_addc_u32 s3, s3, s1
	v_mul_lo_u32 v3, s8, v3
	s_xor_b32 s5, s29, -1
	v_cmp_gt_i32_e64 s0, s28, v11
	v_add3_u32 v2, v2, v3, v4
	v_add_nc_u32_e32 v4, s6, v0
	s_or_b32 s4, s4, s5
	v_lshlrev_b64 v[0:1], 4, v[1:2]
	v_cmp_le_i32_e32 vcc_lo, v4, v11
	v_ashrrev_i32_e32 v5, 31, v4
	v_cndmask_b32_e64 v10, 0, 1, s4
	s_and_b32 s5, s0, vcc_lo
	v_add_co_u32 v8, s1, s2, v0
	v_add_co_ci_u32_e64 v9, null, s3, v1, s1
	s_and_saveexec_b32 s1, s5
	s_cbranch_execz .LBB566_17
; %bb.14:
	v_mul_f64 v[0:1], s[16:17], v[26:27]
	v_mul_f64 v[2:3], s[14:15], v[26:27]
	v_lshlrev_b64 v[6:7], 4, v[4:5]
	v_add_co_u32 v6, vcc_lo, v8, v6
	v_add_co_ci_u32_e64 v7, null, v9, v7, vcc_lo
	s_andn2_b32 vcc_lo, exec_lo, s4
	v_fma_f64 v[0:1], s[14:15], v[24:25], -v[0:1]
	v_fma_f64 v[2:3], s[16:17], v[24:25], v[2:3]
	s_cbranch_vccnz .LBB566_16
; %bb.15:
	flat_load_dwordx4 v[24:27], v[6:7]
	s_waitcnt vmcnt(0) lgkmcnt(0)
	v_mul_f64 v[28:29], s[40:41], v[26:27]
	v_mul_f64 v[26:27], s[38:39], v[26:27]
	v_fma_f64 v[28:29], s[38:39], v[24:25], -v[28:29]
	v_fma_f64 v[24:25], s[40:41], v[24:25], v[26:27]
	v_add_f64 v[0:1], v[0:1], v[28:29]
	v_add_f64 v[2:3], v[2:3], v[24:25]
.LBB566_16:
	flat_store_dwordx4 v[6:7], v[0:3]
.LBB566_17:
	s_or_b32 exec_lo, exec_lo, s1
	v_add_nc_u32_e32 v6, 16, v4
	v_cmp_le_i32_e32 vcc_lo, v6, v11
	v_ashrrev_i32_e32 v7, 31, v6
	s_and_b32 s0, s0, vcc_lo
	s_and_saveexec_b32 s1, s0
	s_cbranch_execz .LBB566_21
; %bb.18:
	v_mul_f64 v[0:1], s[16:17], v[22:23]
	v_mul_f64 v[2:3], s[14:15], v[22:23]
	v_cmp_ne_u32_e32 vcc_lo, 1, v10
	s_and_b32 vcc_lo, exec_lo, vcc_lo
	v_fma_f64 v[0:1], s[14:15], v[20:21], -v[0:1]
	v_fma_f64 v[2:3], s[16:17], v[20:21], v[2:3]
	v_lshlrev_b64 v[20:21], 4, v[6:7]
	v_add_co_u32 v8, s0, v8, v20
	v_add_co_ci_u32_e64 v9, null, v9, v21, s0
	s_cbranch_vccnz .LBB566_20
; %bb.19:
	flat_load_dwordx4 v[20:23], v[8:9]
	s_waitcnt vmcnt(0) lgkmcnt(0)
	v_mul_f64 v[24:25], s[40:41], v[22:23]
	v_mul_f64 v[22:23], s[38:39], v[22:23]
	v_fma_f64 v[24:25], s[38:39], v[20:21], -v[24:25]
	v_fma_f64 v[20:21], s[40:41], v[20:21], v[22:23]
	v_add_f64 v[0:1], v[0:1], v[24:25]
	v_add_f64 v[2:3], v[2:3], v[20:21]
.LBB566_20:
	flat_store_dwordx4 v[8:9], v[0:3]
.LBB566_21:
	s_or_b32 exec_lo, exec_lo, s1
	v_add_nc_u32_e32 v11, 16, v11
	v_ashrrev_i32_e32 v2, 31, v11
	v_mul_lo_u32 v3, s9, v11
	v_mad_u64_u32 v[0:1], null, s8, v11, 0
	v_cmp_gt_i32_e64 s0, s28, v11
	v_mul_lo_u32 v2, s8, v2
	v_cmp_le_i32_e32 vcc_lo, v4, v11
	v_add3_u32 v1, v1, v2, v3
	v_lshlrev_b64 v[0:1], 4, v[0:1]
	v_add_co_u32 v8, s1, s2, v0
	v_add_co_ci_u32_e64 v9, null, s3, v1, s1
	s_and_b32 s1, s0, vcc_lo
	s_and_saveexec_b32 s2, s1
	s_cbranch_execz .LBB566_25
; %bb.22:
	v_mul_f64 v[0:1], s[16:17], v[18:19]
	v_mul_f64 v[2:3], s[14:15], v[18:19]
	v_lshlrev_b64 v[4:5], 4, v[4:5]
	v_cmp_ne_u32_e32 vcc_lo, 1, v10
	s_and_b32 vcc_lo, exec_lo, vcc_lo
	v_add_co_u32 v4, s1, v8, v4
	v_add_co_ci_u32_e64 v5, null, v9, v5, s1
	v_fma_f64 v[0:1], s[14:15], v[16:17], -v[0:1]
	v_fma_f64 v[2:3], s[16:17], v[16:17], v[2:3]
	s_cbranch_vccnz .LBB566_24
; %bb.23:
	flat_load_dwordx4 v[16:19], v[4:5]
	s_waitcnt vmcnt(0) lgkmcnt(0)
	v_mul_f64 v[20:21], s[40:41], v[18:19]
	v_mul_f64 v[18:19], s[38:39], v[18:19]
	v_fma_f64 v[20:21], s[38:39], v[16:17], -v[20:21]
	v_fma_f64 v[16:17], s[40:41], v[16:17], v[18:19]
	v_add_f64 v[0:1], v[0:1], v[20:21]
	v_add_f64 v[2:3], v[2:3], v[16:17]
.LBB566_24:
	flat_store_dwordx4 v[4:5], v[0:3]
.LBB566_25:
	s_or_b32 exec_lo, exec_lo, s2
	v_cmp_le_i32_e32 vcc_lo, v6, v11
	s_and_b32 s0, s0, vcc_lo
	s_and_saveexec_b32 s1, s0
	s_cbranch_execz .LBB566_30
; %bb.26:
	v_mul_f64 v[0:1], s[16:17], v[12:13]
	v_mul_f64 v[2:3], s[14:15], v[12:13]
	v_lshlrev_b64 v[4:5], 4, v[6:7]
	v_cmp_ne_u32_e32 vcc_lo, 1, v10
	s_and_b32 vcc_lo, exec_lo, vcc_lo
	v_add_co_u32 v4, s0, v8, v4
	v_add_co_ci_u32_e64 v5, null, v9, v5, s0
	v_fma_f64 v[0:1], s[14:15], v[14:15], -v[0:1]
	v_fma_f64 v[2:3], s[16:17], v[14:15], v[2:3]
	s_cbranch_vccnz .LBB566_28
; %bb.27:
	flat_load_dwordx4 v[6:9], v[4:5]
	s_waitcnt vmcnt(0) lgkmcnt(0)
	v_mul_f64 v[10:11], s[40:41], v[8:9]
	v_mul_f64 v[8:9], s[38:39], v[8:9]
	v_fma_f64 v[10:11], s[38:39], v[6:7], -v[10:11]
	v_fma_f64 v[6:7], s[40:41], v[6:7], v[8:9]
	v_add_f64 v[0:1], v[0:1], v[10:11]
	v_add_f64 v[2:3], v[2:3], v[6:7]
.LBB566_28:
	flat_store_dwordx4 v[4:5], v[0:3]
	s_endpgm
.LBB566_29:
.LBB566_30:
	s_endpgm
	.section	.rodata,"a",@progbits
	.p2align	6, 0x0
	.amdhsa_kernel _ZL29rocblas_internal_gemmt_kernelIlLi16ELi32ELi8ELc67ELc67ELc85ELb1ELb1E19rocblas_complex_numIdES1_PKPKS1_PKPS1_EviT_T9_T10_S9_lSB_S9_lSA_T11_S9_li
		.amdhsa_group_segment_fixed_size 8192
		.amdhsa_private_segment_fixed_size 0
		.amdhsa_kernarg_size 124
		.amdhsa_user_sgpr_count 6
		.amdhsa_user_sgpr_private_segment_buffer 1
		.amdhsa_user_sgpr_dispatch_ptr 0
		.amdhsa_user_sgpr_queue_ptr 0
		.amdhsa_user_sgpr_kernarg_segment_ptr 1
		.amdhsa_user_sgpr_dispatch_id 0
		.amdhsa_user_sgpr_flat_scratch_init 0
		.amdhsa_user_sgpr_private_segment_size 0
		.amdhsa_wavefront_size32 1
		.amdhsa_uses_dynamic_stack 0
		.amdhsa_system_sgpr_private_segment_wavefront_offset 0
		.amdhsa_system_sgpr_workgroup_id_x 1
		.amdhsa_system_sgpr_workgroup_id_y 1
		.amdhsa_system_sgpr_workgroup_id_z 1
		.amdhsa_system_sgpr_workgroup_info 0
		.amdhsa_system_vgpr_workitem_id 1
		.amdhsa_next_free_vgpr 118
		.amdhsa_next_free_sgpr 44
		.amdhsa_reserve_vcc 1
		.amdhsa_reserve_flat_scratch 0
		.amdhsa_float_round_mode_32 0
		.amdhsa_float_round_mode_16_64 0
		.amdhsa_float_denorm_mode_32 3
		.amdhsa_float_denorm_mode_16_64 3
		.amdhsa_dx10_clamp 1
		.amdhsa_ieee_mode 1
		.amdhsa_fp16_overflow 0
		.amdhsa_workgroup_processor_mode 1
		.amdhsa_memory_ordered 1
		.amdhsa_forward_progress 1
		.amdhsa_shared_vgpr_count 0
		.amdhsa_exception_fp_ieee_invalid_op 0
		.amdhsa_exception_fp_denorm_src 0
		.amdhsa_exception_fp_ieee_div_zero 0
		.amdhsa_exception_fp_ieee_overflow 0
		.amdhsa_exception_fp_ieee_underflow 0
		.amdhsa_exception_fp_ieee_inexact 0
		.amdhsa_exception_int_div_zero 0
	.end_amdhsa_kernel
	.section	.text._ZL29rocblas_internal_gemmt_kernelIlLi16ELi32ELi8ELc67ELc67ELc85ELb1ELb1E19rocblas_complex_numIdES1_PKPKS1_PKPS1_EviT_T9_T10_S9_lSB_S9_lSA_T11_S9_li,"axG",@progbits,_ZL29rocblas_internal_gemmt_kernelIlLi16ELi32ELi8ELc67ELc67ELc85ELb1ELb1E19rocblas_complex_numIdES1_PKPKS1_PKPS1_EviT_T9_T10_S9_lSB_S9_lSA_T11_S9_li,comdat
.Lfunc_end566:
	.size	_ZL29rocblas_internal_gemmt_kernelIlLi16ELi32ELi8ELc67ELc67ELc85ELb1ELb1E19rocblas_complex_numIdES1_PKPKS1_PKPS1_EviT_T9_T10_S9_lSB_S9_lSA_T11_S9_li, .Lfunc_end566-_ZL29rocblas_internal_gemmt_kernelIlLi16ELi32ELi8ELc67ELc67ELc85ELb1ELb1E19rocblas_complex_numIdES1_PKPKS1_PKPS1_EviT_T9_T10_S9_lSB_S9_lSA_T11_S9_li
                                        ; -- End function
	.set _ZL29rocblas_internal_gemmt_kernelIlLi16ELi32ELi8ELc67ELc67ELc85ELb1ELb1E19rocblas_complex_numIdES1_PKPKS1_PKPS1_EviT_T9_T10_S9_lSB_S9_lSA_T11_S9_li.num_vgpr, 118
	.set _ZL29rocblas_internal_gemmt_kernelIlLi16ELi32ELi8ELc67ELc67ELc85ELb1ELb1E19rocblas_complex_numIdES1_PKPKS1_PKPS1_EviT_T9_T10_S9_lSB_S9_lSA_T11_S9_li.num_agpr, 0
	.set _ZL29rocblas_internal_gemmt_kernelIlLi16ELi32ELi8ELc67ELc67ELc85ELb1ELb1E19rocblas_complex_numIdES1_PKPKS1_PKPS1_EviT_T9_T10_S9_lSB_S9_lSA_T11_S9_li.numbered_sgpr, 44
	.set _ZL29rocblas_internal_gemmt_kernelIlLi16ELi32ELi8ELc67ELc67ELc85ELb1ELb1E19rocblas_complex_numIdES1_PKPKS1_PKPS1_EviT_T9_T10_S9_lSB_S9_lSA_T11_S9_li.num_named_barrier, 0
	.set _ZL29rocblas_internal_gemmt_kernelIlLi16ELi32ELi8ELc67ELc67ELc85ELb1ELb1E19rocblas_complex_numIdES1_PKPKS1_PKPS1_EviT_T9_T10_S9_lSB_S9_lSA_T11_S9_li.private_seg_size, 0
	.set _ZL29rocblas_internal_gemmt_kernelIlLi16ELi32ELi8ELc67ELc67ELc85ELb1ELb1E19rocblas_complex_numIdES1_PKPKS1_PKPS1_EviT_T9_T10_S9_lSB_S9_lSA_T11_S9_li.uses_vcc, 1
	.set _ZL29rocblas_internal_gemmt_kernelIlLi16ELi32ELi8ELc67ELc67ELc85ELb1ELb1E19rocblas_complex_numIdES1_PKPKS1_PKPS1_EviT_T9_T10_S9_lSB_S9_lSA_T11_S9_li.uses_flat_scratch, 0
	.set _ZL29rocblas_internal_gemmt_kernelIlLi16ELi32ELi8ELc67ELc67ELc85ELb1ELb1E19rocblas_complex_numIdES1_PKPKS1_PKPS1_EviT_T9_T10_S9_lSB_S9_lSA_T11_S9_li.has_dyn_sized_stack, 0
	.set _ZL29rocblas_internal_gemmt_kernelIlLi16ELi32ELi8ELc67ELc67ELc85ELb1ELb1E19rocblas_complex_numIdES1_PKPKS1_PKPS1_EviT_T9_T10_S9_lSB_S9_lSA_T11_S9_li.has_recursion, 0
	.set _ZL29rocblas_internal_gemmt_kernelIlLi16ELi32ELi8ELc67ELc67ELc85ELb1ELb1E19rocblas_complex_numIdES1_PKPKS1_PKPS1_EviT_T9_T10_S9_lSB_S9_lSA_T11_S9_li.has_indirect_call, 0
	.section	.AMDGPU.csdata,"",@progbits
; Kernel info:
; codeLenInByte = 3556
; TotalNumSgprs: 46
; NumVgprs: 118
; ScratchSize: 0
; MemoryBound: 1
; FloatMode: 240
; IeeeMode: 1
; LDSByteSize: 8192 bytes/workgroup (compile time only)
; SGPRBlocks: 0
; VGPRBlocks: 14
; NumSGPRsForWavesPerEU: 46
; NumVGPRsForWavesPerEU: 118
; Occupancy: 8
; WaveLimiterHint : 1
; COMPUTE_PGM_RSRC2:SCRATCH_EN: 0
; COMPUTE_PGM_RSRC2:USER_SGPR: 6
; COMPUTE_PGM_RSRC2:TRAP_HANDLER: 0
; COMPUTE_PGM_RSRC2:TGID_X_EN: 1
; COMPUTE_PGM_RSRC2:TGID_Y_EN: 1
; COMPUTE_PGM_RSRC2:TGID_Z_EN: 1
; COMPUTE_PGM_RSRC2:TIDIG_COMP_CNT: 1
	.section	.text._ZL29rocblas_internal_gemmt_kernelIlLi16ELi32ELi8ELc78ELc78ELc76ELb0ELb0E19rocblas_complex_numIdES1_PKPKS1_PKPS1_EviT_T9_T10_S9_lSB_S9_lSA_T11_S9_li,"axG",@progbits,_ZL29rocblas_internal_gemmt_kernelIlLi16ELi32ELi8ELc78ELc78ELc76ELb0ELb0E19rocblas_complex_numIdES1_PKPKS1_PKPS1_EviT_T9_T10_S9_lSB_S9_lSA_T11_S9_li,comdat
	.globl	_ZL29rocblas_internal_gemmt_kernelIlLi16ELi32ELi8ELc78ELc78ELc76ELb0ELb0E19rocblas_complex_numIdES1_PKPKS1_PKPS1_EviT_T9_T10_S9_lSB_S9_lSA_T11_S9_li ; -- Begin function _ZL29rocblas_internal_gemmt_kernelIlLi16ELi32ELi8ELc78ELc78ELc76ELb0ELb0E19rocblas_complex_numIdES1_PKPKS1_PKPS1_EviT_T9_T10_S9_lSB_S9_lSA_T11_S9_li
	.p2align	8
	.type	_ZL29rocblas_internal_gemmt_kernelIlLi16ELi32ELi8ELc78ELc78ELc76ELb0ELb0E19rocblas_complex_numIdES1_PKPKS1_PKPS1_EviT_T9_T10_S9_lSB_S9_lSA_T11_S9_li,@function
_ZL29rocblas_internal_gemmt_kernelIlLi16ELi32ELi8ELc78ELc78ELc76ELb0ELb0E19rocblas_complex_numIdES1_PKPKS1_PKPS1_EviT_T9_T10_S9_lSB_S9_lSA_T11_S9_li: ; @_ZL29rocblas_internal_gemmt_kernelIlLi16ELi32ELi8ELc78ELc78ELc76ELb0ELb0E19rocblas_complex_numIdES1_PKPKS1_PKPS1_EviT_T9_T10_S9_lSB_S9_lSA_T11_S9_li
; %bb.0:
	s_clause 0x1
	s_load_dwordx8 s[36:43], s[4:5], 0x48
	s_load_dwordx16 s[12:27], s[4:5], 0x8
	s_waitcnt lgkmcnt(0)
	v_cmp_eq_f64_e64 s0, s[38:39], 1.0
	v_cmp_eq_f64_e64 s29, s[40:41], 0
	s_and_b32 s0, s0, s29
	s_andn2_b32 vcc_lo, exec_lo, s0
	s_mov_b32 s0, -1
	s_cbranch_vccnz .LBB567_3
; %bb.1:
	s_cmp_lg_u64 s[12:13], 0
	s_cbranch_scc0 .LBB567_33
; %bb.2:
	v_cmp_neq_f64_e64 s0, s[14:15], 0
	v_cmp_neq_f64_e64 s1, s[16:17], 0
	s_or_b32 s0, s0, s1
.LBB567_3:
	s_and_b32 vcc_lo, exec_lo, s0
	s_cbranch_vccz .LBB567_34
; %bb.4:
	v_cmp_eq_f64_e64 s30, s[14:15], 0
	v_cmp_eq_f64_e64 s31, s[16:17], 0
	s_mov_b32 s9, 0
	v_mov_b32_e32 v20, 0
	s_lshl_b64 s[0:1], s[8:9], 3
	v_mov_b32_e32 v22, 0
	s_add_u32 s2, s42, s0
	s_addc_u32 s3, s43, s1
	s_clause 0x1
	s_load_dwordx4 s[8:11], s[4:5], 0x68
	s_load_dword s28, s[4:5], 0x0
	s_load_dwordx2 s[2:3], s[2:3], 0x0
	v_cmp_lt_i64_e64 s4, s[12:13], 1
	v_mov_b32_e32 v18, 0
	v_mov_b32_e32 v16, 0
	;; [unrolled: 1-line block ×13, first 2 shown]
	s_and_b32 s5, s30, s31
	v_mov_b32_e32 v7, 0
	s_or_b32 s4, s5, s4
	s_lshl_b32 s6, s6, 5
	s_and_b32 vcc_lo, exec_lo, s4
	s_lshl_b32 s7, s7, 5
	s_cbranch_vccnz .LBB567_17
; %bb.5:
	s_add_u32 s4, s24, s0
	s_addc_u32 s5, s25, s1
	v_lshl_add_u32 v5, v1, 4, v0
	s_load_dwordx2 s[4:5], s[4:5], 0x0
	s_lshl_b64 s[24:25], s[36:37], 4
	v_and_b32_e32 v24, 7, v0
	v_mov_b32_e32 v6, 0
	v_lshrrev_b32_e32 v10, 3, v5
	v_and_b32_e32 v20, 31, v5
	v_lshrrev_b32_e32 v27, 5, v5
	v_lshlrev_b32_e32 v23, 4, v24
	v_mov_b32_e32 v8, 0
	v_add_nc_u32_e32 v11, s7, v10
	v_mov_b32_e32 v12, 0
	v_mov_b32_e32 v14, 0
	v_lshl_or_b32 v10, v10, 7, v23
	v_mov_b32_e32 v16, 0
	v_ashrrev_i32_e32 v4, 31, v11
	v_mul_lo_u32 v21, s27, v11
	v_mad_u64_u32 v[2:3], null, s26, v11, 0
	s_waitcnt lgkmcnt(0)
	v_cmp_gt_i32_e32 vcc_lo, s28, v11
	v_mul_lo_u32 v22, s26, v4
	s_add_u32 s24, s4, s24
	s_addc_u32 s25, s5, s25
	s_add_u32 s0, s18, s0
	s_addc_u32 s1, s19, s1
	v_or_b32_e32 v4, s6, v20
	s_load_dwordx2 s[4:5], s[0:1], 0x0
	v_lshlrev_b32_e32 v20, 4, v20
	v_add3_u32 v3, v3, v22, v21
	s_lshl_b64 s[22:23], s[22:23], 4
	v_ashrrev_i32_e32 v5, 31, v4
	v_cmp_gt_i32_e64 s0, s28, v4
	v_cmp_le_i32_e64 s18, s28, v4
	v_lshlrev_b64 v[2:3], 4, v[2:3]
	v_mov_b32_e32 v18, 0
	v_lshlrev_b64 v[4:5], 4, v[4:5]
	v_lshl_or_b32 v28, v27, 9, v20
	v_mov_b32_e32 v22, 0
	v_mov_b32_e32 v20, 0
	v_add_co_u32 v30, s1, s24, v2
	v_add_co_ci_u32_e64 v31, null, s25, v3, s1
	v_lshlrev_b32_e32 v25, 4, v0
	v_lshl_add_u32 v26, v1, 7, 0x1000
	v_mov_b32_e32 v7, 0
	s_waitcnt lgkmcnt(0)
	s_add_u32 s1, s4, s22
	s_addc_u32 s4, s5, s23
	v_add_co_u32 v32, s1, s1, v4
	v_mov_b32_e32 v9, 0
	v_mov_b32_e32 v13, 0
	;; [unrolled: 1-line block ×5, first 2 shown]
	v_add_nc_u32_e32 v29, 0x1000, v10
	v_add_co_ci_u32_e64 v33, null, s4, v5, s1
	v_mov_b32_e32 v23, 0
	v_mov_b32_e32 v21, 0
	;; [unrolled: 1-line block ×3, first 2 shown]
	s_mov_b64 s[4:5], 0
	s_xor_b32 s1, vcc_lo, -1
                                        ; implicit-def: $vgpr10_vgpr11
	s_branch .LBB567_7
.LBB567_6:                              ;   in Loop: Header=BB567_7 Depth=1
	s_or_b32 exec_lo, exec_lo, s19
	s_waitcnt lgkmcnt(0)
	s_barrier
	buffer_gl0_inv
	ds_read_b128 v[34:37], v26
	ds_read_b128 v[38:41], v25
	ds_read_b128 v[42:45], v25 offset:256
	ds_read_b128 v[46:49], v26 offset:2048
	;; [unrolled: 1-line block ×16, first 2 shown]
	s_add_u32 s4, s4, 8
	s_addc_u32 s5, s5, 0
	v_cmp_gt_i64_e64 s19, s[12:13], s[4:5]
	s_waitcnt lgkmcnt(16)
	v_mul_f64 v[4:5], v[36:37], v[40:41]
	v_mul_f64 v[106:107], v[34:35], v[40:41]
	s_waitcnt lgkmcnt(15)
	v_mul_f64 v[108:109], v[36:37], v[44:45]
	v_mul_f64 v[110:111], v[34:35], v[44:45]
	s_waitcnt lgkmcnt(14)
	v_mul_f64 v[112:113], v[48:49], v[40:41]
	v_mul_f64 v[40:41], v[46:47], v[40:41]
	v_mul_f64 v[114:115], v[48:49], v[44:45]
	v_mul_f64 v[44:45], v[46:47], v[44:45]
	s_waitcnt lgkmcnt(12)
	v_mul_f64 v[116:117], v[52:53], v[56:57]
	v_mul_f64 v[118:119], v[50:51], v[56:57]
	s_waitcnt lgkmcnt(11)
	;; [unrolled: 3-line block ×3, first 2 shown]
	v_mul_f64 v[124:125], v[64:65], v[56:57]
	v_mul_f64 v[56:57], v[62:63], v[56:57]
	;; [unrolled: 1-line block ×4, first 2 shown]
	s_waitcnt lgkmcnt(7)
	v_mul_f64 v[132:133], v[76:77], v[68:69]
	v_mul_f64 v[134:135], v[74:75], v[68:69]
	;; [unrolled: 1-line block ×4, first 2 shown]
	s_and_b32 vcc_lo, exec_lo, s19
	v_fma_f64 v[4:5], v[34:35], v[38:39], -v[4:5]
	v_fma_f64 v[106:107], v[36:37], v[38:39], v[106:107]
	v_fma_f64 v[108:109], v[34:35], v[42:43], -v[108:109]
	v_fma_f64 v[110:111], v[36:37], v[42:43], v[110:111]
	;; [unrolled: 2-line block ×8, first 2 shown]
	s_waitcnt lgkmcnt(5)
	v_mul_f64 v[60:61], v[84:85], v[68:69]
	v_mul_f64 v[64:65], v[84:85], v[72:73]
	s_waitcnt lgkmcnt(3)
	v_mul_f64 v[126:127], v[88:89], v[92:93]
	ds_read_b128 v[34:37], v26 offset:64
	ds_read_b128 v[38:41], v26 offset:80
	;; [unrolled: 1-line block ×6, first 2 shown]
	v_add_f64 v[4:5], v[20:21], v[4:5]
	v_add_f64 v[20:21], v[106:107], v[22:23]
	;; [unrolled: 1-line block ×3, first 2 shown]
	v_mul_f64 v[22:23], v[82:83], v[68:69]
	v_add_f64 v[16:17], v[110:111], v[16:17]
	v_add_f64 v[14:15], v[14:15], v[112:113]
	v_mul_f64 v[68:69], v[82:83], v[72:73]
	v_add_f64 v[12:13], v[128:129], v[12:13]
	v_add_f64 v[8:9], v[8:9], v[114:115]
	;; [unrolled: 1-line block ×3, first 2 shown]
	v_mul_f64 v[72:73], v[80:81], v[92:93]
	v_mul_f64 v[106:107], v[78:79], v[92:93]
	s_waitcnt lgkmcnt(8)
	v_mul_f64 v[108:109], v[80:81], v[96:97]
	v_mul_f64 v[110:111], v[78:79], v[96:97]
	v_fma_f64 v[112:113], v[74:75], v[66:67], -v[132:133]
	v_fma_f64 v[114:115], v[76:77], v[66:67], v[134:135]
	v_fma_f64 v[74:75], v[74:75], v[70:71], -v[136:137]
	v_fma_f64 v[76:77], v[76:77], v[70:71], v[140:141]
	v_mul_f64 v[92:93], v[86:87], v[92:93]
	v_mul_f64 v[128:129], v[88:89], v[96:97]
	v_fma_f64 v[60:61], v[82:83], v[66:67], -v[60:61]
	v_mul_f64 v[96:97], v[86:87], v[96:97]
	v_add_f64 v[4:5], v[4:5], v[116:117]
	v_add_f64 v[20:21], v[118:119], v[20:21]
	;; [unrolled: 1-line block ×3, first 2 shown]
	v_fma_f64 v[22:23], v[84:85], v[66:67], v[22:23]
	v_add_f64 v[16:17], v[122:123], v[16:17]
	v_add_f64 v[14:15], v[14:15], v[124:125]
	v_fma_f64 v[64:65], v[82:83], v[70:71], -v[64:65]
	v_add_f64 v[12:13], v[138:139], v[12:13]
	v_add_f64 v[8:9], v[8:9], v[62:63]
	v_fma_f64 v[66:67], v[84:85], v[70:71], v[68:69]
	v_add_f64 v[6:7], v[58:59], v[6:7]
	s_waitcnt lgkmcnt(5)
	v_mul_f64 v[116:117], v[36:37], v[100:101]
	v_mul_f64 v[118:119], v[34:35], v[100:101]
	;; [unrolled: 1-line block ×4, first 2 shown]
	s_waitcnt lgkmcnt(1)
	v_mul_f64 v[62:63], v[52:53], v[100:101]
	v_fma_f64 v[68:69], v[78:79], v[90:91], -v[72:73]
	v_fma_f64 v[70:71], v[80:81], v[90:91], v[106:107]
	v_fma_f64 v[72:73], v[78:79], v[94:95], -v[108:109]
	v_fma_f64 v[78:79], v[80:81], v[94:95], v[110:111]
	;; [unrolled: 2-line block ×3, first 2 shown]
	v_add_f64 v[4:5], v[4:5], v[112:113]
	v_add_f64 v[20:21], v[114:115], v[20:21]
	;; [unrolled: 1-line block ×3, first 2 shown]
	v_mul_f64 v[74:75], v[52:53], v[104:105]
	v_add_f64 v[16:17], v[76:77], v[16:17]
	v_add_f64 v[14:15], v[14:15], v[60:61]
	v_mul_f64 v[60:61], v[50:51], v[100:101]
	v_mul_f64 v[76:77], v[50:51], v[104:105]
	v_fma_f64 v[86:87], v[86:87], v[94:95], -v[128:129]
	v_add_f64 v[12:13], v[22:23], v[12:13]
	v_add_f64 v[8:9], v[8:9], v[64:65]
	v_fma_f64 v[88:89], v[88:89], v[94:95], v[96:97]
	v_add_f64 v[66:67], v[66:67], v[6:7]
	v_mul_f64 v[80:81], v[40:41], v[44:45]
	v_mul_f64 v[82:83], v[38:39], v[44:45]
	;; [unrolled: 1-line block ×3, first 2 shown]
	v_fma_f64 v[90:91], v[34:35], v[98:99], -v[116:117]
	v_fma_f64 v[92:93], v[36:37], v[98:99], v[118:119]
	v_fma_f64 v[34:35], v[34:35], v[102:103], -v[120:121]
	v_fma_f64 v[36:37], v[36:37], v[102:103], v[122:123]
	v_fma_f64 v[62:63], v[50:51], v[98:99], -v[62:63]
	v_mul_f64 v[94:95], v[38:39], v[48:49]
	v_add_f64 v[68:69], v[4:5], v[68:69]
	v_add_f64 v[70:71], v[70:71], v[20:21]
	v_add_f64 v[72:73], v[18:19], v[72:73]
	s_waitcnt lgkmcnt(0)
	v_mul_f64 v[96:97], v[56:57], v[44:45]
	v_add_f64 v[78:79], v[78:79], v[16:17]
	v_add_f64 v[58:59], v[14:15], v[58:59]
	v_mul_f64 v[44:45], v[54:55], v[44:45]
	v_mul_f64 v[100:101], v[56:57], v[48:49]
	;; [unrolled: 1-line block ×3, first 2 shown]
	v_fma_f64 v[60:61], v[52:53], v[98:99], v[60:61]
	v_fma_f64 v[50:51], v[50:51], v[102:103], -v[74:75]
	v_add_f64 v[74:75], v[84:85], v[12:13]
	v_add_f64 v[8:9], v[8:9], v[86:87]
	v_fma_f64 v[52:53], v[52:53], v[102:103], v[76:77]
	v_add_f64 v[66:67], v[88:89], v[66:67]
	ds_read_b128 v[4:7], v26 offset:96
	ds_read_b128 v[12:15], v25 offset:3072
	;; [unrolled: 1-line block ×4, first 2 shown]
	v_fma_f64 v[76:77], v[38:39], v[42:43], -v[80:81]
	v_fma_f64 v[64:65], v[38:39], v[46:47], -v[64:65]
	v_fma_f64 v[80:81], v[40:41], v[46:47], v[94:95]
	v_add_f64 v[68:69], v[68:69], v[90:91]
	v_add_f64 v[70:71], v[92:93], v[70:71]
	;; [unrolled: 1-line block ×5, first 2 shown]
	v_fma_f64 v[62:63], v[40:41], v[42:43], v[82:83]
	v_fma_f64 v[82:83], v[54:55], v[42:43], -v[96:97]
	v_fma_f64 v[84:85], v[56:57], v[42:43], v[44:45]
	v_fma_f64 v[54:55], v[54:55], v[46:47], -v[100:101]
	v_fma_f64 v[56:57], v[56:57], v[46:47], v[48:49]
	v_add_f64 v[60:61], v[60:61], v[74:75]
	v_add_f64 v[8:9], v[8:9], v[50:51]
	s_waitcnt lgkmcnt(2)
	v_mul_f64 v[50:51], v[6:7], v[14:15]
	v_mul_f64 v[74:75], v[4:5], v[14:15]
	s_waitcnt lgkmcnt(1)
	v_mul_f64 v[86:87], v[6:7], v[18:19]
	v_mul_f64 v[88:89], v[4:5], v[18:19]
	;; [unrolled: 3-line block ×3, first 2 shown]
	v_mul_f64 v[92:93], v[22:23], v[18:19]
	v_add_f64 v[52:53], v[52:53], v[66:67]
	v_mul_f64 v[18:19], v[20:21], v[18:19]
	ds_read_b128 v[34:37], v26 offset:112
	ds_read_b128 v[38:41], v26 offset:2160
	;; [unrolled: 1-line block ×4, first 2 shown]
	v_add_f64 v[66:67], v[68:69], v[76:77]
	v_add_f64 v[64:65], v[72:73], v[64:65]
	;; [unrolled: 1-line block ×5, first 2 shown]
	s_waitcnt lgkmcnt(0)
	s_barrier
	buffer_gl0_inv
	v_add_f64 v[60:61], v[84:85], v[60:61]
	v_add_f64 v[8:9], v[8:9], v[54:55]
	v_fma_f64 v[50:51], v[4:5], v[12:13], -v[50:51]
	v_fma_f64 v[54:55], v[6:7], v[12:13], v[74:75]
	v_fma_f64 v[4:5], v[4:5], v[16:17], -v[86:87]
	v_fma_f64 v[6:7], v[6:7], v[16:17], v[88:89]
	;; [unrolled: 2-line block ×3, first 2 shown]
	v_fma_f64 v[14:15], v[20:21], v[16:17], -v[92:93]
	v_add_f64 v[20:21], v[56:57], v[52:53]
	v_fma_f64 v[16:17], v[22:23], v[16:17], v[18:19]
	v_mul_f64 v[18:19], v[36:37], v[44:45]
	v_mul_f64 v[22:23], v[34:35], v[44:45]
	;; [unrolled: 1-line block ×8, first 2 shown]
	v_add_f64 v[50:51], v[66:67], v[50:51]
	v_add_f64 v[54:55], v[54:55], v[62:63]
	;; [unrolled: 1-line block ×8, first 2 shown]
	v_fma_f64 v[14:15], v[34:35], v[42:43], -v[18:19]
	v_fma_f64 v[16:17], v[36:37], v[42:43], v[22:23]
	v_fma_f64 v[18:19], v[34:35], v[46:47], -v[52:53]
	v_fma_f64 v[34:35], v[36:37], v[46:47], v[56:57]
	;; [unrolled: 2-line block ×4, first 2 shown]
	v_add_f64 v[20:21], v[50:51], v[14:15]
	v_add_f64 v[22:23], v[16:17], v[54:55]
	;; [unrolled: 1-line block ×8, first 2 shown]
	s_cbranch_vccz .LBB567_17
.LBB567_7:                              ; =>This Inner Loop Header: Depth=1
	s_mov_b32 s23, s18
	s_mov_b32 s19, 0
	s_and_saveexec_b32 s22, s0
	s_cbranch_execnz .LBB567_15
; %bb.8:                                ;   in Loop: Header=BB567_7 Depth=1
	s_or_b32 exec_lo, exec_lo, s22
	s_and_saveexec_b32 s22, s23
	s_xor_b32 s22, exec_lo, s22
	s_cbranch_execnz .LBB567_16
.LBB567_9:                              ;   in Loop: Header=BB567_7 Depth=1
	s_or_b32 exec_lo, exec_lo, s22
	s_and_saveexec_b32 s22, s19
	s_cbranch_execz .LBB567_11
.LBB567_10:                             ;   in Loop: Header=BB567_7 Depth=1
	v_mul_lo_u32 v2, s21, v10
	v_mul_lo_u32 v34, s20, v11
	v_mad_u64_u32 v[4:5], null, s20, v10, 0
	v_add3_u32 v5, v5, v34, v2
	v_lshlrev_b64 v[4:5], 4, v[4:5]
	v_add_co_u32 v4, vcc_lo, v32, v4
	v_add_co_ci_u32_e64 v5, null, v33, v5, vcc_lo
	flat_load_dwordx4 v[34:37], v[4:5]
	s_waitcnt vmcnt(0) lgkmcnt(0)
	ds_write2_b64 v28, v[34:35], v[36:37] offset1:1
.LBB567_11:                             ;   in Loop: Header=BB567_7 Depth=1
	s_or_b32 exec_lo, exec_lo, s22
	v_add_nc_u32_e32 v2, s4, v24
	v_cmp_le_u64_e32 vcc_lo, s[12:13], v[2:3]
	s_or_b32 s19, vcc_lo, s1
	s_and_saveexec_b32 s22, s19
	s_xor_b32 s19, exec_lo, s22
	s_cbranch_execz .LBB567_13
; %bb.12:                               ;   in Loop: Header=BB567_7 Depth=1
	v_mov_b32_e32 v2, v3
	v_mov_b32_e32 v4, v3
	;; [unrolled: 1-line block ×3, first 2 shown]
	ds_write_b128 v29, v[2:5]
.LBB567_13:                             ;   in Loop: Header=BB567_7 Depth=1
	s_andn2_saveexec_b32 s19, s19
	s_cbranch_execz .LBB567_6
; %bb.14:                               ;   in Loop: Header=BB567_7 Depth=1
	v_lshlrev_b64 v[4:5], 4, v[2:3]
	v_add_co_u32 v4, vcc_lo, v30, v4
	v_add_co_ci_u32_e64 v5, null, v31, v5, vcc_lo
	flat_load_dwordx4 v[34:37], v[4:5]
	s_waitcnt vmcnt(0) lgkmcnt(0)
	ds_write2_b64 v29, v[34:35], v[36:37] offset1:1
	s_branch .LBB567_6
.LBB567_15:                             ;   in Loop: Header=BB567_7 Depth=1
	v_add_nc_u32_e32 v2, s4, v27
	v_mov_b32_e32 v11, v3
	s_andn2_b32 s23, s18, exec_lo
	s_mov_b32 s19, exec_lo
	v_cmp_le_u64_e32 vcc_lo, s[12:13], v[2:3]
	v_mov_b32_e32 v10, v2
	s_and_b32 s24, vcc_lo, exec_lo
	s_or_b32 s23, s23, s24
	s_or_b32 exec_lo, exec_lo, s22
	s_and_saveexec_b32 s22, s23
	s_xor_b32 s22, exec_lo, s22
	s_cbranch_execz .LBB567_9
.LBB567_16:                             ;   in Loop: Header=BB567_7 Depth=1
	v_mov_b32_e32 v2, v3
	v_mov_b32_e32 v4, v3
	;; [unrolled: 1-line block ×3, first 2 shown]
	s_andn2_b32 s19, s19, exec_lo
	ds_write_b128 v28, v[2:5]
	s_or_b32 exec_lo, exec_lo, s22
	s_and_saveexec_b32 s22, s19
	s_cbranch_execnz .LBB567_10
	s_branch .LBB567_11
.LBB567_17:
	v_add_nc_u32_e32 v25, s7, v1
	v_cmp_neq_f64_e64 s5, s[38:39], 0
	s_waitcnt lgkmcnt(0)
	s_lshl_b64 s[0:1], s[10:11], 4
	s_add_u32 s4, s2, s0
	v_ashrrev_i32_e32 v3, 31, v25
	v_mul_lo_u32 v4, s9, v25
	v_mad_u64_u32 v[1:2], null, s8, v25, 0
	s_addc_u32 s3, s3, s1
	v_mul_lo_u32 v3, s8, v3
	s_xor_b32 s2, s29, -1
	v_add3_u32 v2, v2, v3, v4
	v_add_nc_u32_e32 v4, s6, v0
	s_or_b32 s2, s5, s2
	v_lshlrev_b64 v[0:1], 4, v[1:2]
	v_cmp_le_i32_e32 vcc_lo, v25, v4
	v_cmp_gt_i32_e64 s0, s28, v4
	v_ashrrev_i32_e32 v5, 31, v4
	v_cndmask_b32_e64 v24, 0, 1, s2
	v_add_co_u32 v26, s1, s4, v0
	v_add_co_ci_u32_e64 v27, null, s3, v1, s1
	s_and_b32 s5, vcc_lo, s0
	s_and_saveexec_b32 s1, s5
	s_cbranch_execz .LBB567_21
; %bb.18:
	v_mul_f64 v[0:1], s[16:17], v[22:23]
	v_mul_f64 v[2:3], s[14:15], v[22:23]
	v_lshlrev_b64 v[10:11], 4, v[4:5]
	v_add_co_u32 v10, vcc_lo, v26, v10
	v_add_co_ci_u32_e64 v11, null, v27, v11, vcc_lo
	s_andn2_b32 vcc_lo, exec_lo, s2
	v_fma_f64 v[0:1], s[14:15], v[20:21], -v[0:1]
	v_fma_f64 v[2:3], s[16:17], v[20:21], v[2:3]
	s_cbranch_vccnz .LBB567_20
; %bb.19:
	flat_load_dwordx4 v[20:23], v[10:11]
	s_waitcnt vmcnt(0) lgkmcnt(0)
	v_mul_f64 v[28:29], s[40:41], v[22:23]
	v_mul_f64 v[22:23], s[38:39], v[22:23]
	v_fma_f64 v[28:29], s[38:39], v[20:21], -v[28:29]
	v_fma_f64 v[20:21], s[40:41], v[20:21], v[22:23]
	v_add_f64 v[0:1], v[0:1], v[28:29]
	v_add_f64 v[2:3], v[2:3], v[20:21]
.LBB567_20:
	flat_store_dwordx4 v[10:11], v[0:3]
.LBB567_21:
	s_or_b32 exec_lo, exec_lo, s1
	v_add_nc_u32_e32 v10, 16, v4
	v_cmp_le_i32_e32 vcc_lo, v25, v10
	v_cmp_gt_i32_e64 s1, s28, v10
	v_ashrrev_i32_e32 v11, 31, v10
	s_and_b32 s2, vcc_lo, s1
	s_and_saveexec_b32 s5, s2
	s_cbranch_execz .LBB567_25
; %bb.22:
	v_mul_f64 v[0:1], s[16:17], v[16:17]
	v_mul_f64 v[2:3], s[14:15], v[16:17]
	v_lshlrev_b64 v[16:17], 4, v[10:11]
	v_cmp_ne_u32_e32 vcc_lo, 1, v24
	s_and_b32 vcc_lo, exec_lo, vcc_lo
	v_add_co_u32 v16, s2, v26, v16
	v_add_co_ci_u32_e64 v17, null, v27, v17, s2
	v_fma_f64 v[0:1], s[14:15], v[18:19], -v[0:1]
	v_fma_f64 v[2:3], s[16:17], v[18:19], v[2:3]
	s_cbranch_vccnz .LBB567_24
; %bb.23:
	flat_load_dwordx4 v[18:21], v[16:17]
	s_waitcnt vmcnt(0) lgkmcnt(0)
	v_mul_f64 v[22:23], s[40:41], v[20:21]
	v_mul_f64 v[20:21], s[38:39], v[20:21]
	v_fma_f64 v[22:23], s[38:39], v[18:19], -v[22:23]
	v_fma_f64 v[18:19], s[40:41], v[18:19], v[20:21]
	v_add_f64 v[0:1], v[0:1], v[22:23]
	v_add_f64 v[2:3], v[2:3], v[18:19]
.LBB567_24:
	flat_store_dwordx4 v[16:17], v[0:3]
.LBB567_25:
	s_or_b32 exec_lo, exec_lo, s5
	v_add_nc_u32_e32 v18, 16, v25
	v_ashrrev_i32_e32 v2, 31, v18
	v_mul_lo_u32 v3, s9, v18
	v_mad_u64_u32 v[0:1], null, s8, v18, 0
	v_cmp_le_i32_e32 vcc_lo, v18, v4
	v_mul_lo_u32 v2, s8, v2
	s_and_b32 s0, vcc_lo, s0
	v_add3_u32 v1, v1, v2, v3
	v_lshlrev_b64 v[0:1], 4, v[0:1]
	v_add_co_u32 v16, s2, s4, v0
	v_add_co_ci_u32_e64 v17, null, s3, v1, s2
	s_and_saveexec_b32 s2, s0
	s_cbranch_execz .LBB567_29
; %bb.26:
	v_mul_f64 v[0:1], s[16:17], v[12:13]
	v_mul_f64 v[2:3], s[14:15], v[12:13]
	v_lshlrev_b64 v[4:5], 4, v[4:5]
	v_cmp_ne_u32_e32 vcc_lo, 1, v24
	s_and_b32 vcc_lo, exec_lo, vcc_lo
	v_add_co_u32 v4, s0, v16, v4
	v_add_co_ci_u32_e64 v5, null, v17, v5, s0
	v_fma_f64 v[0:1], s[14:15], v[14:15], -v[0:1]
	v_fma_f64 v[2:3], s[16:17], v[14:15], v[2:3]
	s_cbranch_vccnz .LBB567_28
; %bb.27:
	flat_load_dwordx4 v[12:15], v[4:5]
	s_waitcnt vmcnt(0) lgkmcnt(0)
	v_mul_f64 v[19:20], s[40:41], v[14:15]
	v_mul_f64 v[14:15], s[38:39], v[14:15]
	v_fma_f64 v[19:20], s[38:39], v[12:13], -v[19:20]
	v_fma_f64 v[12:13], s[40:41], v[12:13], v[14:15]
	v_add_f64 v[0:1], v[0:1], v[19:20]
	v_add_f64 v[2:3], v[2:3], v[12:13]
.LBB567_28:
	flat_store_dwordx4 v[4:5], v[0:3]
.LBB567_29:
	s_or_b32 exec_lo, exec_lo, s2
	v_cmp_le_i32_e32 vcc_lo, v18, v10
	s_and_b32 s0, vcc_lo, s1
	s_and_saveexec_b32 s1, s0
	s_cbranch_execz .LBB567_34
; %bb.30:
	v_mul_f64 v[0:1], s[16:17], v[6:7]
	v_mul_f64 v[2:3], s[14:15], v[6:7]
	v_lshlrev_b64 v[4:5], 4, v[10:11]
	v_cmp_ne_u32_e32 vcc_lo, 1, v24
	s_and_b32 vcc_lo, exec_lo, vcc_lo
	v_add_co_u32 v4, s0, v16, v4
	v_add_co_ci_u32_e64 v5, null, v17, v5, s0
	v_fma_f64 v[0:1], s[14:15], v[8:9], -v[0:1]
	v_fma_f64 v[2:3], s[16:17], v[8:9], v[2:3]
	s_cbranch_vccnz .LBB567_32
; %bb.31:
	flat_load_dwordx4 v[6:9], v[4:5]
	s_waitcnt vmcnt(0) lgkmcnt(0)
	v_mul_f64 v[10:11], s[40:41], v[8:9]
	v_mul_f64 v[8:9], s[38:39], v[8:9]
	v_fma_f64 v[10:11], s[38:39], v[6:7], -v[10:11]
	v_fma_f64 v[6:7], s[40:41], v[6:7], v[8:9]
	v_add_f64 v[0:1], v[0:1], v[10:11]
	v_add_f64 v[2:3], v[2:3], v[6:7]
.LBB567_32:
	flat_store_dwordx4 v[4:5], v[0:3]
	s_endpgm
.LBB567_33:
.LBB567_34:
	s_endpgm
	.section	.rodata,"a",@progbits
	.p2align	6, 0x0
	.amdhsa_kernel _ZL29rocblas_internal_gemmt_kernelIlLi16ELi32ELi8ELc78ELc78ELc76ELb0ELb0E19rocblas_complex_numIdES1_PKPKS1_PKPS1_EviT_T9_T10_S9_lSB_S9_lSA_T11_S9_li
		.amdhsa_group_segment_fixed_size 8192
		.amdhsa_private_segment_fixed_size 0
		.amdhsa_kernarg_size 124
		.amdhsa_user_sgpr_count 6
		.amdhsa_user_sgpr_private_segment_buffer 1
		.amdhsa_user_sgpr_dispatch_ptr 0
		.amdhsa_user_sgpr_queue_ptr 0
		.amdhsa_user_sgpr_kernarg_segment_ptr 1
		.amdhsa_user_sgpr_dispatch_id 0
		.amdhsa_user_sgpr_flat_scratch_init 0
		.amdhsa_user_sgpr_private_segment_size 0
		.amdhsa_wavefront_size32 1
		.amdhsa_uses_dynamic_stack 0
		.amdhsa_system_sgpr_private_segment_wavefront_offset 0
		.amdhsa_system_sgpr_workgroup_id_x 1
		.amdhsa_system_sgpr_workgroup_id_y 1
		.amdhsa_system_sgpr_workgroup_id_z 1
		.amdhsa_system_sgpr_workgroup_info 0
		.amdhsa_system_vgpr_workitem_id 1
		.amdhsa_next_free_vgpr 142
		.amdhsa_next_free_sgpr 44
		.amdhsa_reserve_vcc 1
		.amdhsa_reserve_flat_scratch 0
		.amdhsa_float_round_mode_32 0
		.amdhsa_float_round_mode_16_64 0
		.amdhsa_float_denorm_mode_32 3
		.amdhsa_float_denorm_mode_16_64 3
		.amdhsa_dx10_clamp 1
		.amdhsa_ieee_mode 1
		.amdhsa_fp16_overflow 0
		.amdhsa_workgroup_processor_mode 1
		.amdhsa_memory_ordered 1
		.amdhsa_forward_progress 1
		.amdhsa_shared_vgpr_count 0
		.amdhsa_exception_fp_ieee_invalid_op 0
		.amdhsa_exception_fp_denorm_src 0
		.amdhsa_exception_fp_ieee_div_zero 0
		.amdhsa_exception_fp_ieee_overflow 0
		.amdhsa_exception_fp_ieee_underflow 0
		.amdhsa_exception_fp_ieee_inexact 0
		.amdhsa_exception_int_div_zero 0
	.end_amdhsa_kernel
	.section	.text._ZL29rocblas_internal_gemmt_kernelIlLi16ELi32ELi8ELc78ELc78ELc76ELb0ELb0E19rocblas_complex_numIdES1_PKPKS1_PKPS1_EviT_T9_T10_S9_lSB_S9_lSA_T11_S9_li,"axG",@progbits,_ZL29rocblas_internal_gemmt_kernelIlLi16ELi32ELi8ELc78ELc78ELc76ELb0ELb0E19rocblas_complex_numIdES1_PKPKS1_PKPS1_EviT_T9_T10_S9_lSB_S9_lSA_T11_S9_li,comdat
.Lfunc_end567:
	.size	_ZL29rocblas_internal_gemmt_kernelIlLi16ELi32ELi8ELc78ELc78ELc76ELb0ELb0E19rocblas_complex_numIdES1_PKPKS1_PKPS1_EviT_T9_T10_S9_lSB_S9_lSA_T11_S9_li, .Lfunc_end567-_ZL29rocblas_internal_gemmt_kernelIlLi16ELi32ELi8ELc78ELc78ELc76ELb0ELb0E19rocblas_complex_numIdES1_PKPKS1_PKPS1_EviT_T9_T10_S9_lSB_S9_lSA_T11_S9_li
                                        ; -- End function
	.set _ZL29rocblas_internal_gemmt_kernelIlLi16ELi32ELi8ELc78ELc78ELc76ELb0ELb0E19rocblas_complex_numIdES1_PKPKS1_PKPS1_EviT_T9_T10_S9_lSB_S9_lSA_T11_S9_li.num_vgpr, 142
	.set _ZL29rocblas_internal_gemmt_kernelIlLi16ELi32ELi8ELc78ELc78ELc76ELb0ELb0E19rocblas_complex_numIdES1_PKPKS1_PKPS1_EviT_T9_T10_S9_lSB_S9_lSA_T11_S9_li.num_agpr, 0
	.set _ZL29rocblas_internal_gemmt_kernelIlLi16ELi32ELi8ELc78ELc78ELc76ELb0ELb0E19rocblas_complex_numIdES1_PKPKS1_PKPS1_EviT_T9_T10_S9_lSB_S9_lSA_T11_S9_li.numbered_sgpr, 44
	.set _ZL29rocblas_internal_gemmt_kernelIlLi16ELi32ELi8ELc78ELc78ELc76ELb0ELb0E19rocblas_complex_numIdES1_PKPKS1_PKPS1_EviT_T9_T10_S9_lSB_S9_lSA_T11_S9_li.num_named_barrier, 0
	.set _ZL29rocblas_internal_gemmt_kernelIlLi16ELi32ELi8ELc78ELc78ELc76ELb0ELb0E19rocblas_complex_numIdES1_PKPKS1_PKPS1_EviT_T9_T10_S9_lSB_S9_lSA_T11_S9_li.private_seg_size, 0
	.set _ZL29rocblas_internal_gemmt_kernelIlLi16ELi32ELi8ELc78ELc78ELc76ELb0ELb0E19rocblas_complex_numIdES1_PKPKS1_PKPS1_EviT_T9_T10_S9_lSB_S9_lSA_T11_S9_li.uses_vcc, 1
	.set _ZL29rocblas_internal_gemmt_kernelIlLi16ELi32ELi8ELc78ELc78ELc76ELb0ELb0E19rocblas_complex_numIdES1_PKPKS1_PKPS1_EviT_T9_T10_S9_lSB_S9_lSA_T11_S9_li.uses_flat_scratch, 0
	.set _ZL29rocblas_internal_gemmt_kernelIlLi16ELi32ELi8ELc78ELc78ELc76ELb0ELb0E19rocblas_complex_numIdES1_PKPKS1_PKPS1_EviT_T9_T10_S9_lSB_S9_lSA_T11_S9_li.has_dyn_sized_stack, 0
	.set _ZL29rocblas_internal_gemmt_kernelIlLi16ELi32ELi8ELc78ELc78ELc76ELb0ELb0E19rocblas_complex_numIdES1_PKPKS1_PKPS1_EviT_T9_T10_S9_lSB_S9_lSA_T11_S9_li.has_recursion, 0
	.set _ZL29rocblas_internal_gemmt_kernelIlLi16ELi32ELi8ELc78ELc78ELc76ELb0ELb0E19rocblas_complex_numIdES1_PKPKS1_PKPS1_EviT_T9_T10_S9_lSB_S9_lSA_T11_S9_li.has_indirect_call, 0
	.section	.AMDGPU.csdata,"",@progbits
; Kernel info:
; codeLenInByte = 3632
; TotalNumSgprs: 46
; NumVgprs: 142
; ScratchSize: 0
; MemoryBound: 0
; FloatMode: 240
; IeeeMode: 1
; LDSByteSize: 8192 bytes/workgroup (compile time only)
; SGPRBlocks: 0
; VGPRBlocks: 17
; NumSGPRsForWavesPerEU: 46
; NumVGPRsForWavesPerEU: 142
; Occupancy: 7
; WaveLimiterHint : 1
; COMPUTE_PGM_RSRC2:SCRATCH_EN: 0
; COMPUTE_PGM_RSRC2:USER_SGPR: 6
; COMPUTE_PGM_RSRC2:TRAP_HANDLER: 0
; COMPUTE_PGM_RSRC2:TGID_X_EN: 1
; COMPUTE_PGM_RSRC2:TGID_Y_EN: 1
; COMPUTE_PGM_RSRC2:TGID_Z_EN: 1
; COMPUTE_PGM_RSRC2:TIDIG_COMP_CNT: 1
	.section	.text._ZL29rocblas_internal_gemmt_kernelIlLi16ELi32ELi8ELc78ELc84ELc76ELb0ELb0E19rocblas_complex_numIdES1_PKPKS1_PKPS1_EviT_T9_T10_S9_lSB_S9_lSA_T11_S9_li,"axG",@progbits,_ZL29rocblas_internal_gemmt_kernelIlLi16ELi32ELi8ELc78ELc84ELc76ELb0ELb0E19rocblas_complex_numIdES1_PKPKS1_PKPS1_EviT_T9_T10_S9_lSB_S9_lSA_T11_S9_li,comdat
	.globl	_ZL29rocblas_internal_gemmt_kernelIlLi16ELi32ELi8ELc78ELc84ELc76ELb0ELb0E19rocblas_complex_numIdES1_PKPKS1_PKPS1_EviT_T9_T10_S9_lSB_S9_lSA_T11_S9_li ; -- Begin function _ZL29rocblas_internal_gemmt_kernelIlLi16ELi32ELi8ELc78ELc84ELc76ELb0ELb0E19rocblas_complex_numIdES1_PKPKS1_PKPS1_EviT_T9_T10_S9_lSB_S9_lSA_T11_S9_li
	.p2align	8
	.type	_ZL29rocblas_internal_gemmt_kernelIlLi16ELi32ELi8ELc78ELc84ELc76ELb0ELb0E19rocblas_complex_numIdES1_PKPKS1_PKPS1_EviT_T9_T10_S9_lSB_S9_lSA_T11_S9_li,@function
_ZL29rocblas_internal_gemmt_kernelIlLi16ELi32ELi8ELc78ELc84ELc76ELb0ELb0E19rocblas_complex_numIdES1_PKPKS1_PKPS1_EviT_T9_T10_S9_lSB_S9_lSA_T11_S9_li: ; @_ZL29rocblas_internal_gemmt_kernelIlLi16ELi32ELi8ELc78ELc84ELc76ELb0ELb0E19rocblas_complex_numIdES1_PKPKS1_PKPS1_EviT_T9_T10_S9_lSB_S9_lSA_T11_S9_li
; %bb.0:
	s_clause 0x1
	s_load_dwordx8 s[36:43], s[4:5], 0x48
	s_load_dwordx16 s[12:27], s[4:5], 0x8
	s_waitcnt lgkmcnt(0)
	v_cmp_eq_f64_e64 s0, s[38:39], 1.0
	v_cmp_eq_f64_e64 s29, s[40:41], 0
	s_and_b32 s0, s0, s29
	s_andn2_b32 vcc_lo, exec_lo, s0
	s_mov_b32 s0, -1
	s_cbranch_vccnz .LBB568_3
; %bb.1:
	s_cmp_lg_u64 s[12:13], 0
	s_cbranch_scc0 .LBB568_33
; %bb.2:
	v_cmp_neq_f64_e64 s0, s[14:15], 0
	v_cmp_neq_f64_e64 s1, s[16:17], 0
	s_or_b32 s0, s0, s1
.LBB568_3:
	s_and_b32 vcc_lo, exec_lo, s0
	s_cbranch_vccz .LBB568_34
; %bb.4:
	v_cmp_eq_f64_e64 s30, s[14:15], 0
	v_cmp_eq_f64_e64 s31, s[16:17], 0
	s_mov_b32 s9, 0
	v_mov_b32_e32 v20, 0
	s_lshl_b64 s[0:1], s[8:9], 3
	v_mov_b32_e32 v22, 0
	s_add_u32 s2, s42, s0
	s_addc_u32 s3, s43, s1
	s_clause 0x1
	s_load_dwordx4 s[8:11], s[4:5], 0x68
	s_load_dword s28, s[4:5], 0x0
	s_load_dwordx2 s[2:3], s[2:3], 0x0
	v_cmp_lt_i64_e64 s4, s[12:13], 1
	v_mov_b32_e32 v16, 0
	v_mov_b32_e32 v18, 0
	;; [unrolled: 1-line block ×13, first 2 shown]
	s_and_b32 s5, s30, s31
	v_mov_b32_e32 v7, 0
	s_or_b32 s4, s5, s4
	s_lshl_b32 s6, s6, 5
	s_and_b32 vcc_lo, exec_lo, s4
	s_lshl_b32 s7, s7, 5
	s_cbranch_vccnz .LBB568_17
; %bb.5:
	s_add_u32 s4, s24, s0
	s_addc_u32 s5, s25, s1
	v_lshl_add_u32 v3, v1, 4, v0
	s_load_dwordx2 s[4:5], s[4:5], 0x0
	s_lshl_b64 s[24:25], s[36:37], 4
	v_and_b32_e32 v24, 7, v0
	v_mov_b32_e32 v6, 0
	v_lshrrev_b32_e32 v5, 3, v3
	v_and_b32_e32 v10, 31, v3
	v_lshrrev_b32_e32 v27, 5, v3
	v_lshlrev_b32_e32 v11, 4, v24
	v_mov_b32_e32 v8, 0
	v_add_nc_u32_e32 v2, s7, v5
	v_or_b32_e32 v4, s6, v10
	v_lshlrev_b32_e32 v10, 4, v10
	v_lshl_or_b32 v29, v5, 7, v11
	v_mov_b32_e32 v12, 0
	v_ashrrev_i32_e32 v3, 31, v2
	v_ashrrev_i32_e32 v5, 31, v4
	v_lshl_or_b32 v28, v27, 9, v10
	s_waitcnt lgkmcnt(0)
	v_cmp_gt_i32_e32 vcc_lo, s28, v2
	v_mov_b32_e32 v14, 0
	v_lshlrev_b64 v[10:11], 4, v[2:3]
	s_add_u32 s24, s4, s24
	s_addc_u32 s25, s5, s25
	s_add_u32 s0, s18, s0
	s_addc_u32 s1, s19, s1
	v_lshlrev_b64 v[2:3], 4, v[4:5]
	s_load_dwordx2 s[4:5], s[0:1], 0x0
	s_lshl_b64 s[22:23], s[22:23], 4
	v_add_co_u32 v30, s1, s24, v10
	v_add_co_ci_u32_e64 v31, null, s25, v11, s1
	v_mov_b32_e32 v18, 0
	v_mov_b32_e32 v16, 0
	;; [unrolled: 1-line block ×4, first 2 shown]
	v_lshlrev_b32_e32 v25, 4, v0
	v_lshl_add_u32 v26, v1, 7, 0x1000
	v_mov_b32_e32 v7, 0
	v_mov_b32_e32 v9, 0
	v_mov_b32_e32 v13, 0
	v_mov_b32_e32 v15, 0
	v_mov_b32_e32 v19, 0
	v_mov_b32_e32 v17, 0
	v_mov_b32_e32 v23, 0
	v_mov_b32_e32 v21, 0
	s_waitcnt lgkmcnt(0)
	s_add_u32 s1, s4, s22
	s_addc_u32 s4, s5, s23
	v_add_co_u32 v32, s1, s1, v2
	v_cmp_gt_i32_e64 s0, s28, v4
	v_cmp_le_i32_e64 s18, s28, v4
	v_add_nc_u32_e32 v29, 0x1000, v29
	v_add_co_ci_u32_e64 v33, null, s4, v3, s1
	v_mov_b32_e32 v3, 0
	s_mov_b64 s[4:5], 0
	s_xor_b32 s1, vcc_lo, -1
                                        ; implicit-def: $vgpr10_vgpr11
	s_branch .LBB568_7
.LBB568_6:                              ;   in Loop: Header=BB568_7 Depth=1
	s_or_b32 exec_lo, exec_lo, s19
	s_waitcnt lgkmcnt(0)
	s_barrier
	buffer_gl0_inv
	ds_read_b128 v[34:37], v26
	ds_read_b128 v[38:41], v25
	ds_read_b128 v[42:45], v25 offset:256
	ds_read_b128 v[46:49], v26 offset:2048
	;; [unrolled: 1-line block ×16, first 2 shown]
	s_add_u32 s4, s4, 8
	s_addc_u32 s5, s5, 0
	v_cmp_gt_i64_e64 s19, s[12:13], s[4:5]
	s_waitcnt lgkmcnt(16)
	v_mul_f64 v[4:5], v[36:37], v[40:41]
	v_mul_f64 v[106:107], v[34:35], v[40:41]
	s_waitcnt lgkmcnt(15)
	v_mul_f64 v[108:109], v[36:37], v[44:45]
	v_mul_f64 v[110:111], v[34:35], v[44:45]
	;; [unrolled: 3-line block ×3, first 2 shown]
	v_mul_f64 v[114:115], v[48:49], v[44:45]
	v_mul_f64 v[44:45], v[46:47], v[44:45]
	s_waitcnt lgkmcnt(12)
	v_mul_f64 v[116:117], v[52:53], v[56:57]
	v_mul_f64 v[118:119], v[50:51], v[56:57]
	s_waitcnt lgkmcnt(11)
	;; [unrolled: 3-line block ×3, first 2 shown]
	v_mul_f64 v[124:125], v[64:65], v[56:57]
	v_mul_f64 v[56:57], v[62:63], v[56:57]
	;; [unrolled: 1-line block ×4, first 2 shown]
	s_waitcnt lgkmcnt(7)
	v_mul_f64 v[132:133], v[76:77], v[68:69]
	v_mul_f64 v[134:135], v[74:75], v[68:69]
	;; [unrolled: 1-line block ×4, first 2 shown]
	s_and_b32 vcc_lo, exec_lo, s19
	v_fma_f64 v[4:5], v[34:35], v[38:39], -v[4:5]
	v_fma_f64 v[106:107], v[36:37], v[38:39], v[106:107]
	v_fma_f64 v[108:109], v[34:35], v[42:43], -v[108:109]
	v_fma_f64 v[110:111], v[36:37], v[42:43], v[110:111]
	;; [unrolled: 2-line block ×8, first 2 shown]
	s_waitcnt lgkmcnt(5)
	v_mul_f64 v[60:61], v[84:85], v[68:69]
	v_mul_f64 v[64:65], v[84:85], v[72:73]
	s_waitcnt lgkmcnt(3)
	v_mul_f64 v[126:127], v[88:89], v[92:93]
	ds_read_b128 v[34:37], v26 offset:64
	ds_read_b128 v[38:41], v26 offset:80
	;; [unrolled: 1-line block ×6, first 2 shown]
	v_add_f64 v[4:5], v[20:21], v[4:5]
	v_add_f64 v[20:21], v[106:107], v[22:23]
	;; [unrolled: 1-line block ×3, first 2 shown]
	v_mul_f64 v[22:23], v[82:83], v[68:69]
	v_add_f64 v[18:19], v[110:111], v[18:19]
	v_add_f64 v[14:15], v[14:15], v[112:113]
	v_mul_f64 v[68:69], v[82:83], v[72:73]
	v_add_f64 v[12:13], v[128:129], v[12:13]
	v_add_f64 v[8:9], v[8:9], v[114:115]
	;; [unrolled: 1-line block ×3, first 2 shown]
	v_mul_f64 v[72:73], v[80:81], v[92:93]
	v_mul_f64 v[106:107], v[78:79], v[92:93]
	s_waitcnt lgkmcnt(8)
	v_mul_f64 v[108:109], v[80:81], v[96:97]
	v_mul_f64 v[110:111], v[78:79], v[96:97]
	v_fma_f64 v[112:113], v[74:75], v[66:67], -v[132:133]
	v_fma_f64 v[114:115], v[76:77], v[66:67], v[134:135]
	v_fma_f64 v[74:75], v[74:75], v[70:71], -v[136:137]
	v_fma_f64 v[76:77], v[76:77], v[70:71], v[140:141]
	v_mul_f64 v[92:93], v[86:87], v[92:93]
	v_mul_f64 v[128:129], v[88:89], v[96:97]
	v_fma_f64 v[60:61], v[82:83], v[66:67], -v[60:61]
	v_mul_f64 v[96:97], v[86:87], v[96:97]
	v_add_f64 v[4:5], v[4:5], v[116:117]
	v_add_f64 v[20:21], v[118:119], v[20:21]
	;; [unrolled: 1-line block ×3, first 2 shown]
	v_fma_f64 v[22:23], v[84:85], v[66:67], v[22:23]
	v_add_f64 v[18:19], v[122:123], v[18:19]
	v_add_f64 v[14:15], v[14:15], v[124:125]
	v_fma_f64 v[64:65], v[82:83], v[70:71], -v[64:65]
	v_add_f64 v[12:13], v[138:139], v[12:13]
	v_add_f64 v[8:9], v[8:9], v[62:63]
	v_fma_f64 v[66:67], v[84:85], v[70:71], v[68:69]
	v_add_f64 v[6:7], v[58:59], v[6:7]
	s_waitcnt lgkmcnt(5)
	v_mul_f64 v[116:117], v[36:37], v[100:101]
	v_mul_f64 v[118:119], v[34:35], v[100:101]
	;; [unrolled: 1-line block ×4, first 2 shown]
	s_waitcnt lgkmcnt(1)
	v_mul_f64 v[62:63], v[52:53], v[100:101]
	v_fma_f64 v[68:69], v[78:79], v[90:91], -v[72:73]
	v_fma_f64 v[70:71], v[80:81], v[90:91], v[106:107]
	v_fma_f64 v[72:73], v[78:79], v[94:95], -v[108:109]
	v_fma_f64 v[78:79], v[80:81], v[94:95], v[110:111]
	;; [unrolled: 2-line block ×3, first 2 shown]
	v_add_f64 v[4:5], v[4:5], v[112:113]
	v_add_f64 v[20:21], v[114:115], v[20:21]
	;; [unrolled: 1-line block ×3, first 2 shown]
	v_mul_f64 v[74:75], v[52:53], v[104:105]
	v_add_f64 v[18:19], v[76:77], v[18:19]
	v_add_f64 v[14:15], v[14:15], v[60:61]
	v_mul_f64 v[60:61], v[50:51], v[100:101]
	v_mul_f64 v[76:77], v[50:51], v[104:105]
	v_fma_f64 v[86:87], v[86:87], v[94:95], -v[128:129]
	v_add_f64 v[12:13], v[22:23], v[12:13]
	v_add_f64 v[8:9], v[8:9], v[64:65]
	v_fma_f64 v[88:89], v[88:89], v[94:95], v[96:97]
	v_add_f64 v[66:67], v[66:67], v[6:7]
	v_mul_f64 v[80:81], v[40:41], v[44:45]
	v_mul_f64 v[82:83], v[38:39], v[44:45]
	;; [unrolled: 1-line block ×3, first 2 shown]
	v_fma_f64 v[90:91], v[34:35], v[98:99], -v[116:117]
	v_fma_f64 v[92:93], v[36:37], v[98:99], v[118:119]
	v_fma_f64 v[34:35], v[34:35], v[102:103], -v[120:121]
	v_fma_f64 v[36:37], v[36:37], v[102:103], v[122:123]
	v_fma_f64 v[62:63], v[50:51], v[98:99], -v[62:63]
	v_mul_f64 v[94:95], v[38:39], v[48:49]
	v_add_f64 v[68:69], v[4:5], v[68:69]
	v_add_f64 v[70:71], v[70:71], v[20:21]
	;; [unrolled: 1-line block ×3, first 2 shown]
	s_waitcnt lgkmcnt(0)
	v_mul_f64 v[96:97], v[56:57], v[44:45]
	v_add_f64 v[78:79], v[78:79], v[18:19]
	v_add_f64 v[58:59], v[14:15], v[58:59]
	v_mul_f64 v[44:45], v[54:55], v[44:45]
	v_mul_f64 v[100:101], v[56:57], v[48:49]
	;; [unrolled: 1-line block ×3, first 2 shown]
	v_fma_f64 v[60:61], v[52:53], v[98:99], v[60:61]
	v_fma_f64 v[50:51], v[50:51], v[102:103], -v[74:75]
	v_add_f64 v[74:75], v[84:85], v[12:13]
	v_add_f64 v[8:9], v[8:9], v[86:87]
	v_fma_f64 v[52:53], v[52:53], v[102:103], v[76:77]
	v_add_f64 v[66:67], v[88:89], v[66:67]
	ds_read_b128 v[4:7], v26 offset:96
	ds_read_b128 v[12:15], v25 offset:3072
	;; [unrolled: 1-line block ×4, first 2 shown]
	v_fma_f64 v[76:77], v[38:39], v[42:43], -v[80:81]
	v_fma_f64 v[64:65], v[38:39], v[46:47], -v[64:65]
	v_fma_f64 v[80:81], v[40:41], v[46:47], v[94:95]
	v_add_f64 v[68:69], v[68:69], v[90:91]
	v_add_f64 v[70:71], v[92:93], v[70:71]
	;; [unrolled: 1-line block ×5, first 2 shown]
	v_fma_f64 v[62:63], v[40:41], v[42:43], v[82:83]
	v_fma_f64 v[82:83], v[54:55], v[42:43], -v[96:97]
	v_fma_f64 v[84:85], v[56:57], v[42:43], v[44:45]
	v_fma_f64 v[54:55], v[54:55], v[46:47], -v[100:101]
	v_fma_f64 v[56:57], v[56:57], v[46:47], v[48:49]
	v_add_f64 v[60:61], v[60:61], v[74:75]
	v_add_f64 v[8:9], v[8:9], v[50:51]
	s_waitcnt lgkmcnt(2)
	v_mul_f64 v[50:51], v[6:7], v[14:15]
	v_mul_f64 v[74:75], v[4:5], v[14:15]
	s_waitcnt lgkmcnt(1)
	v_mul_f64 v[86:87], v[6:7], v[18:19]
	v_mul_f64 v[88:89], v[4:5], v[18:19]
	;; [unrolled: 3-line block ×3, first 2 shown]
	v_mul_f64 v[92:93], v[22:23], v[18:19]
	v_add_f64 v[52:53], v[52:53], v[66:67]
	v_mul_f64 v[18:19], v[20:21], v[18:19]
	ds_read_b128 v[34:37], v26 offset:112
	ds_read_b128 v[38:41], v26 offset:2160
	;; [unrolled: 1-line block ×4, first 2 shown]
	v_add_f64 v[66:67], v[68:69], v[76:77]
	v_add_f64 v[64:65], v[72:73], v[64:65]
	;; [unrolled: 1-line block ×5, first 2 shown]
	s_waitcnt lgkmcnt(0)
	s_barrier
	buffer_gl0_inv
	v_add_f64 v[60:61], v[84:85], v[60:61]
	v_add_f64 v[8:9], v[8:9], v[54:55]
	v_fma_f64 v[50:51], v[4:5], v[12:13], -v[50:51]
	v_fma_f64 v[54:55], v[6:7], v[12:13], v[74:75]
	v_fma_f64 v[4:5], v[4:5], v[16:17], -v[86:87]
	v_fma_f64 v[6:7], v[6:7], v[16:17], v[88:89]
	;; [unrolled: 2-line block ×3, first 2 shown]
	v_fma_f64 v[14:15], v[20:21], v[16:17], -v[92:93]
	v_add_f64 v[20:21], v[56:57], v[52:53]
	v_fma_f64 v[16:17], v[22:23], v[16:17], v[18:19]
	v_mul_f64 v[18:19], v[36:37], v[44:45]
	v_mul_f64 v[22:23], v[34:35], v[44:45]
	;; [unrolled: 1-line block ×8, first 2 shown]
	v_add_f64 v[50:51], v[66:67], v[50:51]
	v_add_f64 v[54:55], v[54:55], v[62:63]
	v_add_f64 v[4:5], v[64:65], v[4:5]
	v_add_f64 v[6:7], v[6:7], v[68:69]
	v_add_f64 v[58:59], v[58:59], v[70:71]
	v_add_f64 v[12:13], v[12:13], v[60:61]
	v_add_f64 v[8:9], v[8:9], v[14:15]
	v_add_f64 v[60:61], v[16:17], v[20:21]
	v_fma_f64 v[14:15], v[34:35], v[42:43], -v[18:19]
	v_fma_f64 v[16:17], v[36:37], v[42:43], v[22:23]
	v_fma_f64 v[18:19], v[34:35], v[46:47], -v[52:53]
	v_fma_f64 v[34:35], v[36:37], v[46:47], v[56:57]
	;; [unrolled: 2-line block ×4, first 2 shown]
	v_add_f64 v[20:21], v[50:51], v[14:15]
	v_add_f64 v[22:23], v[16:17], v[54:55]
	;; [unrolled: 1-line block ×8, first 2 shown]
	s_cbranch_vccz .LBB568_17
.LBB568_7:                              ; =>This Inner Loop Header: Depth=1
	s_mov_b32 s23, s18
	s_mov_b32 s19, 0
	s_and_saveexec_b32 s22, s0
	s_cbranch_execnz .LBB568_15
; %bb.8:                                ;   in Loop: Header=BB568_7 Depth=1
	s_or_b32 exec_lo, exec_lo, s22
	s_and_saveexec_b32 s22, s23
	s_xor_b32 s22, exec_lo, s22
	s_cbranch_execnz .LBB568_16
.LBB568_9:                              ;   in Loop: Header=BB568_7 Depth=1
	s_or_b32 exec_lo, exec_lo, s22
	s_and_saveexec_b32 s22, s19
	s_cbranch_execz .LBB568_11
.LBB568_10:                             ;   in Loop: Header=BB568_7 Depth=1
	v_mul_lo_u32 v2, s21, v10
	v_mul_lo_u32 v34, s20, v11
	v_mad_u64_u32 v[4:5], null, s20, v10, 0
	v_add3_u32 v5, v5, v34, v2
	v_lshlrev_b64 v[4:5], 4, v[4:5]
	v_add_co_u32 v4, vcc_lo, v32, v4
	v_add_co_ci_u32_e64 v5, null, v33, v5, vcc_lo
	flat_load_dwordx4 v[34:37], v[4:5]
	s_waitcnt vmcnt(0) lgkmcnt(0)
	ds_write2_b64 v28, v[34:35], v[36:37] offset1:1
.LBB568_11:                             ;   in Loop: Header=BB568_7 Depth=1
	s_or_b32 exec_lo, exec_lo, s22
	v_add_nc_u32_e32 v2, s4, v24
	v_cmp_le_u64_e32 vcc_lo, s[12:13], v[2:3]
	s_or_b32 s19, vcc_lo, s1
	s_and_saveexec_b32 s22, s19
	s_xor_b32 s19, exec_lo, s22
	s_cbranch_execz .LBB568_13
; %bb.12:                               ;   in Loop: Header=BB568_7 Depth=1
	v_mov_b32_e32 v2, v3
	v_mov_b32_e32 v4, v3
	v_mov_b32_e32 v5, v3
	ds_write_b128 v29, v[2:5]
.LBB568_13:                             ;   in Loop: Header=BB568_7 Depth=1
	s_andn2_saveexec_b32 s19, s19
	s_cbranch_execz .LBB568_6
; %bb.14:                               ;   in Loop: Header=BB568_7 Depth=1
	v_mad_u64_u32 v[4:5], null, s26, v2, 0
	v_mad_u64_u32 v[34:35], null, s27, v2, v[5:6]
	v_mov_b32_e32 v5, v34
	v_lshlrev_b64 v[4:5], 4, v[4:5]
	v_add_co_u32 v4, vcc_lo, v30, v4
	v_add_co_ci_u32_e64 v5, null, v31, v5, vcc_lo
	flat_load_dwordx4 v[34:37], v[4:5]
	s_waitcnt vmcnt(0) lgkmcnt(0)
	ds_write2_b64 v29, v[34:35], v[36:37] offset1:1
	s_branch .LBB568_6
.LBB568_15:                             ;   in Loop: Header=BB568_7 Depth=1
	v_add_nc_u32_e32 v2, s4, v27
	v_mov_b32_e32 v11, v3
	s_andn2_b32 s23, s18, exec_lo
	s_mov_b32 s19, exec_lo
	v_cmp_le_u64_e32 vcc_lo, s[12:13], v[2:3]
	v_mov_b32_e32 v10, v2
	s_and_b32 s24, vcc_lo, exec_lo
	s_or_b32 s23, s23, s24
	s_or_b32 exec_lo, exec_lo, s22
	s_and_saveexec_b32 s22, s23
	s_xor_b32 s22, exec_lo, s22
	s_cbranch_execz .LBB568_9
.LBB568_16:                             ;   in Loop: Header=BB568_7 Depth=1
	v_mov_b32_e32 v2, v3
	v_mov_b32_e32 v4, v3
	;; [unrolled: 1-line block ×3, first 2 shown]
	s_andn2_b32 s19, s19, exec_lo
	ds_write_b128 v28, v[2:5]
	s_or_b32 exec_lo, exec_lo, s22
	s_and_saveexec_b32 s22, s19
	s_cbranch_execnz .LBB568_10
	s_branch .LBB568_11
.LBB568_17:
	v_add_nc_u32_e32 v25, s7, v1
	v_cmp_neq_f64_e64 s5, s[38:39], 0
	s_waitcnt lgkmcnt(0)
	s_lshl_b64 s[0:1], s[10:11], 4
	s_add_u32 s4, s2, s0
	v_ashrrev_i32_e32 v3, 31, v25
	v_mul_lo_u32 v4, s9, v25
	v_mad_u64_u32 v[1:2], null, s8, v25, 0
	s_addc_u32 s3, s3, s1
	v_mul_lo_u32 v3, s8, v3
	s_xor_b32 s2, s29, -1
	v_add3_u32 v2, v2, v3, v4
	v_add_nc_u32_e32 v4, s6, v0
	s_or_b32 s2, s5, s2
	v_lshlrev_b64 v[0:1], 4, v[1:2]
	v_cmp_le_i32_e32 vcc_lo, v25, v4
	v_cmp_gt_i32_e64 s0, s28, v4
	v_ashrrev_i32_e32 v5, 31, v4
	v_cndmask_b32_e64 v24, 0, 1, s2
	v_add_co_u32 v26, s1, s4, v0
	v_add_co_ci_u32_e64 v27, null, s3, v1, s1
	s_and_b32 s5, vcc_lo, s0
	s_and_saveexec_b32 s1, s5
	s_cbranch_execz .LBB568_21
; %bb.18:
	v_mul_f64 v[0:1], s[16:17], v[22:23]
	v_mul_f64 v[2:3], s[14:15], v[22:23]
	v_lshlrev_b64 v[10:11], 4, v[4:5]
	v_add_co_u32 v10, vcc_lo, v26, v10
	v_add_co_ci_u32_e64 v11, null, v27, v11, vcc_lo
	s_andn2_b32 vcc_lo, exec_lo, s2
	v_fma_f64 v[0:1], s[14:15], v[20:21], -v[0:1]
	v_fma_f64 v[2:3], s[16:17], v[20:21], v[2:3]
	s_cbranch_vccnz .LBB568_20
; %bb.19:
	flat_load_dwordx4 v[20:23], v[10:11]
	s_waitcnt vmcnt(0) lgkmcnt(0)
	v_mul_f64 v[28:29], s[40:41], v[22:23]
	v_mul_f64 v[22:23], s[38:39], v[22:23]
	v_fma_f64 v[28:29], s[38:39], v[20:21], -v[28:29]
	v_fma_f64 v[20:21], s[40:41], v[20:21], v[22:23]
	v_add_f64 v[0:1], v[0:1], v[28:29]
	v_add_f64 v[2:3], v[2:3], v[20:21]
.LBB568_20:
	flat_store_dwordx4 v[10:11], v[0:3]
.LBB568_21:
	s_or_b32 exec_lo, exec_lo, s1
	v_add_nc_u32_e32 v10, 16, v4
	v_cmp_le_i32_e32 vcc_lo, v25, v10
	v_cmp_gt_i32_e64 s1, s28, v10
	v_ashrrev_i32_e32 v11, 31, v10
	s_and_b32 s2, vcc_lo, s1
	s_and_saveexec_b32 s5, s2
	s_cbranch_execz .LBB568_25
; %bb.22:
	v_mul_f64 v[0:1], s[16:17], v[18:19]
	v_mul_f64 v[2:3], s[14:15], v[18:19]
	v_cmp_ne_u32_e32 vcc_lo, 1, v24
	s_and_b32 vcc_lo, exec_lo, vcc_lo
	v_fma_f64 v[0:1], s[14:15], v[16:17], -v[0:1]
	v_fma_f64 v[2:3], s[16:17], v[16:17], v[2:3]
	v_lshlrev_b64 v[16:17], 4, v[10:11]
	v_add_co_u32 v16, s2, v26, v16
	v_add_co_ci_u32_e64 v17, null, v27, v17, s2
	s_cbranch_vccnz .LBB568_24
; %bb.23:
	flat_load_dwordx4 v[18:21], v[16:17]
	s_waitcnt vmcnt(0) lgkmcnt(0)
	v_mul_f64 v[22:23], s[40:41], v[20:21]
	v_mul_f64 v[20:21], s[38:39], v[20:21]
	v_fma_f64 v[22:23], s[38:39], v[18:19], -v[22:23]
	v_fma_f64 v[18:19], s[40:41], v[18:19], v[20:21]
	v_add_f64 v[0:1], v[0:1], v[22:23]
	v_add_f64 v[2:3], v[2:3], v[18:19]
.LBB568_24:
	flat_store_dwordx4 v[16:17], v[0:3]
.LBB568_25:
	s_or_b32 exec_lo, exec_lo, s5
	v_add_nc_u32_e32 v18, 16, v25
	v_ashrrev_i32_e32 v2, 31, v18
	v_mul_lo_u32 v3, s9, v18
	v_mad_u64_u32 v[0:1], null, s8, v18, 0
	v_cmp_le_i32_e32 vcc_lo, v18, v4
	v_mul_lo_u32 v2, s8, v2
	s_and_b32 s0, vcc_lo, s0
	v_add3_u32 v1, v1, v2, v3
	v_lshlrev_b64 v[0:1], 4, v[0:1]
	v_add_co_u32 v16, s2, s4, v0
	v_add_co_ci_u32_e64 v17, null, s3, v1, s2
	s_and_saveexec_b32 s2, s0
	s_cbranch_execz .LBB568_29
; %bb.26:
	v_mul_f64 v[0:1], s[16:17], v[12:13]
	v_mul_f64 v[2:3], s[14:15], v[12:13]
	v_lshlrev_b64 v[4:5], 4, v[4:5]
	v_cmp_ne_u32_e32 vcc_lo, 1, v24
	s_and_b32 vcc_lo, exec_lo, vcc_lo
	v_add_co_u32 v4, s0, v16, v4
	v_add_co_ci_u32_e64 v5, null, v17, v5, s0
	v_fma_f64 v[0:1], s[14:15], v[14:15], -v[0:1]
	v_fma_f64 v[2:3], s[16:17], v[14:15], v[2:3]
	s_cbranch_vccnz .LBB568_28
; %bb.27:
	flat_load_dwordx4 v[12:15], v[4:5]
	s_waitcnt vmcnt(0) lgkmcnt(0)
	v_mul_f64 v[19:20], s[40:41], v[14:15]
	v_mul_f64 v[14:15], s[38:39], v[14:15]
	v_fma_f64 v[19:20], s[38:39], v[12:13], -v[19:20]
	v_fma_f64 v[12:13], s[40:41], v[12:13], v[14:15]
	v_add_f64 v[0:1], v[0:1], v[19:20]
	v_add_f64 v[2:3], v[2:3], v[12:13]
.LBB568_28:
	flat_store_dwordx4 v[4:5], v[0:3]
.LBB568_29:
	s_or_b32 exec_lo, exec_lo, s2
	v_cmp_le_i32_e32 vcc_lo, v18, v10
	s_and_b32 s0, vcc_lo, s1
	s_and_saveexec_b32 s1, s0
	s_cbranch_execz .LBB568_34
; %bb.30:
	v_mul_f64 v[0:1], s[16:17], v[6:7]
	v_mul_f64 v[2:3], s[14:15], v[6:7]
	v_lshlrev_b64 v[4:5], 4, v[10:11]
	v_cmp_ne_u32_e32 vcc_lo, 1, v24
	s_and_b32 vcc_lo, exec_lo, vcc_lo
	v_add_co_u32 v4, s0, v16, v4
	v_add_co_ci_u32_e64 v5, null, v17, v5, s0
	v_fma_f64 v[0:1], s[14:15], v[8:9], -v[0:1]
	v_fma_f64 v[2:3], s[16:17], v[8:9], v[2:3]
	s_cbranch_vccnz .LBB568_32
; %bb.31:
	flat_load_dwordx4 v[6:9], v[4:5]
	s_waitcnt vmcnt(0) lgkmcnt(0)
	v_mul_f64 v[10:11], s[40:41], v[8:9]
	v_mul_f64 v[8:9], s[38:39], v[8:9]
	v_fma_f64 v[10:11], s[38:39], v[6:7], -v[10:11]
	v_fma_f64 v[6:7], s[40:41], v[6:7], v[8:9]
	v_add_f64 v[0:1], v[0:1], v[10:11]
	v_add_f64 v[2:3], v[2:3], v[6:7]
.LBB568_32:
	flat_store_dwordx4 v[4:5], v[0:3]
	s_endpgm
.LBB568_33:
.LBB568_34:
	s_endpgm
	.section	.rodata,"a",@progbits
	.p2align	6, 0x0
	.amdhsa_kernel _ZL29rocblas_internal_gemmt_kernelIlLi16ELi32ELi8ELc78ELc84ELc76ELb0ELb0E19rocblas_complex_numIdES1_PKPKS1_PKPS1_EviT_T9_T10_S9_lSB_S9_lSA_T11_S9_li
		.amdhsa_group_segment_fixed_size 8192
		.amdhsa_private_segment_fixed_size 0
		.amdhsa_kernarg_size 124
		.amdhsa_user_sgpr_count 6
		.amdhsa_user_sgpr_private_segment_buffer 1
		.amdhsa_user_sgpr_dispatch_ptr 0
		.amdhsa_user_sgpr_queue_ptr 0
		.amdhsa_user_sgpr_kernarg_segment_ptr 1
		.amdhsa_user_sgpr_dispatch_id 0
		.amdhsa_user_sgpr_flat_scratch_init 0
		.amdhsa_user_sgpr_private_segment_size 0
		.amdhsa_wavefront_size32 1
		.amdhsa_uses_dynamic_stack 0
		.amdhsa_system_sgpr_private_segment_wavefront_offset 0
		.amdhsa_system_sgpr_workgroup_id_x 1
		.amdhsa_system_sgpr_workgroup_id_y 1
		.amdhsa_system_sgpr_workgroup_id_z 1
		.amdhsa_system_sgpr_workgroup_info 0
		.amdhsa_system_vgpr_workitem_id 1
		.amdhsa_next_free_vgpr 142
		.amdhsa_next_free_sgpr 44
		.amdhsa_reserve_vcc 1
		.amdhsa_reserve_flat_scratch 0
		.amdhsa_float_round_mode_32 0
		.amdhsa_float_round_mode_16_64 0
		.amdhsa_float_denorm_mode_32 3
		.amdhsa_float_denorm_mode_16_64 3
		.amdhsa_dx10_clamp 1
		.amdhsa_ieee_mode 1
		.amdhsa_fp16_overflow 0
		.amdhsa_workgroup_processor_mode 1
		.amdhsa_memory_ordered 1
		.amdhsa_forward_progress 1
		.amdhsa_shared_vgpr_count 0
		.amdhsa_exception_fp_ieee_invalid_op 0
		.amdhsa_exception_fp_denorm_src 0
		.amdhsa_exception_fp_ieee_div_zero 0
		.amdhsa_exception_fp_ieee_overflow 0
		.amdhsa_exception_fp_ieee_underflow 0
		.amdhsa_exception_fp_ieee_inexact 0
		.amdhsa_exception_int_div_zero 0
	.end_amdhsa_kernel
	.section	.text._ZL29rocblas_internal_gemmt_kernelIlLi16ELi32ELi8ELc78ELc84ELc76ELb0ELb0E19rocblas_complex_numIdES1_PKPKS1_PKPS1_EviT_T9_T10_S9_lSB_S9_lSA_T11_S9_li,"axG",@progbits,_ZL29rocblas_internal_gemmt_kernelIlLi16ELi32ELi8ELc78ELc84ELc76ELb0ELb0E19rocblas_complex_numIdES1_PKPKS1_PKPS1_EviT_T9_T10_S9_lSB_S9_lSA_T11_S9_li,comdat
.Lfunc_end568:
	.size	_ZL29rocblas_internal_gemmt_kernelIlLi16ELi32ELi8ELc78ELc84ELc76ELb0ELb0E19rocblas_complex_numIdES1_PKPKS1_PKPS1_EviT_T9_T10_S9_lSB_S9_lSA_T11_S9_li, .Lfunc_end568-_ZL29rocblas_internal_gemmt_kernelIlLi16ELi32ELi8ELc78ELc84ELc76ELb0ELb0E19rocblas_complex_numIdES1_PKPKS1_PKPS1_EviT_T9_T10_S9_lSB_S9_lSA_T11_S9_li
                                        ; -- End function
	.set _ZL29rocblas_internal_gemmt_kernelIlLi16ELi32ELi8ELc78ELc84ELc76ELb0ELb0E19rocblas_complex_numIdES1_PKPKS1_PKPS1_EviT_T9_T10_S9_lSB_S9_lSA_T11_S9_li.num_vgpr, 142
	.set _ZL29rocblas_internal_gemmt_kernelIlLi16ELi32ELi8ELc78ELc84ELc76ELb0ELb0E19rocblas_complex_numIdES1_PKPKS1_PKPS1_EviT_T9_T10_S9_lSB_S9_lSA_T11_S9_li.num_agpr, 0
	.set _ZL29rocblas_internal_gemmt_kernelIlLi16ELi32ELi8ELc78ELc84ELc76ELb0ELb0E19rocblas_complex_numIdES1_PKPKS1_PKPS1_EviT_T9_T10_S9_lSB_S9_lSA_T11_S9_li.numbered_sgpr, 44
	.set _ZL29rocblas_internal_gemmt_kernelIlLi16ELi32ELi8ELc78ELc84ELc76ELb0ELb0E19rocblas_complex_numIdES1_PKPKS1_PKPS1_EviT_T9_T10_S9_lSB_S9_lSA_T11_S9_li.num_named_barrier, 0
	.set _ZL29rocblas_internal_gemmt_kernelIlLi16ELi32ELi8ELc78ELc84ELc76ELb0ELb0E19rocblas_complex_numIdES1_PKPKS1_PKPS1_EviT_T9_T10_S9_lSB_S9_lSA_T11_S9_li.private_seg_size, 0
	.set _ZL29rocblas_internal_gemmt_kernelIlLi16ELi32ELi8ELc78ELc84ELc76ELb0ELb0E19rocblas_complex_numIdES1_PKPKS1_PKPS1_EviT_T9_T10_S9_lSB_S9_lSA_T11_S9_li.uses_vcc, 1
	.set _ZL29rocblas_internal_gemmt_kernelIlLi16ELi32ELi8ELc78ELc84ELc76ELb0ELb0E19rocblas_complex_numIdES1_PKPKS1_PKPS1_EviT_T9_T10_S9_lSB_S9_lSA_T11_S9_li.uses_flat_scratch, 0
	.set _ZL29rocblas_internal_gemmt_kernelIlLi16ELi32ELi8ELc78ELc84ELc76ELb0ELb0E19rocblas_complex_numIdES1_PKPKS1_PKPS1_EviT_T9_T10_S9_lSB_S9_lSA_T11_S9_li.has_dyn_sized_stack, 0
	.set _ZL29rocblas_internal_gemmt_kernelIlLi16ELi32ELi8ELc78ELc84ELc76ELb0ELb0E19rocblas_complex_numIdES1_PKPKS1_PKPS1_EviT_T9_T10_S9_lSB_S9_lSA_T11_S9_li.has_recursion, 0
	.set _ZL29rocblas_internal_gemmt_kernelIlLi16ELi32ELi8ELc78ELc84ELc76ELb0ELb0E19rocblas_complex_numIdES1_PKPKS1_PKPS1_EviT_T9_T10_S9_lSB_S9_lSA_T11_S9_li.has_indirect_call, 0
	.section	.AMDGPU.csdata,"",@progbits
; Kernel info:
; codeLenInByte = 3620
; TotalNumSgprs: 46
; NumVgprs: 142
; ScratchSize: 0
; MemoryBound: 0
; FloatMode: 240
; IeeeMode: 1
; LDSByteSize: 8192 bytes/workgroup (compile time only)
; SGPRBlocks: 0
; VGPRBlocks: 17
; NumSGPRsForWavesPerEU: 46
; NumVGPRsForWavesPerEU: 142
; Occupancy: 7
; WaveLimiterHint : 1
; COMPUTE_PGM_RSRC2:SCRATCH_EN: 0
; COMPUTE_PGM_RSRC2:USER_SGPR: 6
; COMPUTE_PGM_RSRC2:TRAP_HANDLER: 0
; COMPUTE_PGM_RSRC2:TGID_X_EN: 1
; COMPUTE_PGM_RSRC2:TGID_Y_EN: 1
; COMPUTE_PGM_RSRC2:TGID_Z_EN: 1
; COMPUTE_PGM_RSRC2:TIDIG_COMP_CNT: 1
	.section	.text._ZL29rocblas_internal_gemmt_kernelIlLi16ELi32ELi8ELc78ELc67ELc76ELb0ELb1E19rocblas_complex_numIdES1_PKPKS1_PKPS1_EviT_T9_T10_S9_lSB_S9_lSA_T11_S9_li,"axG",@progbits,_ZL29rocblas_internal_gemmt_kernelIlLi16ELi32ELi8ELc78ELc67ELc76ELb0ELb1E19rocblas_complex_numIdES1_PKPKS1_PKPS1_EviT_T9_T10_S9_lSB_S9_lSA_T11_S9_li,comdat
	.globl	_ZL29rocblas_internal_gemmt_kernelIlLi16ELi32ELi8ELc78ELc67ELc76ELb0ELb1E19rocblas_complex_numIdES1_PKPKS1_PKPS1_EviT_T9_T10_S9_lSB_S9_lSA_T11_S9_li ; -- Begin function _ZL29rocblas_internal_gemmt_kernelIlLi16ELi32ELi8ELc78ELc67ELc76ELb0ELb1E19rocblas_complex_numIdES1_PKPKS1_PKPS1_EviT_T9_T10_S9_lSB_S9_lSA_T11_S9_li
	.p2align	8
	.type	_ZL29rocblas_internal_gemmt_kernelIlLi16ELi32ELi8ELc78ELc67ELc76ELb0ELb1E19rocblas_complex_numIdES1_PKPKS1_PKPS1_EviT_T9_T10_S9_lSB_S9_lSA_T11_S9_li,@function
_ZL29rocblas_internal_gemmt_kernelIlLi16ELi32ELi8ELc78ELc67ELc76ELb0ELb1E19rocblas_complex_numIdES1_PKPKS1_PKPS1_EviT_T9_T10_S9_lSB_S9_lSA_T11_S9_li: ; @_ZL29rocblas_internal_gemmt_kernelIlLi16ELi32ELi8ELc78ELc67ELc76ELb0ELb1E19rocblas_complex_numIdES1_PKPKS1_PKPS1_EviT_T9_T10_S9_lSB_S9_lSA_T11_S9_li
; %bb.0:
	s_clause 0x1
	s_load_dwordx8 s[36:43], s[4:5], 0x48
	s_load_dwordx16 s[12:27], s[4:5], 0x8
	s_waitcnt lgkmcnt(0)
	v_cmp_eq_f64_e64 s0, s[38:39], 1.0
	v_cmp_eq_f64_e64 s29, s[40:41], 0
	s_and_b32 s0, s0, s29
	s_andn2_b32 vcc_lo, exec_lo, s0
	s_mov_b32 s0, -1
	s_cbranch_vccnz .LBB569_3
; %bb.1:
	s_cmp_lg_u64 s[12:13], 0
	s_cbranch_scc0 .LBB569_31
; %bb.2:
	v_cmp_neq_f64_e64 s0, s[14:15], 0
	v_cmp_neq_f64_e64 s1, s[16:17], 0
	s_or_b32 s0, s0, s1
.LBB569_3:
	s_and_b32 vcc_lo, exec_lo, s0
	s_cbranch_vccz .LBB569_32
; %bb.4:
	v_cmp_eq_f64_e64 s30, s[14:15], 0
	v_cmp_eq_f64_e64 s31, s[16:17], 0
	s_mov_b32 s9, 0
	v_mov_b32_e32 v22, 0
	s_lshl_b64 s[0:1], s[8:9], 3
	v_mov_b32_e32 v24, 0
	s_add_u32 s2, s42, s0
	s_addc_u32 s3, s43, s1
	s_clause 0x1
	s_load_dwordx4 s[8:11], s[4:5], 0x68
	s_load_dword s28, s[4:5], 0x0
	s_load_dwordx2 s[2:3], s[2:3], 0x0
	v_cmp_lt_i64_e64 s4, s[12:13], 1
	v_mov_b32_e32 v18, 0
	v_mov_b32_e32 v20, 0
	;; [unrolled: 1-line block ×13, first 2 shown]
	s_and_b32 s5, s30, s31
	v_mov_b32_e32 v11, 0
	s_or_b32 s4, s5, s4
	s_lshl_b32 s6, s6, 5
	s_and_b32 vcc_lo, exec_lo, s4
	s_lshl_b32 s7, s7, 5
	s_cbranch_vccnz .LBB569_15
; %bb.5:
	s_add_u32 s4, s24, s0
	s_addc_u32 s5, s25, s1
	s_lshl_b64 s[24:25], s[36:37], 4
	s_load_dwordx2 s[4:5], s[4:5], 0x0
	v_lshl_add_u32 v3, v1, 4, v0
	v_and_b32_e32 v26, 7, v0
	v_mov_b32_e32 v10, 0
	v_mov_b32_e32 v12, 0
	;; [unrolled: 1-line block ×3, first 2 shown]
	v_lshrrev_b32_e32 v5, 3, v3
	v_and_b32_e32 v6, 31, v3
	v_lshlrev_b32_e32 v7, 4, v26
	v_lshrrev_b32_e32 v29, 5, v3
	v_mov_b32_e32 v14, 0
	v_add_nc_u32_e32 v2, s7, v5
	v_or_b32_e32 v4, s6, v6
	v_lshlrev_b32_e32 v6, 4, v6
	v_lshl_or_b32 v8, v5, 7, v7
	v_mov_b32_e32 v20, 0
	v_ashrrev_i32_e32 v3, 31, v2
	v_ashrrev_i32_e32 v5, 31, v4
	v_lshl_or_b32 v30, v29, 9, v6
	v_mov_b32_e32 v18, 0
	s_waitcnt lgkmcnt(0)
	s_add_u32 s24, s4, s24
	s_addc_u32 s25, s5, s25
	s_add_u32 s0, s18, s0
	s_addc_u32 s1, s19, s1
	v_lshlrev_b64 v[6:7], 4, v[2:3]
	s_load_dwordx2 s[4:5], s[0:1], 0x0
	v_cmp_gt_i32_e64 s1, s28, v2
	v_lshlrev_b64 v[2:3], 4, v[4:5]
	s_lshl_b64 s[22:23], s[22:23], 4
	v_mov_b32_e32 v24, 0
	v_add_co_u32 v32, vcc_lo, s24, v6
	v_add_co_ci_u32_e64 v33, null, s25, v7, vcc_lo
	v_mov_b32_e32 v22, 0
	v_lshlrev_b32_e32 v27, 4, v0
	v_lshl_add_u32 v28, v1, 7, 0x1000
	v_mov_b32_e32 v11, 0
	v_mov_b32_e32 v13, 0
	;; [unrolled: 1-line block ×8, first 2 shown]
	s_waitcnt lgkmcnt(0)
	s_add_u32 s4, s4, s22
	s_addc_u32 s5, s5, s23
	v_add_co_u32 v34, vcc_lo, s4, v2
	v_cmp_gt_i32_e64 s0, s28, v4
	v_cmp_le_i32_e64 s18, s28, v4
	v_add_nc_u32_e32 v31, 0x1000, v8
	v_add_co_ci_u32_e64 v35, null, s5, v3, vcc_lo
	v_mov_b32_e32 v3, 0
	s_mov_b64 s[4:5], 0
                                        ; implicit-def: $vgpr8_vgpr9
	s_branch .LBB569_7
.LBB569_6:                              ;   in Loop: Header=BB569_7 Depth=1
	s_or_b32 exec_lo, exec_lo, s19
	ds_write_b128 v31, v[4:7]
	s_waitcnt lgkmcnt(0)
	s_barrier
	buffer_gl0_inv
	ds_read_b128 v[4:7], v28
	ds_read_b128 v[36:39], v27
	ds_read_b128 v[40:43], v27 offset:256
	ds_read_b128 v[44:47], v28 offset:2048
	;; [unrolled: 1-line block ×11, first 2 shown]
	s_add_u32 s4, s4, 8
	s_addc_u32 s5, s5, 0
	v_cmp_gt_i64_e64 s19, s[12:13], s[4:5]
	s_waitcnt lgkmcnt(11)
	v_mul_f64 v[84:85], v[6:7], v[38:39]
	v_mul_f64 v[86:87], v[4:5], v[38:39]
	s_waitcnt lgkmcnt(10)
	v_mul_f64 v[88:89], v[6:7], v[42:43]
	v_mul_f64 v[90:91], v[4:5], v[42:43]
	;; [unrolled: 3-line block ×3, first 2 shown]
	v_mul_f64 v[94:95], v[46:47], v[42:43]
	v_mul_f64 v[42:43], v[44:45], v[42:43]
	s_waitcnt lgkmcnt(7)
	v_mul_f64 v[96:97], v[50:51], v[54:55]
	v_mul_f64 v[98:99], v[48:49], v[54:55]
	s_waitcnt lgkmcnt(6)
	v_mul_f64 v[100:101], v[50:51], v[58:59]
	s_waitcnt lgkmcnt(5)
	v_mul_f64 v[104:105], v[62:63], v[54:55]
	v_mul_f64 v[54:55], v[60:61], v[54:55]
	;; [unrolled: 1-line block ×5, first 2 shown]
	s_waitcnt lgkmcnt(3)
	v_mul_f64 v[108:109], v[70:71], v[66:67]
	v_mul_f64 v[110:111], v[68:69], v[66:67]
	s_and_b32 vcc_lo, exec_lo, s19
	v_fma_f64 v[84:85], v[4:5], v[36:37], -v[84:85]
	v_fma_f64 v[86:87], v[6:7], v[36:37], v[86:87]
	v_fma_f64 v[88:89], v[4:5], v[40:41], -v[88:89]
	v_fma_f64 v[90:91], v[6:7], v[40:41], v[90:91]
	;; [unrolled: 2-line block ×3, first 2 shown]
	v_fma_f64 v[94:95], v[44:45], v[40:41], -v[94:95]
	ds_read_b128 v[4:7], v27 offset:1536
	s_waitcnt lgkmcnt(3)
	v_mul_f64 v[112:113], v[70:71], v[74:75]
	v_mul_f64 v[114:115], v[68:69], v[74:75]
	v_fma_f64 v[118:119], v[46:47], v[40:41], v[42:43]
	v_fma_f64 v[96:97], v[48:49], v[52:53], -v[96:97]
	v_fma_f64 v[98:99], v[50:51], v[52:53], v[98:99]
	v_fma_f64 v[48:49], v[48:49], v[56:57], -v[100:101]
	s_waitcnt lgkmcnt(2)
	v_mul_f64 v[44:45], v[78:79], v[66:67]
	v_fma_f64 v[100:101], v[60:61], v[52:53], -v[104:105]
	v_fma_f64 v[52:53], v[62:63], v[52:53], v[54:55]
	v_mul_f64 v[46:47], v[76:77], v[66:67]
	v_mul_f64 v[54:55], v[78:79], v[74:75]
	;; [unrolled: 1-line block ×3, first 2 shown]
	v_fma_f64 v[50:51], v[50:51], v[56:57], v[102:103]
	v_fma_f64 v[60:61], v[60:61], v[56:57], -v[106:107]
	v_fma_f64 v[56:57], v[62:63], v[56:57], v[58:59]
	v_fma_f64 v[58:59], v[68:69], v[64:65], -v[108:109]
	v_fma_f64 v[62:63], v[70:71], v[64:65], v[110:111]
	v_add_f64 v[84:85], v[22:23], v[84:85]
	v_add_f64 v[86:87], v[86:87], v[24:25]
	;; [unrolled: 1-line block ×5, first 2 shown]
	v_fma_f64 v[68:69], v[68:69], v[72:73], -v[112:113]
	v_fma_f64 v[70:71], v[70:71], v[72:73], v[114:115]
	v_add_f64 v[106:107], v[116:117], v[16:17]
	ds_read_b128 v[36:39], v27 offset:1792
	ds_read_b128 v[40:43], v28 offset:2096
	s_waitcnt lgkmcnt(2)
	v_mul_f64 v[74:75], v[82:83], v[6:7]
	v_mul_f64 v[102:103], v[80:81], v[6:7]
	v_fma_f64 v[110:111], v[76:77], v[64:65], -v[44:45]
	ds_read_b128 v[14:17], v28 offset:64
	v_fma_f64 v[64:65], v[78:79], v[64:65], v[46:47]
	v_fma_f64 v[76:77], v[76:77], v[72:73], -v[54:55]
	v_fma_f64 v[66:67], v[78:79], v[72:73], v[66:67]
	v_add_f64 v[54:55], v[12:13], v[94:95]
	v_add_f64 v[72:73], v[118:119], v[10:11]
	ds_read_b128 v[18:21], v27 offset:2048
	ds_read_b128 v[22:25], v27 offset:2304
	;; [unrolled: 1-line block ×4, first 2 shown]
	v_add_f64 v[84:85], v[84:85], v[96:97]
	v_add_f64 v[86:87], v[98:99], v[86:87]
	;; [unrolled: 1-line block ×5, first 2 shown]
	s_waitcnt lgkmcnt(6)
	v_mul_f64 v[104:105], v[82:83], v[38:39]
	v_mul_f64 v[108:109], v[80:81], v[38:39]
	s_waitcnt lgkmcnt(5)
	v_mul_f64 v[112:113], v[42:43], v[6:7]
	v_mul_f64 v[6:7], v[40:41], v[6:7]
	v_add_f64 v[52:53], v[52:53], v[106:107]
	v_mul_f64 v[94:95], v[42:43], v[38:39]
	v_mul_f64 v[38:39], v[40:41], v[38:39]
	v_fma_f64 v[74:75], v[80:81], v[4:5], -v[74:75]
	v_fma_f64 v[78:79], v[82:83], v[4:5], v[102:103]
	ds_read_b128 v[48:51], v28 offset:2128
	s_waitcnt lgkmcnt(4)
	v_mul_f64 v[100:101], v[16:17], v[20:21]
	v_mul_f64 v[102:103], v[14:15], v[20:21]
	v_add_f64 v[60:61], v[54:55], v[60:61]
	v_add_f64 v[56:57], v[56:57], v[72:73]
	s_waitcnt lgkmcnt(3)
	v_mul_f64 v[106:107], v[14:15], v[24:25]
	s_waitcnt lgkmcnt(2)
	v_mul_f64 v[72:73], v[46:47], v[20:21]
	v_mul_f64 v[20:21], v[44:45], v[20:21]
	v_add_f64 v[58:59], v[84:85], v[58:59]
	v_add_f64 v[62:63], v[62:63], v[86:87]
	;; [unrolled: 1-line block ×5, first 2 shown]
	v_fma_f64 v[80:81], v[80:81], v[36:37], -v[104:105]
	v_fma_f64 v[82:83], v[82:83], v[36:37], v[108:109]
	v_fma_f64 v[96:97], v[40:41], v[4:5], -v[112:113]
	v_fma_f64 v[98:99], v[42:43], v[4:5], v[6:7]
	v_mul_f64 v[104:105], v[16:17], v[24:25]
	v_add_f64 v[64:65], v[64:65], v[52:53]
	v_mul_f64 v[86:87], v[46:47], v[24:25]
	v_mul_f64 v[24:25], v[44:45], v[24:25]
	v_fma_f64 v[40:41], v[40:41], v[36:37], -v[94:95]
	v_fma_f64 v[42:43], v[42:43], v[36:37], v[38:39]
	ds_read_b128 v[4:7], v28 offset:80
	ds_read_b128 v[52:55], v27 offset:2816
	v_add_f64 v[60:61], v[60:61], v[76:77]
	v_add_f64 v[56:57], v[66:67], v[56:57]
	v_fma_f64 v[90:91], v[14:15], v[18:19], -v[100:101]
	v_fma_f64 v[92:93], v[16:17], v[18:19], v[102:103]
	v_fma_f64 v[100:101], v[16:17], v[22:23], v[106:107]
	v_fma_f64 v[66:67], v[44:45], v[18:19], -v[72:73]
	v_add_f64 v[58:59], v[58:59], v[74:75]
	v_add_f64 v[62:63], v[78:79], v[62:63]
	v_fma_f64 v[72:73], v[46:47], v[18:19], v[20:21]
	v_add_f64 v[68:69], v[68:69], v[80:81]
	v_add_f64 v[70:71], v[82:83], v[70:71]
	;; [unrolled: 1-line block ×3, first 2 shown]
	s_waitcnt lgkmcnt(2)
	v_mul_f64 v[82:83], v[50:51], v[12:13]
	v_fma_f64 v[94:95], v[14:15], v[22:23], -v[104:105]
	v_add_f64 v[64:65], v[98:99], v[64:65]
	v_fma_f64 v[44:45], v[44:45], v[22:23], -v[86:87]
	v_fma_f64 v[46:47], v[46:47], v[22:23], v[24:25]
	s_waitcnt lgkmcnt(1)
	v_mul_f64 v[88:89], v[6:7], v[12:13]
	v_mul_f64 v[76:77], v[4:5], v[12:13]
	s_waitcnt lgkmcnt(0)
	v_mul_f64 v[78:79], v[6:7], v[54:55]
	v_mul_f64 v[80:81], v[4:5], v[54:55]
	;; [unrolled: 1-line block ×5, first 2 shown]
	v_add_f64 v[40:41], v[60:61], v[40:41]
	v_add_f64 v[42:43], v[42:43], v[56:57]
	ds_read_b128 v[14:17], v28 offset:96
	ds_read_b128 v[18:21], v27 offset:3072
	;; [unrolled: 1-line block ×4, first 2 shown]
	v_add_f64 v[56:57], v[58:59], v[90:91]
	v_add_f64 v[58:59], v[92:93], v[62:63]
	;; [unrolled: 1-line block ×3, first 2 shown]
	v_fma_f64 v[82:83], v[48:49], v[10:11], -v[82:83]
	v_add_f64 v[62:63], v[68:69], v[94:95]
	v_add_f64 v[68:69], v[100:101], v[70:71]
	;; [unrolled: 1-line block ×3, first 2 shown]
	v_fma_f64 v[60:61], v[4:5], v[10:11], -v[88:89]
	v_fma_f64 v[70:71], v[6:7], v[10:11], v[76:77]
	v_fma_f64 v[72:73], v[4:5], v[52:53], -v[78:79]
	v_fma_f64 v[74:75], v[6:7], v[52:53], v[80:81]
	ds_read_b128 v[4:7], v28 offset:112
	v_fma_f64 v[88:89], v[50:51], v[10:11], v[12:13]
	s_waitcnt lgkmcnt(3)
	v_mul_f64 v[76:77], v[16:17], v[20:21]
	v_mul_f64 v[78:79], v[14:15], v[20:21]
	s_waitcnt lgkmcnt(2)
	v_mul_f64 v[80:81], v[16:17], v[38:39]
	v_mul_f64 v[86:87], v[14:15], v[38:39]
	v_fma_f64 v[48:49], v[48:49], v[52:53], -v[84:85]
	v_fma_f64 v[50:51], v[50:51], v[52:53], v[54:55]
	v_add_f64 v[52:53], v[40:41], v[44:45]
	v_add_f64 v[46:47], v[46:47], v[42:43]
	s_waitcnt lgkmcnt(1)
	v_mul_f64 v[54:55], v[24:25], v[20:21]
	v_mul_f64 v[20:21], v[22:23], v[20:21]
	v_mul_f64 v[84:85], v[24:25], v[38:39]
	v_mul_f64 v[90:91], v[22:23], v[38:39]
	ds_read_b128 v[10:13], v28 offset:2160
	ds_read_b128 v[38:41], v27 offset:3584
	ds_read_b128 v[42:45], v27 offset:3840
	v_add_f64 v[66:67], v[66:67], v[82:83]
	s_waitcnt lgkmcnt(0)
	v_add_f64 v[56:57], v[56:57], v[60:61]
	v_add_f64 v[58:59], v[70:71], v[58:59]
	;; [unrolled: 1-line block ×4, first 2 shown]
	s_barrier
	v_add_f64 v[64:65], v[88:89], v[64:65]
	v_fma_f64 v[60:61], v[14:15], v[18:19], -v[76:77]
	v_fma_f64 v[70:71], v[16:17], v[18:19], v[78:79]
	v_fma_f64 v[14:15], v[14:15], v[36:37], -v[80:81]
	v_fma_f64 v[16:17], v[16:17], v[36:37], v[86:87]
	buffer_gl0_inv
	v_add_f64 v[48:49], v[52:53], v[48:49]
	v_add_f64 v[46:47], v[50:51], v[46:47]
	v_fma_f64 v[50:51], v[22:23], v[18:19], -v[54:55]
	v_fma_f64 v[18:19], v[24:25], v[18:19], v[20:21]
	v_fma_f64 v[20:21], v[22:23], v[36:37], -v[84:85]
	v_fma_f64 v[22:23], v[24:25], v[36:37], v[90:91]
	v_mul_f64 v[24:25], v[6:7], v[40:41]
	v_mul_f64 v[36:37], v[4:5], v[40:41]
	;; [unrolled: 1-line block ×8, first 2 shown]
	v_add_f64 v[56:57], v[56:57], v[60:61]
	v_add_f64 v[58:59], v[70:71], v[58:59]
	;; [unrolled: 1-line block ×8, first 2 shown]
	v_fma_f64 v[18:19], v[4:5], v[38:39], -v[24:25]
	v_fma_f64 v[20:21], v[6:7], v[38:39], v[36:37]
	v_fma_f64 v[4:5], v[4:5], v[42:43], -v[52:53]
	v_fma_f64 v[6:7], v[6:7], v[42:43], v[54:55]
	;; [unrolled: 2-line block ×4, first 2 shown]
	v_add_f64 v[22:23], v[56:57], v[18:19]
	v_add_f64 v[24:25], v[20:21], v[58:59]
	;; [unrolled: 1-line block ×8, first 2 shown]
	s_cbranch_vccz .LBB569_15
.LBB569_7:                              ; =>This Inner Loop Header: Depth=1
	s_mov_b32 s23, s18
	s_mov_b32 s19, 0
	s_and_saveexec_b32 s22, s0
	s_cbranch_execnz .LBB569_13
; %bb.8:                                ;   in Loop: Header=BB569_7 Depth=1
	s_or_b32 exec_lo, exec_lo, s22
	s_and_saveexec_b32 s22, s23
	s_xor_b32 s22, exec_lo, s22
	s_cbranch_execnz .LBB569_14
.LBB569_9:                              ;   in Loop: Header=BB569_7 Depth=1
	s_or_b32 exec_lo, exec_lo, s22
	s_and_saveexec_b32 s22, s19
	s_cbranch_execz .LBB569_11
.LBB569_10:                             ;   in Loop: Header=BB569_7 Depth=1
	v_mul_lo_u32 v2, s21, v8
	v_mul_lo_u32 v6, s20, v9
	v_mad_u64_u32 v[4:5], null, s20, v8, 0
	v_add3_u32 v5, v5, v6, v2
	v_lshlrev_b64 v[4:5], 4, v[4:5]
	v_add_co_u32 v4, vcc_lo, v34, v4
	v_add_co_ci_u32_e64 v5, null, v35, v5, vcc_lo
	flat_load_dwordx4 v[4:7], v[4:5]
	s_waitcnt vmcnt(0) lgkmcnt(0)
	ds_write2_b64 v30, v[4:5], v[6:7] offset1:1
.LBB569_11:                             ;   in Loop: Header=BB569_7 Depth=1
	s_or_b32 exec_lo, exec_lo, s22
	v_add_nc_u32_e32 v2, s4, v26
	v_mov_b32_e32 v4, 0
	v_mov_b32_e32 v6, 0
	;; [unrolled: 1-line block ×4, first 2 shown]
	v_cmp_gt_u64_e32 vcc_lo, s[12:13], v[2:3]
	s_and_b32 s22, vcc_lo, s1
	s_and_saveexec_b32 s19, s22
	s_cbranch_execz .LBB569_6
; %bb.12:                               ;   in Loop: Header=BB569_7 Depth=1
	v_mad_u64_u32 v[4:5], null, s26, v2, 0
	v_mad_u64_u32 v[5:6], null, s27, v2, v[5:6]
	v_lshlrev_b64 v[4:5], 4, v[4:5]
	v_add_co_u32 v4, vcc_lo, v32, v4
	v_add_co_ci_u32_e64 v5, null, v33, v5, vcc_lo
	flat_load_dwordx4 v[4:7], v[4:5]
	s_waitcnt vmcnt(0) lgkmcnt(0)
	v_xor_b32_e32 v7, 0x80000000, v7
	s_branch .LBB569_6
.LBB569_13:                             ;   in Loop: Header=BB569_7 Depth=1
	v_add_nc_u32_e32 v2, s4, v29
	v_mov_b32_e32 v9, v3
	s_andn2_b32 s23, s18, exec_lo
	s_mov_b32 s19, exec_lo
	v_cmp_le_u64_e32 vcc_lo, s[12:13], v[2:3]
	v_mov_b32_e32 v8, v2
	s_and_b32 s24, vcc_lo, exec_lo
	s_or_b32 s23, s23, s24
	s_or_b32 exec_lo, exec_lo, s22
	s_and_saveexec_b32 s22, s23
	s_xor_b32 s22, exec_lo, s22
	s_cbranch_execz .LBB569_9
.LBB569_14:                             ;   in Loop: Header=BB569_7 Depth=1
	v_mov_b32_e32 v2, v3
	v_mov_b32_e32 v4, v3
	;; [unrolled: 1-line block ×3, first 2 shown]
	s_andn2_b32 s19, s19, exec_lo
	ds_write_b128 v30, v[2:5]
	s_or_b32 exec_lo, exec_lo, s22
	s_and_saveexec_b32 s22, s19
	s_cbranch_execnz .LBB569_10
	s_branch .LBB569_11
.LBB569_15:
	v_add_nc_u32_e32 v27, s7, v1
	v_cmp_neq_f64_e64 s5, s[38:39], 0
	s_waitcnt lgkmcnt(0)
	s_lshl_b64 s[0:1], s[10:11], 4
	s_add_u32 s4, s2, s0
	v_ashrrev_i32_e32 v3, 31, v27
	v_mul_lo_u32 v4, s9, v27
	v_mad_u64_u32 v[1:2], null, s8, v27, 0
	s_addc_u32 s3, s3, s1
	v_mul_lo_u32 v3, s8, v3
	s_xor_b32 s2, s29, -1
	v_add3_u32 v2, v2, v3, v4
	v_add_nc_u32_e32 v4, s6, v0
	s_or_b32 s2, s5, s2
	v_lshlrev_b64 v[0:1], 4, v[1:2]
	v_cmp_le_i32_e32 vcc_lo, v27, v4
	v_cmp_gt_i32_e64 s0, s28, v4
	v_ashrrev_i32_e32 v5, 31, v4
	v_cndmask_b32_e64 v26, 0, 1, s2
	v_add_co_u32 v8, s1, s4, v0
	v_add_co_ci_u32_e64 v9, null, s3, v1, s1
	s_and_b32 s5, vcc_lo, s0
	s_and_saveexec_b32 s1, s5
	s_cbranch_execz .LBB569_19
; %bb.16:
	v_mul_f64 v[0:1], s[16:17], v[24:25]
	v_mul_f64 v[2:3], s[14:15], v[24:25]
	v_lshlrev_b64 v[6:7], 4, v[4:5]
	v_add_co_u32 v6, vcc_lo, v8, v6
	v_add_co_ci_u32_e64 v7, null, v9, v7, vcc_lo
	s_andn2_b32 vcc_lo, exec_lo, s2
	v_fma_f64 v[0:1], s[14:15], v[22:23], -v[0:1]
	v_fma_f64 v[2:3], s[16:17], v[22:23], v[2:3]
	s_cbranch_vccnz .LBB569_18
; %bb.17:
	flat_load_dwordx4 v[22:25], v[6:7]
	s_waitcnt vmcnt(0) lgkmcnt(0)
	v_mul_f64 v[28:29], s[40:41], v[24:25]
	v_mul_f64 v[24:25], s[38:39], v[24:25]
	v_fma_f64 v[28:29], s[38:39], v[22:23], -v[28:29]
	v_fma_f64 v[22:23], s[40:41], v[22:23], v[24:25]
	v_add_f64 v[0:1], v[0:1], v[28:29]
	v_add_f64 v[2:3], v[2:3], v[22:23]
.LBB569_18:
	flat_store_dwordx4 v[6:7], v[0:3]
.LBB569_19:
	s_or_b32 exec_lo, exec_lo, s1
	v_add_nc_u32_e32 v6, 16, v4
	v_cmp_le_i32_e32 vcc_lo, v27, v6
	v_cmp_gt_i32_e64 s1, s28, v6
	v_ashrrev_i32_e32 v7, 31, v6
	s_and_b32 s2, vcc_lo, s1
	s_and_saveexec_b32 s5, s2
	s_cbranch_execz .LBB569_23
; %bb.20:
	v_mul_f64 v[0:1], s[16:17], v[20:21]
	v_mul_f64 v[2:3], s[14:15], v[20:21]
	v_cmp_ne_u32_e32 vcc_lo, 1, v26
	s_and_b32 vcc_lo, exec_lo, vcc_lo
	v_fma_f64 v[0:1], s[14:15], v[18:19], -v[0:1]
	v_fma_f64 v[2:3], s[16:17], v[18:19], v[2:3]
	v_lshlrev_b64 v[18:19], 4, v[6:7]
	v_add_co_u32 v8, s2, v8, v18
	v_add_co_ci_u32_e64 v9, null, v9, v19, s2
	s_cbranch_vccnz .LBB569_22
; %bb.21:
	flat_load_dwordx4 v[18:21], v[8:9]
	s_waitcnt vmcnt(0) lgkmcnt(0)
	v_mul_f64 v[22:23], s[40:41], v[20:21]
	v_mul_f64 v[20:21], s[38:39], v[20:21]
	v_fma_f64 v[22:23], s[38:39], v[18:19], -v[22:23]
	v_fma_f64 v[18:19], s[40:41], v[18:19], v[20:21]
	v_add_f64 v[0:1], v[0:1], v[22:23]
	v_add_f64 v[2:3], v[2:3], v[18:19]
.LBB569_22:
	flat_store_dwordx4 v[8:9], v[0:3]
.LBB569_23:
	s_or_b32 exec_lo, exec_lo, s5
	v_add_nc_u32_e32 v18, 16, v27
	v_ashrrev_i32_e32 v2, 31, v18
	v_mul_lo_u32 v3, s9, v18
	v_mad_u64_u32 v[0:1], null, s8, v18, 0
	v_cmp_le_i32_e32 vcc_lo, v18, v4
	v_mul_lo_u32 v2, s8, v2
	s_and_b32 s0, vcc_lo, s0
	v_add3_u32 v1, v1, v2, v3
	v_lshlrev_b64 v[0:1], 4, v[0:1]
	v_add_co_u32 v8, s2, s4, v0
	v_add_co_ci_u32_e64 v9, null, s3, v1, s2
	s_and_saveexec_b32 s2, s0
	s_cbranch_execz .LBB569_27
; %bb.24:
	v_mul_f64 v[0:1], s[16:17], v[16:17]
	v_mul_f64 v[2:3], s[14:15], v[16:17]
	v_lshlrev_b64 v[4:5], 4, v[4:5]
	v_cmp_ne_u32_e32 vcc_lo, 1, v26
	s_and_b32 vcc_lo, exec_lo, vcc_lo
	v_add_co_u32 v4, s0, v8, v4
	v_add_co_ci_u32_e64 v5, null, v9, v5, s0
	v_fma_f64 v[0:1], s[14:15], v[14:15], -v[0:1]
	v_fma_f64 v[2:3], s[16:17], v[14:15], v[2:3]
	s_cbranch_vccnz .LBB569_26
; %bb.25:
	flat_load_dwordx4 v[14:17], v[4:5]
	s_waitcnt vmcnt(0) lgkmcnt(0)
	v_mul_f64 v[19:20], s[40:41], v[16:17]
	v_mul_f64 v[16:17], s[38:39], v[16:17]
	v_fma_f64 v[19:20], s[38:39], v[14:15], -v[19:20]
	v_fma_f64 v[14:15], s[40:41], v[14:15], v[16:17]
	v_add_f64 v[0:1], v[0:1], v[19:20]
	v_add_f64 v[2:3], v[2:3], v[14:15]
.LBB569_26:
	flat_store_dwordx4 v[4:5], v[0:3]
.LBB569_27:
	s_or_b32 exec_lo, exec_lo, s2
	v_cmp_le_i32_e32 vcc_lo, v18, v6
	s_and_b32 s0, vcc_lo, s1
	s_and_saveexec_b32 s1, s0
	s_cbranch_execz .LBB569_32
; %bb.28:
	v_mul_f64 v[0:1], s[16:17], v[10:11]
	v_mul_f64 v[2:3], s[14:15], v[10:11]
	v_lshlrev_b64 v[4:5], 4, v[6:7]
	v_cmp_ne_u32_e32 vcc_lo, 1, v26
	s_and_b32 vcc_lo, exec_lo, vcc_lo
	v_add_co_u32 v4, s0, v8, v4
	v_add_co_ci_u32_e64 v5, null, v9, v5, s0
	v_fma_f64 v[0:1], s[14:15], v[12:13], -v[0:1]
	v_fma_f64 v[2:3], s[16:17], v[12:13], v[2:3]
	s_cbranch_vccnz .LBB569_30
; %bb.29:
	flat_load_dwordx4 v[6:9], v[4:5]
	s_waitcnt vmcnt(0) lgkmcnt(0)
	v_mul_f64 v[10:11], s[40:41], v[8:9]
	v_mul_f64 v[8:9], s[38:39], v[8:9]
	v_fma_f64 v[10:11], s[38:39], v[6:7], -v[10:11]
	v_fma_f64 v[6:7], s[40:41], v[6:7], v[8:9]
	v_add_f64 v[0:1], v[0:1], v[10:11]
	v_add_f64 v[2:3], v[2:3], v[6:7]
.LBB569_30:
	flat_store_dwordx4 v[4:5], v[0:3]
	s_endpgm
.LBB569_31:
.LBB569_32:
	s_endpgm
	.section	.rodata,"a",@progbits
	.p2align	6, 0x0
	.amdhsa_kernel _ZL29rocblas_internal_gemmt_kernelIlLi16ELi32ELi8ELc78ELc67ELc76ELb0ELb1E19rocblas_complex_numIdES1_PKPKS1_PKPS1_EviT_T9_T10_S9_lSB_S9_lSA_T11_S9_li
		.amdhsa_group_segment_fixed_size 8192
		.amdhsa_private_segment_fixed_size 0
		.amdhsa_kernarg_size 124
		.amdhsa_user_sgpr_count 6
		.amdhsa_user_sgpr_private_segment_buffer 1
		.amdhsa_user_sgpr_dispatch_ptr 0
		.amdhsa_user_sgpr_queue_ptr 0
		.amdhsa_user_sgpr_kernarg_segment_ptr 1
		.amdhsa_user_sgpr_dispatch_id 0
		.amdhsa_user_sgpr_flat_scratch_init 0
		.amdhsa_user_sgpr_private_segment_size 0
		.amdhsa_wavefront_size32 1
		.amdhsa_uses_dynamic_stack 0
		.amdhsa_system_sgpr_private_segment_wavefront_offset 0
		.amdhsa_system_sgpr_workgroup_id_x 1
		.amdhsa_system_sgpr_workgroup_id_y 1
		.amdhsa_system_sgpr_workgroup_id_z 1
		.amdhsa_system_sgpr_workgroup_info 0
		.amdhsa_system_vgpr_workitem_id 1
		.amdhsa_next_free_vgpr 120
		.amdhsa_next_free_sgpr 44
		.amdhsa_reserve_vcc 1
		.amdhsa_reserve_flat_scratch 0
		.amdhsa_float_round_mode_32 0
		.amdhsa_float_round_mode_16_64 0
		.amdhsa_float_denorm_mode_32 3
		.amdhsa_float_denorm_mode_16_64 3
		.amdhsa_dx10_clamp 1
		.amdhsa_ieee_mode 1
		.amdhsa_fp16_overflow 0
		.amdhsa_workgroup_processor_mode 1
		.amdhsa_memory_ordered 1
		.amdhsa_forward_progress 1
		.amdhsa_shared_vgpr_count 0
		.amdhsa_exception_fp_ieee_invalid_op 0
		.amdhsa_exception_fp_denorm_src 0
		.amdhsa_exception_fp_ieee_div_zero 0
		.amdhsa_exception_fp_ieee_overflow 0
		.amdhsa_exception_fp_ieee_underflow 0
		.amdhsa_exception_fp_ieee_inexact 0
		.amdhsa_exception_int_div_zero 0
	.end_amdhsa_kernel
	.section	.text._ZL29rocblas_internal_gemmt_kernelIlLi16ELi32ELi8ELc78ELc67ELc76ELb0ELb1E19rocblas_complex_numIdES1_PKPKS1_PKPS1_EviT_T9_T10_S9_lSB_S9_lSA_T11_S9_li,"axG",@progbits,_ZL29rocblas_internal_gemmt_kernelIlLi16ELi32ELi8ELc78ELc67ELc76ELb0ELb1E19rocblas_complex_numIdES1_PKPKS1_PKPS1_EviT_T9_T10_S9_lSB_S9_lSA_T11_S9_li,comdat
.Lfunc_end569:
	.size	_ZL29rocblas_internal_gemmt_kernelIlLi16ELi32ELi8ELc78ELc67ELc76ELb0ELb1E19rocblas_complex_numIdES1_PKPKS1_PKPS1_EviT_T9_T10_S9_lSB_S9_lSA_T11_S9_li, .Lfunc_end569-_ZL29rocblas_internal_gemmt_kernelIlLi16ELi32ELi8ELc78ELc67ELc76ELb0ELb1E19rocblas_complex_numIdES1_PKPKS1_PKPS1_EviT_T9_T10_S9_lSB_S9_lSA_T11_S9_li
                                        ; -- End function
	.set _ZL29rocblas_internal_gemmt_kernelIlLi16ELi32ELi8ELc78ELc67ELc76ELb0ELb1E19rocblas_complex_numIdES1_PKPKS1_PKPS1_EviT_T9_T10_S9_lSB_S9_lSA_T11_S9_li.num_vgpr, 120
	.set _ZL29rocblas_internal_gemmt_kernelIlLi16ELi32ELi8ELc78ELc67ELc76ELb0ELb1E19rocblas_complex_numIdES1_PKPKS1_PKPS1_EviT_T9_T10_S9_lSB_S9_lSA_T11_S9_li.num_agpr, 0
	.set _ZL29rocblas_internal_gemmt_kernelIlLi16ELi32ELi8ELc78ELc67ELc76ELb0ELb1E19rocblas_complex_numIdES1_PKPKS1_PKPS1_EviT_T9_T10_S9_lSB_S9_lSA_T11_S9_li.numbered_sgpr, 44
	.set _ZL29rocblas_internal_gemmt_kernelIlLi16ELi32ELi8ELc78ELc67ELc76ELb0ELb1E19rocblas_complex_numIdES1_PKPKS1_PKPS1_EviT_T9_T10_S9_lSB_S9_lSA_T11_S9_li.num_named_barrier, 0
	.set _ZL29rocblas_internal_gemmt_kernelIlLi16ELi32ELi8ELc78ELc67ELc76ELb0ELb1E19rocblas_complex_numIdES1_PKPKS1_PKPS1_EviT_T9_T10_S9_lSB_S9_lSA_T11_S9_li.private_seg_size, 0
	.set _ZL29rocblas_internal_gemmt_kernelIlLi16ELi32ELi8ELc78ELc67ELc76ELb0ELb1E19rocblas_complex_numIdES1_PKPKS1_PKPS1_EviT_T9_T10_S9_lSB_S9_lSA_T11_S9_li.uses_vcc, 1
	.set _ZL29rocblas_internal_gemmt_kernelIlLi16ELi32ELi8ELc78ELc67ELc76ELb0ELb1E19rocblas_complex_numIdES1_PKPKS1_PKPS1_EviT_T9_T10_S9_lSB_S9_lSA_T11_S9_li.uses_flat_scratch, 0
	.set _ZL29rocblas_internal_gemmt_kernelIlLi16ELi32ELi8ELc78ELc67ELc76ELb0ELb1E19rocblas_complex_numIdES1_PKPKS1_PKPS1_EviT_T9_T10_S9_lSB_S9_lSA_T11_S9_li.has_dyn_sized_stack, 0
	.set _ZL29rocblas_internal_gemmt_kernelIlLi16ELi32ELi8ELc78ELc67ELc76ELb0ELb1E19rocblas_complex_numIdES1_PKPKS1_PKPS1_EviT_T9_T10_S9_lSB_S9_lSA_T11_S9_li.has_recursion, 0
	.set _ZL29rocblas_internal_gemmt_kernelIlLi16ELi32ELi8ELc78ELc67ELc76ELb0ELb1E19rocblas_complex_numIdES1_PKPKS1_PKPS1_EviT_T9_T10_S9_lSB_S9_lSA_T11_S9_li.has_indirect_call, 0
	.section	.AMDGPU.csdata,"",@progbits
; Kernel info:
; codeLenInByte = 3628
; TotalNumSgprs: 46
; NumVgprs: 120
; ScratchSize: 0
; MemoryBound: 1
; FloatMode: 240
; IeeeMode: 1
; LDSByteSize: 8192 bytes/workgroup (compile time only)
; SGPRBlocks: 0
; VGPRBlocks: 14
; NumSGPRsForWavesPerEU: 46
; NumVGPRsForWavesPerEU: 120
; Occupancy: 8
; WaveLimiterHint : 1
; COMPUTE_PGM_RSRC2:SCRATCH_EN: 0
; COMPUTE_PGM_RSRC2:USER_SGPR: 6
; COMPUTE_PGM_RSRC2:TRAP_HANDLER: 0
; COMPUTE_PGM_RSRC2:TGID_X_EN: 1
; COMPUTE_PGM_RSRC2:TGID_Y_EN: 1
; COMPUTE_PGM_RSRC2:TGID_Z_EN: 1
; COMPUTE_PGM_RSRC2:TIDIG_COMP_CNT: 1
	.section	.text._ZL29rocblas_internal_gemmt_kernelIlLi16ELi32ELi8ELc84ELc78ELc76ELb0ELb0E19rocblas_complex_numIdES1_PKPKS1_PKPS1_EviT_T9_T10_S9_lSB_S9_lSA_T11_S9_li,"axG",@progbits,_ZL29rocblas_internal_gemmt_kernelIlLi16ELi32ELi8ELc84ELc78ELc76ELb0ELb0E19rocblas_complex_numIdES1_PKPKS1_PKPS1_EviT_T9_T10_S9_lSB_S9_lSA_T11_S9_li,comdat
	.globl	_ZL29rocblas_internal_gemmt_kernelIlLi16ELi32ELi8ELc84ELc78ELc76ELb0ELb0E19rocblas_complex_numIdES1_PKPKS1_PKPS1_EviT_T9_T10_S9_lSB_S9_lSA_T11_S9_li ; -- Begin function _ZL29rocblas_internal_gemmt_kernelIlLi16ELi32ELi8ELc84ELc78ELc76ELb0ELb0E19rocblas_complex_numIdES1_PKPKS1_PKPS1_EviT_T9_T10_S9_lSB_S9_lSA_T11_S9_li
	.p2align	8
	.type	_ZL29rocblas_internal_gemmt_kernelIlLi16ELi32ELi8ELc84ELc78ELc76ELb0ELb0E19rocblas_complex_numIdES1_PKPKS1_PKPS1_EviT_T9_T10_S9_lSB_S9_lSA_T11_S9_li,@function
_ZL29rocblas_internal_gemmt_kernelIlLi16ELi32ELi8ELc84ELc78ELc76ELb0ELb0E19rocblas_complex_numIdES1_PKPKS1_PKPS1_EviT_T9_T10_S9_lSB_S9_lSA_T11_S9_li: ; @_ZL29rocblas_internal_gemmt_kernelIlLi16ELi32ELi8ELc84ELc78ELc76ELb0ELb0E19rocblas_complex_numIdES1_PKPKS1_PKPS1_EviT_T9_T10_S9_lSB_S9_lSA_T11_S9_li
; %bb.0:
	s_clause 0x1
	s_load_dwordx8 s[36:43], s[4:5], 0x48
	s_load_dwordx16 s[12:27], s[4:5], 0x8
	s_waitcnt lgkmcnt(0)
	v_cmp_eq_f64_e64 s0, s[38:39], 1.0
	v_cmp_eq_f64_e64 s29, s[40:41], 0
	s_and_b32 s0, s0, s29
	s_andn2_b32 vcc_lo, exec_lo, s0
	s_mov_b32 s0, -1
	s_cbranch_vccnz .LBB570_3
; %bb.1:
	s_cmp_lg_u64 s[12:13], 0
	s_cbranch_scc0 .LBB570_33
; %bb.2:
	v_cmp_neq_f64_e64 s0, s[14:15], 0
	v_cmp_neq_f64_e64 s1, s[16:17], 0
	s_or_b32 s0, s0, s1
.LBB570_3:
	s_and_b32 vcc_lo, exec_lo, s0
	s_cbranch_vccz .LBB570_34
; %bb.4:
	v_cmp_eq_f64_e64 s30, s[14:15], 0
	v_cmp_eq_f64_e64 s31, s[16:17], 0
	s_mov_b32 s9, 0
	v_mov_b32_e32 v20, 0
	s_lshl_b64 s[0:1], s[8:9], 3
	v_mov_b32_e32 v22, 0
	s_add_u32 s2, s42, s0
	s_addc_u32 s3, s43, s1
	s_clause 0x1
	s_load_dwordx4 s[8:11], s[4:5], 0x68
	s_load_dword s28, s[4:5], 0x0
	s_load_dwordx2 s[2:3], s[2:3], 0x0
	v_cmp_lt_i64_e64 s4, s[12:13], 1
	v_mov_b32_e32 v18, 0
	v_mov_b32_e32 v16, 0
	;; [unrolled: 1-line block ×13, first 2 shown]
	s_and_b32 s5, s30, s31
	v_mov_b32_e32 v7, 0
	s_or_b32 s4, s5, s4
	s_lshl_b32 s6, s6, 5
	s_and_b32 vcc_lo, exec_lo, s4
	s_lshl_b32 s7, s7, 5
	s_cbranch_vccnz .LBB570_17
; %bb.5:
	s_add_u32 s4, s24, s0
	s_addc_u32 s5, s25, s1
	s_lshl_b64 s[24:25], s[36:37], 4
	s_load_dwordx2 s[4:5], s[4:5], 0x0
	v_lshl_add_u32 v4, v1, 4, v0
	v_and_b32_e32 v24, 7, v0
	v_mov_b32_e32 v6, 0
	v_mov_b32_e32 v8, 0
	;; [unrolled: 1-line block ×3, first 2 shown]
	v_lshrrev_b32_e32 v5, 3, v4
	v_and_b32_e32 v11, 31, v4
	v_lshlrev_b32_e32 v28, 4, v24
	v_mov_b32_e32 v14, 0
	v_mov_b32_e32 v16, 0
	v_add_nc_u32_e32 v10, s7, v5
	v_or_b32_e32 v29, s6, v11
	v_lshl_or_b32 v32, v5, 7, v28
	v_lshlrev_b32_e32 v11, 4, v11
	v_mov_b32_e32 v18, 0
	v_ashrrev_i32_e32 v27, 31, v10
	v_mul_lo_u32 v30, s27, v10
	v_mad_u64_u32 v[2:3], null, s26, v10, 0
	s_waitcnt lgkmcnt(0)
	s_add_u32 s24, s4, s24
	s_addc_u32 s25, s5, s25
	s_add_u32 s0, s18, s0
	s_addc_u32 s1, s19, s1
	v_mul_lo_u32 v31, s26, v27
	s_load_dwordx2 s[0:1], s[0:1], 0x0
	v_lshrrev_b32_e32 v27, 5, v4
	v_mul_lo_u32 v28, s21, v29
	v_mad_u64_u32 v[4:5], null, s20, v29, 0
	s_lshl_b64 s[4:5], s[22:23], 4
	v_cmp_le_i32_e64 s18, s28, v29
	v_add3_u32 v3, v3, v31, v30
	v_cmp_gt_i32_e32 vcc_lo, s28, v10
	v_mov_b32_e32 v22, 0
	v_mov_b32_e32 v20, 0
	v_lshlrev_b32_e32 v25, 4, v0
	v_lshlrev_b64 v[2:3], 4, v[2:3]
	v_lshl_add_u32 v26, v1, 7, 0x1000
	v_mov_b32_e32 v7, 0
	v_mov_b32_e32 v9, 0
	;; [unrolled: 1-line block ×6, first 2 shown]
	s_waitcnt lgkmcnt(0)
	s_add_u32 s4, s0, s4
	s_addc_u32 s5, s1, s5
	s_ashr_i32 s1, s6, 31
	v_cmp_gt_i32_e64 s0, s28, v29
	s_mul_i32 s1, s20, s1
	v_add_nc_u32_e32 v29, 0x1000, v32
	v_add3_u32 v5, v5, s1, v28
	v_add_co_u32 v30, s1, s24, v2
	v_add_co_ci_u32_e64 v31, null, s25, v3, s1
	v_lshlrev_b64 v[4:5], 4, v[4:5]
	v_mov_b32_e32 v23, 0
	v_mov_b32_e32 v21, 0
	v_lshl_or_b32 v28, v27, 9, v11
	v_mov_b32_e32 v3, 0
                                        ; implicit-def: $vgpr10_vgpr11
	v_add_co_u32 v32, s1, s4, v4
	v_add_co_ci_u32_e64 v33, null, s5, v5, s1
	s_mov_b64 s[4:5], 0
	s_xor_b32 s1, vcc_lo, -1
	s_branch .LBB570_7
.LBB570_6:                              ;   in Loop: Header=BB570_7 Depth=1
	s_or_b32 exec_lo, exec_lo, s19
	s_waitcnt lgkmcnt(0)
	s_barrier
	buffer_gl0_inv
	ds_read_b128 v[34:37], v26
	ds_read_b128 v[38:41], v25
	ds_read_b128 v[42:45], v25 offset:256
	ds_read_b128 v[46:49], v26 offset:2048
	;; [unrolled: 1-line block ×16, first 2 shown]
	s_add_u32 s4, s4, 8
	s_addc_u32 s5, s5, 0
	v_cmp_gt_i64_e64 s19, s[12:13], s[4:5]
	s_waitcnt lgkmcnt(16)
	v_mul_f64 v[4:5], v[36:37], v[40:41]
	v_mul_f64 v[106:107], v[34:35], v[40:41]
	s_waitcnt lgkmcnt(15)
	v_mul_f64 v[108:109], v[36:37], v[44:45]
	v_mul_f64 v[110:111], v[34:35], v[44:45]
	;; [unrolled: 3-line block ×3, first 2 shown]
	v_mul_f64 v[114:115], v[48:49], v[44:45]
	v_mul_f64 v[44:45], v[46:47], v[44:45]
	s_waitcnt lgkmcnt(12)
	v_mul_f64 v[116:117], v[52:53], v[56:57]
	v_mul_f64 v[118:119], v[50:51], v[56:57]
	s_waitcnt lgkmcnt(11)
	;; [unrolled: 3-line block ×3, first 2 shown]
	v_mul_f64 v[124:125], v[64:65], v[56:57]
	v_mul_f64 v[56:57], v[62:63], v[56:57]
	;; [unrolled: 1-line block ×4, first 2 shown]
	s_waitcnt lgkmcnt(7)
	v_mul_f64 v[132:133], v[76:77], v[68:69]
	v_mul_f64 v[134:135], v[74:75], v[68:69]
	v_mul_f64 v[136:137], v[76:77], v[72:73]
	v_mul_f64 v[140:141], v[74:75], v[72:73]
	s_and_b32 vcc_lo, exec_lo, s19
	v_fma_f64 v[4:5], v[34:35], v[38:39], -v[4:5]
	v_fma_f64 v[106:107], v[36:37], v[38:39], v[106:107]
	v_fma_f64 v[108:109], v[34:35], v[42:43], -v[108:109]
	v_fma_f64 v[110:111], v[36:37], v[42:43], v[110:111]
	v_fma_f64 v[112:113], v[46:47], v[38:39], -v[112:113]
	v_fma_f64 v[128:129], v[48:49], v[38:39], v[40:41]
	v_fma_f64 v[114:115], v[46:47], v[42:43], -v[114:115]
	v_fma_f64 v[130:131], v[48:49], v[42:43], v[44:45]
	v_fma_f64 v[116:117], v[50:51], v[54:55], -v[116:117]
	v_fma_f64 v[118:119], v[52:53], v[54:55], v[118:119]
	v_fma_f64 v[120:121], v[50:51], v[58:59], -v[120:121]
	v_fma_f64 v[122:123], v[52:53], v[58:59], v[122:123]
	v_fma_f64 v[124:125], v[62:63], v[54:55], -v[124:125]
	v_fma_f64 v[138:139], v[64:65], v[54:55], v[56:57]
	v_fma_f64 v[62:63], v[62:63], v[58:59], -v[126:127]
	v_fma_f64 v[58:59], v[64:65], v[58:59], v[60:61]
	s_waitcnt lgkmcnt(5)
	v_mul_f64 v[60:61], v[84:85], v[68:69]
	v_mul_f64 v[64:65], v[84:85], v[72:73]
	s_waitcnt lgkmcnt(3)
	v_mul_f64 v[126:127], v[88:89], v[92:93]
	ds_read_b128 v[34:37], v26 offset:64
	ds_read_b128 v[38:41], v26 offset:80
	;; [unrolled: 1-line block ×6, first 2 shown]
	v_add_f64 v[4:5], v[20:21], v[4:5]
	v_add_f64 v[20:21], v[106:107], v[22:23]
	;; [unrolled: 1-line block ×3, first 2 shown]
	v_mul_f64 v[22:23], v[82:83], v[68:69]
	v_add_f64 v[16:17], v[110:111], v[16:17]
	v_add_f64 v[14:15], v[14:15], v[112:113]
	v_mul_f64 v[68:69], v[82:83], v[72:73]
	v_add_f64 v[12:13], v[128:129], v[12:13]
	v_add_f64 v[8:9], v[8:9], v[114:115]
	;; [unrolled: 1-line block ×3, first 2 shown]
	v_mul_f64 v[72:73], v[80:81], v[92:93]
	v_mul_f64 v[106:107], v[78:79], v[92:93]
	s_waitcnt lgkmcnt(8)
	v_mul_f64 v[108:109], v[80:81], v[96:97]
	v_mul_f64 v[110:111], v[78:79], v[96:97]
	v_fma_f64 v[112:113], v[74:75], v[66:67], -v[132:133]
	v_fma_f64 v[114:115], v[76:77], v[66:67], v[134:135]
	v_fma_f64 v[74:75], v[74:75], v[70:71], -v[136:137]
	v_fma_f64 v[76:77], v[76:77], v[70:71], v[140:141]
	v_mul_f64 v[92:93], v[86:87], v[92:93]
	v_mul_f64 v[128:129], v[88:89], v[96:97]
	v_fma_f64 v[60:61], v[82:83], v[66:67], -v[60:61]
	v_mul_f64 v[96:97], v[86:87], v[96:97]
	v_add_f64 v[4:5], v[4:5], v[116:117]
	v_add_f64 v[20:21], v[118:119], v[20:21]
	;; [unrolled: 1-line block ×3, first 2 shown]
	v_fma_f64 v[22:23], v[84:85], v[66:67], v[22:23]
	v_add_f64 v[16:17], v[122:123], v[16:17]
	v_add_f64 v[14:15], v[14:15], v[124:125]
	v_fma_f64 v[64:65], v[82:83], v[70:71], -v[64:65]
	v_add_f64 v[12:13], v[138:139], v[12:13]
	v_add_f64 v[8:9], v[8:9], v[62:63]
	v_fma_f64 v[66:67], v[84:85], v[70:71], v[68:69]
	v_add_f64 v[6:7], v[58:59], v[6:7]
	s_waitcnt lgkmcnt(5)
	v_mul_f64 v[116:117], v[36:37], v[100:101]
	v_mul_f64 v[118:119], v[34:35], v[100:101]
	;; [unrolled: 1-line block ×4, first 2 shown]
	s_waitcnt lgkmcnt(1)
	v_mul_f64 v[62:63], v[52:53], v[100:101]
	v_fma_f64 v[68:69], v[78:79], v[90:91], -v[72:73]
	v_fma_f64 v[70:71], v[80:81], v[90:91], v[106:107]
	v_fma_f64 v[72:73], v[78:79], v[94:95], -v[108:109]
	v_fma_f64 v[78:79], v[80:81], v[94:95], v[110:111]
	;; [unrolled: 2-line block ×3, first 2 shown]
	v_add_f64 v[4:5], v[4:5], v[112:113]
	v_add_f64 v[20:21], v[114:115], v[20:21]
	;; [unrolled: 1-line block ×3, first 2 shown]
	v_mul_f64 v[74:75], v[52:53], v[104:105]
	v_add_f64 v[16:17], v[76:77], v[16:17]
	v_add_f64 v[14:15], v[14:15], v[60:61]
	v_mul_f64 v[60:61], v[50:51], v[100:101]
	v_mul_f64 v[76:77], v[50:51], v[104:105]
	v_fma_f64 v[86:87], v[86:87], v[94:95], -v[128:129]
	v_add_f64 v[12:13], v[22:23], v[12:13]
	v_add_f64 v[8:9], v[8:9], v[64:65]
	v_fma_f64 v[88:89], v[88:89], v[94:95], v[96:97]
	v_add_f64 v[66:67], v[66:67], v[6:7]
	v_mul_f64 v[80:81], v[40:41], v[44:45]
	v_mul_f64 v[82:83], v[38:39], v[44:45]
	;; [unrolled: 1-line block ×3, first 2 shown]
	v_fma_f64 v[90:91], v[34:35], v[98:99], -v[116:117]
	v_fma_f64 v[92:93], v[36:37], v[98:99], v[118:119]
	v_fma_f64 v[34:35], v[34:35], v[102:103], -v[120:121]
	v_fma_f64 v[36:37], v[36:37], v[102:103], v[122:123]
	v_fma_f64 v[62:63], v[50:51], v[98:99], -v[62:63]
	v_mul_f64 v[94:95], v[38:39], v[48:49]
	v_add_f64 v[68:69], v[4:5], v[68:69]
	v_add_f64 v[70:71], v[70:71], v[20:21]
	;; [unrolled: 1-line block ×3, first 2 shown]
	s_waitcnt lgkmcnt(0)
	v_mul_f64 v[96:97], v[56:57], v[44:45]
	v_add_f64 v[78:79], v[78:79], v[16:17]
	v_add_f64 v[58:59], v[14:15], v[58:59]
	v_mul_f64 v[44:45], v[54:55], v[44:45]
	v_mul_f64 v[100:101], v[56:57], v[48:49]
	;; [unrolled: 1-line block ×3, first 2 shown]
	v_fma_f64 v[60:61], v[52:53], v[98:99], v[60:61]
	v_fma_f64 v[50:51], v[50:51], v[102:103], -v[74:75]
	v_add_f64 v[74:75], v[84:85], v[12:13]
	v_add_f64 v[8:9], v[8:9], v[86:87]
	v_fma_f64 v[52:53], v[52:53], v[102:103], v[76:77]
	v_add_f64 v[66:67], v[88:89], v[66:67]
	ds_read_b128 v[4:7], v26 offset:96
	ds_read_b128 v[12:15], v25 offset:3072
	;; [unrolled: 1-line block ×4, first 2 shown]
	v_fma_f64 v[76:77], v[38:39], v[42:43], -v[80:81]
	v_fma_f64 v[64:65], v[38:39], v[46:47], -v[64:65]
	v_fma_f64 v[80:81], v[40:41], v[46:47], v[94:95]
	v_add_f64 v[68:69], v[68:69], v[90:91]
	v_add_f64 v[70:71], v[92:93], v[70:71]
	;; [unrolled: 1-line block ×5, first 2 shown]
	v_fma_f64 v[62:63], v[40:41], v[42:43], v[82:83]
	v_fma_f64 v[82:83], v[54:55], v[42:43], -v[96:97]
	v_fma_f64 v[84:85], v[56:57], v[42:43], v[44:45]
	v_fma_f64 v[54:55], v[54:55], v[46:47], -v[100:101]
	v_fma_f64 v[56:57], v[56:57], v[46:47], v[48:49]
	v_add_f64 v[60:61], v[60:61], v[74:75]
	v_add_f64 v[8:9], v[8:9], v[50:51]
	s_waitcnt lgkmcnt(2)
	v_mul_f64 v[50:51], v[6:7], v[14:15]
	v_mul_f64 v[74:75], v[4:5], v[14:15]
	s_waitcnt lgkmcnt(1)
	v_mul_f64 v[86:87], v[6:7], v[18:19]
	v_mul_f64 v[88:89], v[4:5], v[18:19]
	;; [unrolled: 3-line block ×3, first 2 shown]
	v_mul_f64 v[92:93], v[22:23], v[18:19]
	v_add_f64 v[52:53], v[52:53], v[66:67]
	v_mul_f64 v[18:19], v[20:21], v[18:19]
	ds_read_b128 v[34:37], v26 offset:112
	ds_read_b128 v[38:41], v26 offset:2160
	;; [unrolled: 1-line block ×4, first 2 shown]
	v_add_f64 v[66:67], v[68:69], v[76:77]
	v_add_f64 v[64:65], v[72:73], v[64:65]
	v_add_f64 v[68:69], v[80:81], v[78:79]
	v_add_f64 v[62:63], v[62:63], v[70:71]
	v_add_f64 v[58:59], v[58:59], v[82:83]
	s_waitcnt lgkmcnt(0)
	s_barrier
	buffer_gl0_inv
	v_add_f64 v[60:61], v[84:85], v[60:61]
	v_add_f64 v[8:9], v[8:9], v[54:55]
	v_fma_f64 v[50:51], v[4:5], v[12:13], -v[50:51]
	v_fma_f64 v[54:55], v[6:7], v[12:13], v[74:75]
	v_fma_f64 v[4:5], v[4:5], v[16:17], -v[86:87]
	v_fma_f64 v[6:7], v[6:7], v[16:17], v[88:89]
	;; [unrolled: 2-line block ×3, first 2 shown]
	v_fma_f64 v[14:15], v[20:21], v[16:17], -v[92:93]
	v_add_f64 v[20:21], v[56:57], v[52:53]
	v_fma_f64 v[16:17], v[22:23], v[16:17], v[18:19]
	v_mul_f64 v[18:19], v[36:37], v[44:45]
	v_mul_f64 v[22:23], v[34:35], v[44:45]
	v_mul_f64 v[52:53], v[36:37], v[48:49]
	v_mul_f64 v[56:57], v[34:35], v[48:49]
	v_mul_f64 v[72:73], v[40:41], v[44:45]
	v_mul_f64 v[44:45], v[38:39], v[44:45]
	v_mul_f64 v[74:75], v[40:41], v[48:49]
	v_mul_f64 v[48:49], v[38:39], v[48:49]
	v_add_f64 v[50:51], v[66:67], v[50:51]
	v_add_f64 v[54:55], v[54:55], v[62:63]
	;; [unrolled: 1-line block ×8, first 2 shown]
	v_fma_f64 v[14:15], v[34:35], v[42:43], -v[18:19]
	v_fma_f64 v[16:17], v[36:37], v[42:43], v[22:23]
	v_fma_f64 v[18:19], v[34:35], v[46:47], -v[52:53]
	v_fma_f64 v[34:35], v[36:37], v[46:47], v[56:57]
	;; [unrolled: 2-line block ×4, first 2 shown]
	v_add_f64 v[20:21], v[50:51], v[14:15]
	v_add_f64 v[22:23], v[16:17], v[54:55]
	;; [unrolled: 1-line block ×8, first 2 shown]
	s_cbranch_vccz .LBB570_17
.LBB570_7:                              ; =>This Inner Loop Header: Depth=1
	s_mov_b32 s21, s18
	s_mov_b32 s19, 0
	s_and_saveexec_b32 s20, s0
	s_cbranch_execnz .LBB570_15
; %bb.8:                                ;   in Loop: Header=BB570_7 Depth=1
	s_or_b32 exec_lo, exec_lo, s20
	s_and_saveexec_b32 s20, s21
	s_xor_b32 s20, exec_lo, s20
	s_cbranch_execnz .LBB570_16
.LBB570_9:                              ;   in Loop: Header=BB570_7 Depth=1
	s_or_b32 exec_lo, exec_lo, s20
	s_and_saveexec_b32 s20, s19
	s_cbranch_execz .LBB570_11
.LBB570_10:                             ;   in Loop: Header=BB570_7 Depth=1
	v_lshlrev_b64 v[4:5], 4, v[10:11]
	v_add_co_u32 v4, vcc_lo, v32, v4
	v_add_co_ci_u32_e64 v5, null, v33, v5, vcc_lo
	flat_load_dwordx4 v[34:37], v[4:5]
	s_waitcnt vmcnt(0) lgkmcnt(0)
	ds_write2_b64 v28, v[34:35], v[36:37] offset1:1
.LBB570_11:                             ;   in Loop: Header=BB570_7 Depth=1
	s_or_b32 exec_lo, exec_lo, s20
	v_add_nc_u32_e32 v2, s4, v24
	v_cmp_le_u64_e32 vcc_lo, s[12:13], v[2:3]
	s_or_b32 s19, vcc_lo, s1
	s_and_saveexec_b32 s20, s19
	s_xor_b32 s19, exec_lo, s20
	s_cbranch_execz .LBB570_13
; %bb.12:                               ;   in Loop: Header=BB570_7 Depth=1
	v_mov_b32_e32 v2, v3
	v_mov_b32_e32 v4, v3
	v_mov_b32_e32 v5, v3
	ds_write_b128 v29, v[2:5]
.LBB570_13:                             ;   in Loop: Header=BB570_7 Depth=1
	s_andn2_saveexec_b32 s19, s19
	s_cbranch_execz .LBB570_6
; %bb.14:                               ;   in Loop: Header=BB570_7 Depth=1
	v_lshlrev_b64 v[4:5], 4, v[2:3]
	v_add_co_u32 v4, vcc_lo, v30, v4
	v_add_co_ci_u32_e64 v5, null, v31, v5, vcc_lo
	flat_load_dwordx4 v[34:37], v[4:5]
	s_waitcnt vmcnt(0) lgkmcnt(0)
	ds_write2_b64 v29, v[34:35], v[36:37] offset1:1
	s_branch .LBB570_6
.LBB570_15:                             ;   in Loop: Header=BB570_7 Depth=1
	v_add_nc_u32_e32 v2, s4, v27
	v_mov_b32_e32 v11, v3
	s_andn2_b32 s21, s18, exec_lo
	s_mov_b32 s19, exec_lo
	v_cmp_le_u64_e32 vcc_lo, s[12:13], v[2:3]
	v_mov_b32_e32 v10, v2
	s_and_b32 s22, vcc_lo, exec_lo
	s_or_b32 s21, s21, s22
	s_or_b32 exec_lo, exec_lo, s20
	s_and_saveexec_b32 s20, s21
	s_xor_b32 s20, exec_lo, s20
	s_cbranch_execz .LBB570_9
.LBB570_16:                             ;   in Loop: Header=BB570_7 Depth=1
	v_mov_b32_e32 v2, v3
	v_mov_b32_e32 v4, v3
	;; [unrolled: 1-line block ×3, first 2 shown]
	s_andn2_b32 s19, s19, exec_lo
	ds_write_b128 v28, v[2:5]
	s_or_b32 exec_lo, exec_lo, s20
	s_and_saveexec_b32 s20, s19
	s_cbranch_execnz .LBB570_10
	s_branch .LBB570_11
.LBB570_17:
	v_add_nc_u32_e32 v25, s7, v1
	v_cmp_neq_f64_e64 s5, s[38:39], 0
	s_waitcnt lgkmcnt(0)
	s_lshl_b64 s[0:1], s[10:11], 4
	s_add_u32 s4, s2, s0
	v_ashrrev_i32_e32 v3, 31, v25
	v_mul_lo_u32 v4, s9, v25
	v_mad_u64_u32 v[1:2], null, s8, v25, 0
	s_addc_u32 s3, s3, s1
	v_mul_lo_u32 v3, s8, v3
	s_xor_b32 s2, s29, -1
	v_add3_u32 v2, v2, v3, v4
	v_add_nc_u32_e32 v4, s6, v0
	s_or_b32 s2, s5, s2
	v_lshlrev_b64 v[0:1], 4, v[1:2]
	v_cmp_le_i32_e32 vcc_lo, v25, v4
	v_cmp_gt_i32_e64 s0, s28, v4
	v_ashrrev_i32_e32 v5, 31, v4
	v_cndmask_b32_e64 v24, 0, 1, s2
	v_add_co_u32 v26, s1, s4, v0
	v_add_co_ci_u32_e64 v27, null, s3, v1, s1
	s_and_b32 s5, vcc_lo, s0
	s_and_saveexec_b32 s1, s5
	s_cbranch_execz .LBB570_21
; %bb.18:
	v_mul_f64 v[0:1], s[16:17], v[22:23]
	v_mul_f64 v[2:3], s[14:15], v[22:23]
	v_lshlrev_b64 v[10:11], 4, v[4:5]
	v_add_co_u32 v10, vcc_lo, v26, v10
	v_add_co_ci_u32_e64 v11, null, v27, v11, vcc_lo
	s_andn2_b32 vcc_lo, exec_lo, s2
	v_fma_f64 v[0:1], s[14:15], v[20:21], -v[0:1]
	v_fma_f64 v[2:3], s[16:17], v[20:21], v[2:3]
	s_cbranch_vccnz .LBB570_20
; %bb.19:
	flat_load_dwordx4 v[20:23], v[10:11]
	s_waitcnt vmcnt(0) lgkmcnt(0)
	v_mul_f64 v[28:29], s[40:41], v[22:23]
	v_mul_f64 v[22:23], s[38:39], v[22:23]
	v_fma_f64 v[28:29], s[38:39], v[20:21], -v[28:29]
	v_fma_f64 v[20:21], s[40:41], v[20:21], v[22:23]
	v_add_f64 v[0:1], v[0:1], v[28:29]
	v_add_f64 v[2:3], v[2:3], v[20:21]
.LBB570_20:
	flat_store_dwordx4 v[10:11], v[0:3]
.LBB570_21:
	s_or_b32 exec_lo, exec_lo, s1
	v_add_nc_u32_e32 v10, 16, v4
	v_cmp_le_i32_e32 vcc_lo, v25, v10
	v_cmp_gt_i32_e64 s1, s28, v10
	v_ashrrev_i32_e32 v11, 31, v10
	s_and_b32 s2, vcc_lo, s1
	s_and_saveexec_b32 s5, s2
	s_cbranch_execz .LBB570_25
; %bb.22:
	v_mul_f64 v[0:1], s[16:17], v[16:17]
	v_mul_f64 v[2:3], s[14:15], v[16:17]
	v_lshlrev_b64 v[16:17], 4, v[10:11]
	v_cmp_ne_u32_e32 vcc_lo, 1, v24
	s_and_b32 vcc_lo, exec_lo, vcc_lo
	v_add_co_u32 v16, s2, v26, v16
	v_add_co_ci_u32_e64 v17, null, v27, v17, s2
	v_fma_f64 v[0:1], s[14:15], v[18:19], -v[0:1]
	v_fma_f64 v[2:3], s[16:17], v[18:19], v[2:3]
	s_cbranch_vccnz .LBB570_24
; %bb.23:
	flat_load_dwordx4 v[18:21], v[16:17]
	s_waitcnt vmcnt(0) lgkmcnt(0)
	v_mul_f64 v[22:23], s[40:41], v[20:21]
	v_mul_f64 v[20:21], s[38:39], v[20:21]
	v_fma_f64 v[22:23], s[38:39], v[18:19], -v[22:23]
	v_fma_f64 v[18:19], s[40:41], v[18:19], v[20:21]
	v_add_f64 v[0:1], v[0:1], v[22:23]
	v_add_f64 v[2:3], v[2:3], v[18:19]
.LBB570_24:
	flat_store_dwordx4 v[16:17], v[0:3]
.LBB570_25:
	s_or_b32 exec_lo, exec_lo, s5
	v_add_nc_u32_e32 v18, 16, v25
	v_ashrrev_i32_e32 v2, 31, v18
	v_mul_lo_u32 v3, s9, v18
	v_mad_u64_u32 v[0:1], null, s8, v18, 0
	v_cmp_le_i32_e32 vcc_lo, v18, v4
	v_mul_lo_u32 v2, s8, v2
	s_and_b32 s0, vcc_lo, s0
	v_add3_u32 v1, v1, v2, v3
	v_lshlrev_b64 v[0:1], 4, v[0:1]
	v_add_co_u32 v16, s2, s4, v0
	v_add_co_ci_u32_e64 v17, null, s3, v1, s2
	s_and_saveexec_b32 s2, s0
	s_cbranch_execz .LBB570_29
; %bb.26:
	v_mul_f64 v[0:1], s[16:17], v[12:13]
	v_mul_f64 v[2:3], s[14:15], v[12:13]
	v_lshlrev_b64 v[4:5], 4, v[4:5]
	v_cmp_ne_u32_e32 vcc_lo, 1, v24
	s_and_b32 vcc_lo, exec_lo, vcc_lo
	v_add_co_u32 v4, s0, v16, v4
	v_add_co_ci_u32_e64 v5, null, v17, v5, s0
	v_fma_f64 v[0:1], s[14:15], v[14:15], -v[0:1]
	v_fma_f64 v[2:3], s[16:17], v[14:15], v[2:3]
	s_cbranch_vccnz .LBB570_28
; %bb.27:
	flat_load_dwordx4 v[12:15], v[4:5]
	s_waitcnt vmcnt(0) lgkmcnt(0)
	v_mul_f64 v[19:20], s[40:41], v[14:15]
	v_mul_f64 v[14:15], s[38:39], v[14:15]
	v_fma_f64 v[19:20], s[38:39], v[12:13], -v[19:20]
	v_fma_f64 v[12:13], s[40:41], v[12:13], v[14:15]
	v_add_f64 v[0:1], v[0:1], v[19:20]
	v_add_f64 v[2:3], v[2:3], v[12:13]
.LBB570_28:
	flat_store_dwordx4 v[4:5], v[0:3]
.LBB570_29:
	s_or_b32 exec_lo, exec_lo, s2
	v_cmp_le_i32_e32 vcc_lo, v18, v10
	s_and_b32 s0, vcc_lo, s1
	s_and_saveexec_b32 s1, s0
	s_cbranch_execz .LBB570_34
; %bb.30:
	v_mul_f64 v[0:1], s[16:17], v[6:7]
	v_mul_f64 v[2:3], s[14:15], v[6:7]
	v_lshlrev_b64 v[4:5], 4, v[10:11]
	v_cmp_ne_u32_e32 vcc_lo, 1, v24
	s_and_b32 vcc_lo, exec_lo, vcc_lo
	v_add_co_u32 v4, s0, v16, v4
	v_add_co_ci_u32_e64 v5, null, v17, v5, s0
	v_fma_f64 v[0:1], s[14:15], v[8:9], -v[0:1]
	v_fma_f64 v[2:3], s[16:17], v[8:9], v[2:3]
	s_cbranch_vccnz .LBB570_32
; %bb.31:
	flat_load_dwordx4 v[6:9], v[4:5]
	s_waitcnt vmcnt(0) lgkmcnt(0)
	v_mul_f64 v[10:11], s[40:41], v[8:9]
	v_mul_f64 v[8:9], s[38:39], v[8:9]
	v_fma_f64 v[10:11], s[38:39], v[6:7], -v[10:11]
	v_fma_f64 v[6:7], s[40:41], v[6:7], v[8:9]
	v_add_f64 v[0:1], v[0:1], v[10:11]
	v_add_f64 v[2:3], v[2:3], v[6:7]
.LBB570_32:
	flat_store_dwordx4 v[4:5], v[0:3]
	s_endpgm
.LBB570_33:
.LBB570_34:
	s_endpgm
	.section	.rodata,"a",@progbits
	.p2align	6, 0x0
	.amdhsa_kernel _ZL29rocblas_internal_gemmt_kernelIlLi16ELi32ELi8ELc84ELc78ELc76ELb0ELb0E19rocblas_complex_numIdES1_PKPKS1_PKPS1_EviT_T9_T10_S9_lSB_S9_lSA_T11_S9_li
		.amdhsa_group_segment_fixed_size 8192
		.amdhsa_private_segment_fixed_size 0
		.amdhsa_kernarg_size 124
		.amdhsa_user_sgpr_count 6
		.amdhsa_user_sgpr_private_segment_buffer 1
		.amdhsa_user_sgpr_dispatch_ptr 0
		.amdhsa_user_sgpr_queue_ptr 0
		.amdhsa_user_sgpr_kernarg_segment_ptr 1
		.amdhsa_user_sgpr_dispatch_id 0
		.amdhsa_user_sgpr_flat_scratch_init 0
		.amdhsa_user_sgpr_private_segment_size 0
		.amdhsa_wavefront_size32 1
		.amdhsa_uses_dynamic_stack 0
		.amdhsa_system_sgpr_private_segment_wavefront_offset 0
		.amdhsa_system_sgpr_workgroup_id_x 1
		.amdhsa_system_sgpr_workgroup_id_y 1
		.amdhsa_system_sgpr_workgroup_id_z 1
		.amdhsa_system_sgpr_workgroup_info 0
		.amdhsa_system_vgpr_workitem_id 1
		.amdhsa_next_free_vgpr 142
		.amdhsa_next_free_sgpr 44
		.amdhsa_reserve_vcc 1
		.amdhsa_reserve_flat_scratch 0
		.amdhsa_float_round_mode_32 0
		.amdhsa_float_round_mode_16_64 0
		.amdhsa_float_denorm_mode_32 3
		.amdhsa_float_denorm_mode_16_64 3
		.amdhsa_dx10_clamp 1
		.amdhsa_ieee_mode 1
		.amdhsa_fp16_overflow 0
		.amdhsa_workgroup_processor_mode 1
		.amdhsa_memory_ordered 1
		.amdhsa_forward_progress 1
		.amdhsa_shared_vgpr_count 0
		.amdhsa_exception_fp_ieee_invalid_op 0
		.amdhsa_exception_fp_denorm_src 0
		.amdhsa_exception_fp_ieee_div_zero 0
		.amdhsa_exception_fp_ieee_overflow 0
		.amdhsa_exception_fp_ieee_underflow 0
		.amdhsa_exception_fp_ieee_inexact 0
		.amdhsa_exception_int_div_zero 0
	.end_amdhsa_kernel
	.section	.text._ZL29rocblas_internal_gemmt_kernelIlLi16ELi32ELi8ELc84ELc78ELc76ELb0ELb0E19rocblas_complex_numIdES1_PKPKS1_PKPS1_EviT_T9_T10_S9_lSB_S9_lSA_T11_S9_li,"axG",@progbits,_ZL29rocblas_internal_gemmt_kernelIlLi16ELi32ELi8ELc84ELc78ELc76ELb0ELb0E19rocblas_complex_numIdES1_PKPKS1_PKPS1_EviT_T9_T10_S9_lSB_S9_lSA_T11_S9_li,comdat
.Lfunc_end570:
	.size	_ZL29rocblas_internal_gemmt_kernelIlLi16ELi32ELi8ELc84ELc78ELc76ELb0ELb0E19rocblas_complex_numIdES1_PKPKS1_PKPS1_EviT_T9_T10_S9_lSB_S9_lSA_T11_S9_li, .Lfunc_end570-_ZL29rocblas_internal_gemmt_kernelIlLi16ELi32ELi8ELc84ELc78ELc76ELb0ELb0E19rocblas_complex_numIdES1_PKPKS1_PKPS1_EviT_T9_T10_S9_lSB_S9_lSA_T11_S9_li
                                        ; -- End function
	.set _ZL29rocblas_internal_gemmt_kernelIlLi16ELi32ELi8ELc84ELc78ELc76ELb0ELb0E19rocblas_complex_numIdES1_PKPKS1_PKPS1_EviT_T9_T10_S9_lSB_S9_lSA_T11_S9_li.num_vgpr, 142
	.set _ZL29rocblas_internal_gemmt_kernelIlLi16ELi32ELi8ELc84ELc78ELc76ELb0ELb0E19rocblas_complex_numIdES1_PKPKS1_PKPS1_EviT_T9_T10_S9_lSB_S9_lSA_T11_S9_li.num_agpr, 0
	.set _ZL29rocblas_internal_gemmt_kernelIlLi16ELi32ELi8ELc84ELc78ELc76ELb0ELb0E19rocblas_complex_numIdES1_PKPKS1_PKPS1_EviT_T9_T10_S9_lSB_S9_lSA_T11_S9_li.numbered_sgpr, 44
	.set _ZL29rocblas_internal_gemmt_kernelIlLi16ELi32ELi8ELc84ELc78ELc76ELb0ELb0E19rocblas_complex_numIdES1_PKPKS1_PKPS1_EviT_T9_T10_S9_lSB_S9_lSA_T11_S9_li.num_named_barrier, 0
	.set _ZL29rocblas_internal_gemmt_kernelIlLi16ELi32ELi8ELc84ELc78ELc76ELb0ELb0E19rocblas_complex_numIdES1_PKPKS1_PKPS1_EviT_T9_T10_S9_lSB_S9_lSA_T11_S9_li.private_seg_size, 0
	.set _ZL29rocblas_internal_gemmt_kernelIlLi16ELi32ELi8ELc84ELc78ELc76ELb0ELb0E19rocblas_complex_numIdES1_PKPKS1_PKPS1_EviT_T9_T10_S9_lSB_S9_lSA_T11_S9_li.uses_vcc, 1
	.set _ZL29rocblas_internal_gemmt_kernelIlLi16ELi32ELi8ELc84ELc78ELc76ELb0ELb0E19rocblas_complex_numIdES1_PKPKS1_PKPS1_EviT_T9_T10_S9_lSB_S9_lSA_T11_S9_li.uses_flat_scratch, 0
	.set _ZL29rocblas_internal_gemmt_kernelIlLi16ELi32ELi8ELc84ELc78ELc76ELb0ELb0E19rocblas_complex_numIdES1_PKPKS1_PKPS1_EviT_T9_T10_S9_lSB_S9_lSA_T11_S9_li.has_dyn_sized_stack, 0
	.set _ZL29rocblas_internal_gemmt_kernelIlLi16ELi32ELi8ELc84ELc78ELc76ELb0ELb0E19rocblas_complex_numIdES1_PKPKS1_PKPS1_EviT_T9_T10_S9_lSB_S9_lSA_T11_S9_li.has_recursion, 0
	.set _ZL29rocblas_internal_gemmt_kernelIlLi16ELi32ELi8ELc84ELc78ELc76ELb0ELb0E19rocblas_complex_numIdES1_PKPKS1_PKPS1_EviT_T9_T10_S9_lSB_S9_lSA_T11_S9_li.has_indirect_call, 0
	.section	.AMDGPU.csdata,"",@progbits
; Kernel info:
; codeLenInByte = 3628
; TotalNumSgprs: 46
; NumVgprs: 142
; ScratchSize: 0
; MemoryBound: 0
; FloatMode: 240
; IeeeMode: 1
; LDSByteSize: 8192 bytes/workgroup (compile time only)
; SGPRBlocks: 0
; VGPRBlocks: 17
; NumSGPRsForWavesPerEU: 46
; NumVGPRsForWavesPerEU: 142
; Occupancy: 7
; WaveLimiterHint : 1
; COMPUTE_PGM_RSRC2:SCRATCH_EN: 0
; COMPUTE_PGM_RSRC2:USER_SGPR: 6
; COMPUTE_PGM_RSRC2:TRAP_HANDLER: 0
; COMPUTE_PGM_RSRC2:TGID_X_EN: 1
; COMPUTE_PGM_RSRC2:TGID_Y_EN: 1
; COMPUTE_PGM_RSRC2:TGID_Z_EN: 1
; COMPUTE_PGM_RSRC2:TIDIG_COMP_CNT: 1
	.section	.text._ZL29rocblas_internal_gemmt_kernelIlLi16ELi32ELi8ELc84ELc84ELc76ELb0ELb0E19rocblas_complex_numIdES1_PKPKS1_PKPS1_EviT_T9_T10_S9_lSB_S9_lSA_T11_S9_li,"axG",@progbits,_ZL29rocblas_internal_gemmt_kernelIlLi16ELi32ELi8ELc84ELc84ELc76ELb0ELb0E19rocblas_complex_numIdES1_PKPKS1_PKPS1_EviT_T9_T10_S9_lSB_S9_lSA_T11_S9_li,comdat
	.globl	_ZL29rocblas_internal_gemmt_kernelIlLi16ELi32ELi8ELc84ELc84ELc76ELb0ELb0E19rocblas_complex_numIdES1_PKPKS1_PKPS1_EviT_T9_T10_S9_lSB_S9_lSA_T11_S9_li ; -- Begin function _ZL29rocblas_internal_gemmt_kernelIlLi16ELi32ELi8ELc84ELc84ELc76ELb0ELb0E19rocblas_complex_numIdES1_PKPKS1_PKPS1_EviT_T9_T10_S9_lSB_S9_lSA_T11_S9_li
	.p2align	8
	.type	_ZL29rocblas_internal_gemmt_kernelIlLi16ELi32ELi8ELc84ELc84ELc76ELb0ELb0E19rocblas_complex_numIdES1_PKPKS1_PKPS1_EviT_T9_T10_S9_lSB_S9_lSA_T11_S9_li,@function
_ZL29rocblas_internal_gemmt_kernelIlLi16ELi32ELi8ELc84ELc84ELc76ELb0ELb0E19rocblas_complex_numIdES1_PKPKS1_PKPS1_EviT_T9_T10_S9_lSB_S9_lSA_T11_S9_li: ; @_ZL29rocblas_internal_gemmt_kernelIlLi16ELi32ELi8ELc84ELc84ELc76ELb0ELb0E19rocblas_complex_numIdES1_PKPKS1_PKPS1_EviT_T9_T10_S9_lSB_S9_lSA_T11_S9_li
; %bb.0:
	s_clause 0x1
	s_load_dwordx8 s[36:43], s[4:5], 0x48
	s_load_dwordx16 s[12:27], s[4:5], 0x8
	s_waitcnt lgkmcnt(0)
	v_cmp_eq_f64_e64 s0, s[38:39], 1.0
	v_cmp_eq_f64_e64 s29, s[40:41], 0
	s_and_b32 s0, s0, s29
	s_andn2_b32 vcc_lo, exec_lo, s0
	s_mov_b32 s0, -1
	s_cbranch_vccnz .LBB571_3
; %bb.1:
	s_cmp_lg_u64 s[12:13], 0
	s_cbranch_scc0 .LBB571_33
; %bb.2:
	v_cmp_neq_f64_e64 s0, s[14:15], 0
	v_cmp_neq_f64_e64 s1, s[16:17], 0
	s_or_b32 s0, s0, s1
.LBB571_3:
	s_and_b32 vcc_lo, exec_lo, s0
	s_cbranch_vccz .LBB571_34
; %bb.4:
	v_cmp_eq_f64_e64 s30, s[14:15], 0
	v_cmp_eq_f64_e64 s31, s[16:17], 0
	s_mov_b32 s9, 0
	v_mov_b32_e32 v20, 0
	s_lshl_b64 s[0:1], s[8:9], 3
	v_mov_b32_e32 v22, 0
	s_add_u32 s2, s42, s0
	s_addc_u32 s3, s43, s1
	s_clause 0x1
	s_load_dwordx4 s[8:11], s[4:5], 0x68
	s_load_dword s28, s[4:5], 0x0
	s_load_dwordx2 s[2:3], s[2:3], 0x0
	v_cmp_lt_i64_e64 s4, s[12:13], 1
	v_mov_b32_e32 v16, 0
	v_mov_b32_e32 v18, 0
	;; [unrolled: 1-line block ×13, first 2 shown]
	s_and_b32 s5, s30, s31
	v_mov_b32_e32 v7, 0
	s_or_b32 s4, s5, s4
	s_lshl_b32 s6, s6, 5
	s_and_b32 vcc_lo, exec_lo, s4
	s_lshl_b32 s7, s7, 5
	s_cbranch_vccnz .LBB571_17
; %bb.5:
	s_add_u32 s4, s24, s0
	s_addc_u32 s5, s25, s1
	s_lshl_b64 s[24:25], s[36:37], 4
	s_load_dwordx2 s[4:5], s[4:5], 0x0
	v_lshl_add_u32 v2, v1, 4, v0
	v_and_b32_e32 v24, 7, v0
	v_mov_b32_e32 v6, 0
	v_mov_b32_e32 v8, 0
	;; [unrolled: 1-line block ×3, first 2 shown]
	v_and_b32_e32 v3, 31, v2
	v_lshrrev_b32_e32 v4, 3, v2
	v_lshlrev_b32_e32 v5, 4, v24
	v_lshrrev_b32_e32 v27, 5, v2
	v_mov_b32_e32 v14, 0
	v_or_b32_e32 v10, s6, v3
	v_add_nc_u32_e32 v2, s7, v4
	v_lshl_or_b32 v29, v4, 7, v5
	v_lshlrev_b32_e32 v28, 4, v3
	v_mov_b32_e32 v18, 0
	v_mul_lo_u32 v11, s21, v10
	v_mad_u64_u32 v[4:5], null, s20, v10, 0
	v_ashrrev_i32_e32 v3, 31, v2
	s_waitcnt lgkmcnt(0)
	s_add_u32 s24, s4, s24
	s_addc_u32 s25, s5, s25
	s_add_u32 s0, s18, s0
	s_addc_u32 s1, s19, s1
	s_lshl_b64 s[4:5], s[22:23], 4
	s_load_dwordx2 s[0:1], s[0:1], 0x0
	v_cmp_le_i32_e64 s18, s28, v10
	v_cmp_gt_i32_e32 vcc_lo, s28, v2
	v_mov_b32_e32 v16, 0
	v_mov_b32_e32 v22, 0
	;; [unrolled: 1-line block ×3, first 2 shown]
	v_lshlrev_b32_e32 v25, 4, v0
	v_lshl_add_u32 v26, v1, 7, 0x1000
	v_mov_b32_e32 v7, 0
	v_mov_b32_e32 v9, 0
	;; [unrolled: 1-line block ×8, first 2 shown]
	v_lshl_or_b32 v28, v27, 9, v28
	v_add_nc_u32_e32 v29, 0x1000, v29
	s_waitcnt lgkmcnt(0)
	s_add_u32 s4, s0, s4
	s_addc_u32 s5, s1, s5
	s_ashr_i32 s1, s6, 31
	v_cmp_gt_i32_e64 s0, s28, v10
	s_mul_i32 s1, s20, s1
	v_add3_u32 v5, v5, s1, v11
	v_lshlrev_b64 v[10:11], 4, v[2:3]
	v_lshlrev_b64 v[2:3], 4, v[4:5]
	v_add_co_u32 v30, s1, s24, v10
	v_add_co_ci_u32_e64 v31, null, s25, v11, s1
	v_add_co_u32 v32, s1, s4, v2
	v_add_co_ci_u32_e64 v33, null, s5, v3, s1
	v_mov_b32_e32 v3, 0
	s_mov_b64 s[4:5], 0
	s_xor_b32 s1, vcc_lo, -1
                                        ; implicit-def: $vgpr10_vgpr11
	s_branch .LBB571_7
.LBB571_6:                              ;   in Loop: Header=BB571_7 Depth=1
	s_or_b32 exec_lo, exec_lo, s19
	s_waitcnt lgkmcnt(0)
	s_barrier
	buffer_gl0_inv
	ds_read_b128 v[34:37], v26
	ds_read_b128 v[38:41], v25
	ds_read_b128 v[42:45], v25 offset:256
	ds_read_b128 v[46:49], v26 offset:2048
	;; [unrolled: 1-line block ×16, first 2 shown]
	s_add_u32 s4, s4, 8
	s_addc_u32 s5, s5, 0
	v_cmp_gt_i64_e64 s19, s[12:13], s[4:5]
	s_waitcnt lgkmcnt(16)
	v_mul_f64 v[4:5], v[36:37], v[40:41]
	v_mul_f64 v[106:107], v[34:35], v[40:41]
	s_waitcnt lgkmcnt(15)
	v_mul_f64 v[108:109], v[36:37], v[44:45]
	v_mul_f64 v[110:111], v[34:35], v[44:45]
	;; [unrolled: 3-line block ×3, first 2 shown]
	v_mul_f64 v[114:115], v[48:49], v[44:45]
	v_mul_f64 v[44:45], v[46:47], v[44:45]
	s_waitcnt lgkmcnt(12)
	v_mul_f64 v[116:117], v[52:53], v[56:57]
	v_mul_f64 v[118:119], v[50:51], v[56:57]
	s_waitcnt lgkmcnt(11)
	v_mul_f64 v[120:121], v[52:53], v[60:61]
	v_mul_f64 v[122:123], v[50:51], v[60:61]
	s_waitcnt lgkmcnt(10)
	v_mul_f64 v[124:125], v[64:65], v[56:57]
	v_mul_f64 v[56:57], v[62:63], v[56:57]
	;; [unrolled: 1-line block ×4, first 2 shown]
	s_waitcnt lgkmcnt(7)
	v_mul_f64 v[132:133], v[76:77], v[68:69]
	v_mul_f64 v[134:135], v[74:75], v[68:69]
	;; [unrolled: 1-line block ×4, first 2 shown]
	s_and_b32 vcc_lo, exec_lo, s19
	v_fma_f64 v[4:5], v[34:35], v[38:39], -v[4:5]
	v_fma_f64 v[106:107], v[36:37], v[38:39], v[106:107]
	v_fma_f64 v[108:109], v[34:35], v[42:43], -v[108:109]
	v_fma_f64 v[110:111], v[36:37], v[42:43], v[110:111]
	;; [unrolled: 2-line block ×8, first 2 shown]
	s_waitcnt lgkmcnt(5)
	v_mul_f64 v[60:61], v[84:85], v[68:69]
	v_mul_f64 v[64:65], v[84:85], v[72:73]
	s_waitcnt lgkmcnt(3)
	v_mul_f64 v[126:127], v[88:89], v[92:93]
	ds_read_b128 v[34:37], v26 offset:64
	ds_read_b128 v[38:41], v26 offset:80
	;; [unrolled: 1-line block ×6, first 2 shown]
	v_add_f64 v[4:5], v[20:21], v[4:5]
	v_add_f64 v[20:21], v[106:107], v[22:23]
	;; [unrolled: 1-line block ×3, first 2 shown]
	v_mul_f64 v[22:23], v[82:83], v[68:69]
	v_add_f64 v[18:19], v[110:111], v[18:19]
	v_add_f64 v[14:15], v[14:15], v[112:113]
	v_mul_f64 v[68:69], v[82:83], v[72:73]
	v_add_f64 v[12:13], v[128:129], v[12:13]
	v_add_f64 v[8:9], v[8:9], v[114:115]
	;; [unrolled: 1-line block ×3, first 2 shown]
	v_mul_f64 v[72:73], v[80:81], v[92:93]
	v_mul_f64 v[106:107], v[78:79], v[92:93]
	s_waitcnt lgkmcnt(8)
	v_mul_f64 v[108:109], v[80:81], v[96:97]
	v_mul_f64 v[110:111], v[78:79], v[96:97]
	v_fma_f64 v[112:113], v[74:75], v[66:67], -v[132:133]
	v_fma_f64 v[114:115], v[76:77], v[66:67], v[134:135]
	v_fma_f64 v[74:75], v[74:75], v[70:71], -v[136:137]
	v_fma_f64 v[76:77], v[76:77], v[70:71], v[140:141]
	v_mul_f64 v[92:93], v[86:87], v[92:93]
	v_mul_f64 v[128:129], v[88:89], v[96:97]
	v_fma_f64 v[60:61], v[82:83], v[66:67], -v[60:61]
	v_mul_f64 v[96:97], v[86:87], v[96:97]
	v_add_f64 v[4:5], v[4:5], v[116:117]
	v_add_f64 v[20:21], v[118:119], v[20:21]
	;; [unrolled: 1-line block ×3, first 2 shown]
	v_fma_f64 v[22:23], v[84:85], v[66:67], v[22:23]
	v_add_f64 v[18:19], v[122:123], v[18:19]
	v_add_f64 v[14:15], v[14:15], v[124:125]
	v_fma_f64 v[64:65], v[82:83], v[70:71], -v[64:65]
	v_add_f64 v[12:13], v[138:139], v[12:13]
	v_add_f64 v[8:9], v[8:9], v[62:63]
	v_fma_f64 v[66:67], v[84:85], v[70:71], v[68:69]
	v_add_f64 v[6:7], v[58:59], v[6:7]
	s_waitcnt lgkmcnt(5)
	v_mul_f64 v[116:117], v[36:37], v[100:101]
	v_mul_f64 v[118:119], v[34:35], v[100:101]
	;; [unrolled: 1-line block ×4, first 2 shown]
	s_waitcnt lgkmcnt(1)
	v_mul_f64 v[62:63], v[52:53], v[100:101]
	v_fma_f64 v[68:69], v[78:79], v[90:91], -v[72:73]
	v_fma_f64 v[70:71], v[80:81], v[90:91], v[106:107]
	v_fma_f64 v[72:73], v[78:79], v[94:95], -v[108:109]
	v_fma_f64 v[78:79], v[80:81], v[94:95], v[110:111]
	;; [unrolled: 2-line block ×3, first 2 shown]
	v_add_f64 v[4:5], v[4:5], v[112:113]
	v_add_f64 v[20:21], v[114:115], v[20:21]
	;; [unrolled: 1-line block ×3, first 2 shown]
	v_mul_f64 v[74:75], v[52:53], v[104:105]
	v_add_f64 v[18:19], v[76:77], v[18:19]
	v_add_f64 v[14:15], v[14:15], v[60:61]
	v_mul_f64 v[60:61], v[50:51], v[100:101]
	v_mul_f64 v[76:77], v[50:51], v[104:105]
	v_fma_f64 v[86:87], v[86:87], v[94:95], -v[128:129]
	v_add_f64 v[12:13], v[22:23], v[12:13]
	v_add_f64 v[8:9], v[8:9], v[64:65]
	v_fma_f64 v[88:89], v[88:89], v[94:95], v[96:97]
	v_add_f64 v[66:67], v[66:67], v[6:7]
	v_mul_f64 v[80:81], v[40:41], v[44:45]
	v_mul_f64 v[82:83], v[38:39], v[44:45]
	;; [unrolled: 1-line block ×3, first 2 shown]
	v_fma_f64 v[90:91], v[34:35], v[98:99], -v[116:117]
	v_fma_f64 v[92:93], v[36:37], v[98:99], v[118:119]
	v_fma_f64 v[34:35], v[34:35], v[102:103], -v[120:121]
	v_fma_f64 v[36:37], v[36:37], v[102:103], v[122:123]
	v_fma_f64 v[62:63], v[50:51], v[98:99], -v[62:63]
	v_mul_f64 v[94:95], v[38:39], v[48:49]
	v_add_f64 v[68:69], v[4:5], v[68:69]
	v_add_f64 v[70:71], v[70:71], v[20:21]
	v_add_f64 v[72:73], v[16:17], v[72:73]
	s_waitcnt lgkmcnt(0)
	v_mul_f64 v[96:97], v[56:57], v[44:45]
	v_add_f64 v[78:79], v[78:79], v[18:19]
	v_add_f64 v[58:59], v[14:15], v[58:59]
	v_mul_f64 v[44:45], v[54:55], v[44:45]
	v_mul_f64 v[100:101], v[56:57], v[48:49]
	;; [unrolled: 1-line block ×3, first 2 shown]
	v_fma_f64 v[60:61], v[52:53], v[98:99], v[60:61]
	v_fma_f64 v[50:51], v[50:51], v[102:103], -v[74:75]
	v_add_f64 v[74:75], v[84:85], v[12:13]
	v_add_f64 v[8:9], v[8:9], v[86:87]
	v_fma_f64 v[52:53], v[52:53], v[102:103], v[76:77]
	v_add_f64 v[66:67], v[88:89], v[66:67]
	ds_read_b128 v[4:7], v26 offset:96
	ds_read_b128 v[12:15], v25 offset:3072
	;; [unrolled: 1-line block ×4, first 2 shown]
	v_fma_f64 v[76:77], v[38:39], v[42:43], -v[80:81]
	v_fma_f64 v[64:65], v[38:39], v[46:47], -v[64:65]
	v_fma_f64 v[80:81], v[40:41], v[46:47], v[94:95]
	v_add_f64 v[68:69], v[68:69], v[90:91]
	v_add_f64 v[70:71], v[92:93], v[70:71]
	;; [unrolled: 1-line block ×5, first 2 shown]
	v_fma_f64 v[62:63], v[40:41], v[42:43], v[82:83]
	v_fma_f64 v[82:83], v[54:55], v[42:43], -v[96:97]
	v_fma_f64 v[84:85], v[56:57], v[42:43], v[44:45]
	v_fma_f64 v[54:55], v[54:55], v[46:47], -v[100:101]
	v_fma_f64 v[56:57], v[56:57], v[46:47], v[48:49]
	v_add_f64 v[60:61], v[60:61], v[74:75]
	v_add_f64 v[8:9], v[8:9], v[50:51]
	s_waitcnt lgkmcnt(2)
	v_mul_f64 v[50:51], v[6:7], v[14:15]
	v_mul_f64 v[74:75], v[4:5], v[14:15]
	s_waitcnt lgkmcnt(1)
	v_mul_f64 v[86:87], v[6:7], v[18:19]
	v_mul_f64 v[88:89], v[4:5], v[18:19]
	;; [unrolled: 3-line block ×3, first 2 shown]
	v_mul_f64 v[92:93], v[22:23], v[18:19]
	v_add_f64 v[52:53], v[52:53], v[66:67]
	v_mul_f64 v[18:19], v[20:21], v[18:19]
	ds_read_b128 v[34:37], v26 offset:112
	ds_read_b128 v[38:41], v26 offset:2160
	;; [unrolled: 1-line block ×4, first 2 shown]
	v_add_f64 v[66:67], v[68:69], v[76:77]
	v_add_f64 v[64:65], v[72:73], v[64:65]
	;; [unrolled: 1-line block ×5, first 2 shown]
	s_waitcnt lgkmcnt(0)
	s_barrier
	buffer_gl0_inv
	v_add_f64 v[60:61], v[84:85], v[60:61]
	v_add_f64 v[8:9], v[8:9], v[54:55]
	v_fma_f64 v[50:51], v[4:5], v[12:13], -v[50:51]
	v_fma_f64 v[54:55], v[6:7], v[12:13], v[74:75]
	v_fma_f64 v[4:5], v[4:5], v[16:17], -v[86:87]
	v_fma_f64 v[6:7], v[6:7], v[16:17], v[88:89]
	;; [unrolled: 2-line block ×3, first 2 shown]
	v_fma_f64 v[14:15], v[20:21], v[16:17], -v[92:93]
	v_add_f64 v[20:21], v[56:57], v[52:53]
	v_fma_f64 v[16:17], v[22:23], v[16:17], v[18:19]
	v_mul_f64 v[18:19], v[36:37], v[44:45]
	v_mul_f64 v[22:23], v[34:35], v[44:45]
	;; [unrolled: 1-line block ×8, first 2 shown]
	v_add_f64 v[50:51], v[66:67], v[50:51]
	v_add_f64 v[54:55], v[54:55], v[62:63]
	;; [unrolled: 1-line block ×8, first 2 shown]
	v_fma_f64 v[14:15], v[34:35], v[42:43], -v[18:19]
	v_fma_f64 v[16:17], v[36:37], v[42:43], v[22:23]
	v_fma_f64 v[18:19], v[34:35], v[46:47], -v[52:53]
	v_fma_f64 v[34:35], v[36:37], v[46:47], v[56:57]
	;; [unrolled: 2-line block ×4, first 2 shown]
	v_add_f64 v[20:21], v[50:51], v[14:15]
	v_add_f64 v[22:23], v[16:17], v[54:55]
	;; [unrolled: 1-line block ×8, first 2 shown]
	s_cbranch_vccz .LBB571_17
.LBB571_7:                              ; =>This Inner Loop Header: Depth=1
	s_mov_b32 s21, s18
	s_mov_b32 s19, 0
	s_and_saveexec_b32 s20, s0
	s_cbranch_execnz .LBB571_15
; %bb.8:                                ;   in Loop: Header=BB571_7 Depth=1
	s_or_b32 exec_lo, exec_lo, s20
	s_and_saveexec_b32 s20, s21
	s_xor_b32 s20, exec_lo, s20
	s_cbranch_execnz .LBB571_16
.LBB571_9:                              ;   in Loop: Header=BB571_7 Depth=1
	s_or_b32 exec_lo, exec_lo, s20
	s_and_saveexec_b32 s20, s19
	s_cbranch_execz .LBB571_11
.LBB571_10:                             ;   in Loop: Header=BB571_7 Depth=1
	v_lshlrev_b64 v[4:5], 4, v[10:11]
	v_add_co_u32 v4, vcc_lo, v32, v4
	v_add_co_ci_u32_e64 v5, null, v33, v5, vcc_lo
	flat_load_dwordx4 v[34:37], v[4:5]
	s_waitcnt vmcnt(0) lgkmcnt(0)
	ds_write2_b64 v28, v[34:35], v[36:37] offset1:1
.LBB571_11:                             ;   in Loop: Header=BB571_7 Depth=1
	s_or_b32 exec_lo, exec_lo, s20
	v_add_nc_u32_e32 v2, s4, v24
	v_cmp_le_u64_e32 vcc_lo, s[12:13], v[2:3]
	s_or_b32 s19, vcc_lo, s1
	s_and_saveexec_b32 s20, s19
	s_xor_b32 s19, exec_lo, s20
	s_cbranch_execz .LBB571_13
; %bb.12:                               ;   in Loop: Header=BB571_7 Depth=1
	v_mov_b32_e32 v2, v3
	v_mov_b32_e32 v4, v3
	;; [unrolled: 1-line block ×3, first 2 shown]
	ds_write_b128 v29, v[2:5]
.LBB571_13:                             ;   in Loop: Header=BB571_7 Depth=1
	s_andn2_saveexec_b32 s19, s19
	s_cbranch_execz .LBB571_6
; %bb.14:                               ;   in Loop: Header=BB571_7 Depth=1
	v_mad_u64_u32 v[4:5], null, s26, v2, 0
	v_mad_u64_u32 v[34:35], null, s27, v2, v[5:6]
	v_mov_b32_e32 v5, v34
	v_lshlrev_b64 v[4:5], 4, v[4:5]
	v_add_co_u32 v4, vcc_lo, v30, v4
	v_add_co_ci_u32_e64 v5, null, v31, v5, vcc_lo
	flat_load_dwordx4 v[34:37], v[4:5]
	s_waitcnt vmcnt(0) lgkmcnt(0)
	ds_write2_b64 v29, v[34:35], v[36:37] offset1:1
	s_branch .LBB571_6
.LBB571_15:                             ;   in Loop: Header=BB571_7 Depth=1
	v_add_nc_u32_e32 v2, s4, v27
	v_mov_b32_e32 v11, v3
	s_andn2_b32 s21, s18, exec_lo
	s_mov_b32 s19, exec_lo
	v_cmp_le_u64_e32 vcc_lo, s[12:13], v[2:3]
	v_mov_b32_e32 v10, v2
	s_and_b32 s22, vcc_lo, exec_lo
	s_or_b32 s21, s21, s22
	s_or_b32 exec_lo, exec_lo, s20
	s_and_saveexec_b32 s20, s21
	s_xor_b32 s20, exec_lo, s20
	s_cbranch_execz .LBB571_9
.LBB571_16:                             ;   in Loop: Header=BB571_7 Depth=1
	v_mov_b32_e32 v2, v3
	v_mov_b32_e32 v4, v3
	;; [unrolled: 1-line block ×3, first 2 shown]
	s_andn2_b32 s19, s19, exec_lo
	ds_write_b128 v28, v[2:5]
	s_or_b32 exec_lo, exec_lo, s20
	s_and_saveexec_b32 s20, s19
	s_cbranch_execnz .LBB571_10
	s_branch .LBB571_11
.LBB571_17:
	v_add_nc_u32_e32 v25, s7, v1
	v_cmp_neq_f64_e64 s5, s[38:39], 0
	s_waitcnt lgkmcnt(0)
	s_lshl_b64 s[0:1], s[10:11], 4
	s_add_u32 s4, s2, s0
	v_ashrrev_i32_e32 v3, 31, v25
	v_mul_lo_u32 v4, s9, v25
	v_mad_u64_u32 v[1:2], null, s8, v25, 0
	s_addc_u32 s3, s3, s1
	v_mul_lo_u32 v3, s8, v3
	s_xor_b32 s2, s29, -1
	v_add3_u32 v2, v2, v3, v4
	v_add_nc_u32_e32 v4, s6, v0
	s_or_b32 s2, s5, s2
	v_lshlrev_b64 v[0:1], 4, v[1:2]
	v_cmp_le_i32_e32 vcc_lo, v25, v4
	v_cmp_gt_i32_e64 s0, s28, v4
	v_ashrrev_i32_e32 v5, 31, v4
	v_cndmask_b32_e64 v24, 0, 1, s2
	v_add_co_u32 v26, s1, s4, v0
	v_add_co_ci_u32_e64 v27, null, s3, v1, s1
	s_and_b32 s5, vcc_lo, s0
	s_and_saveexec_b32 s1, s5
	s_cbranch_execz .LBB571_21
; %bb.18:
	v_mul_f64 v[0:1], s[16:17], v[22:23]
	v_mul_f64 v[2:3], s[14:15], v[22:23]
	v_lshlrev_b64 v[10:11], 4, v[4:5]
	v_add_co_u32 v10, vcc_lo, v26, v10
	v_add_co_ci_u32_e64 v11, null, v27, v11, vcc_lo
	s_andn2_b32 vcc_lo, exec_lo, s2
	v_fma_f64 v[0:1], s[14:15], v[20:21], -v[0:1]
	v_fma_f64 v[2:3], s[16:17], v[20:21], v[2:3]
	s_cbranch_vccnz .LBB571_20
; %bb.19:
	flat_load_dwordx4 v[20:23], v[10:11]
	s_waitcnt vmcnt(0) lgkmcnt(0)
	v_mul_f64 v[28:29], s[40:41], v[22:23]
	v_mul_f64 v[22:23], s[38:39], v[22:23]
	v_fma_f64 v[28:29], s[38:39], v[20:21], -v[28:29]
	v_fma_f64 v[20:21], s[40:41], v[20:21], v[22:23]
	v_add_f64 v[0:1], v[0:1], v[28:29]
	v_add_f64 v[2:3], v[2:3], v[20:21]
.LBB571_20:
	flat_store_dwordx4 v[10:11], v[0:3]
.LBB571_21:
	s_or_b32 exec_lo, exec_lo, s1
	v_add_nc_u32_e32 v10, 16, v4
	v_cmp_le_i32_e32 vcc_lo, v25, v10
	v_cmp_gt_i32_e64 s1, s28, v10
	v_ashrrev_i32_e32 v11, 31, v10
	s_and_b32 s2, vcc_lo, s1
	s_and_saveexec_b32 s5, s2
	s_cbranch_execz .LBB571_25
; %bb.22:
	v_mul_f64 v[0:1], s[16:17], v[18:19]
	v_mul_f64 v[2:3], s[14:15], v[18:19]
	v_cmp_ne_u32_e32 vcc_lo, 1, v24
	s_and_b32 vcc_lo, exec_lo, vcc_lo
	v_fma_f64 v[0:1], s[14:15], v[16:17], -v[0:1]
	v_fma_f64 v[2:3], s[16:17], v[16:17], v[2:3]
	v_lshlrev_b64 v[16:17], 4, v[10:11]
	v_add_co_u32 v16, s2, v26, v16
	v_add_co_ci_u32_e64 v17, null, v27, v17, s2
	s_cbranch_vccnz .LBB571_24
; %bb.23:
	flat_load_dwordx4 v[18:21], v[16:17]
	s_waitcnt vmcnt(0) lgkmcnt(0)
	v_mul_f64 v[22:23], s[40:41], v[20:21]
	v_mul_f64 v[20:21], s[38:39], v[20:21]
	v_fma_f64 v[22:23], s[38:39], v[18:19], -v[22:23]
	v_fma_f64 v[18:19], s[40:41], v[18:19], v[20:21]
	v_add_f64 v[0:1], v[0:1], v[22:23]
	v_add_f64 v[2:3], v[2:3], v[18:19]
.LBB571_24:
	flat_store_dwordx4 v[16:17], v[0:3]
.LBB571_25:
	s_or_b32 exec_lo, exec_lo, s5
	v_add_nc_u32_e32 v18, 16, v25
	v_ashrrev_i32_e32 v2, 31, v18
	v_mul_lo_u32 v3, s9, v18
	v_mad_u64_u32 v[0:1], null, s8, v18, 0
	v_cmp_le_i32_e32 vcc_lo, v18, v4
	v_mul_lo_u32 v2, s8, v2
	s_and_b32 s0, vcc_lo, s0
	v_add3_u32 v1, v1, v2, v3
	v_lshlrev_b64 v[0:1], 4, v[0:1]
	v_add_co_u32 v16, s2, s4, v0
	v_add_co_ci_u32_e64 v17, null, s3, v1, s2
	s_and_saveexec_b32 s2, s0
	s_cbranch_execz .LBB571_29
; %bb.26:
	v_mul_f64 v[0:1], s[16:17], v[12:13]
	v_mul_f64 v[2:3], s[14:15], v[12:13]
	v_lshlrev_b64 v[4:5], 4, v[4:5]
	v_cmp_ne_u32_e32 vcc_lo, 1, v24
	s_and_b32 vcc_lo, exec_lo, vcc_lo
	v_add_co_u32 v4, s0, v16, v4
	v_add_co_ci_u32_e64 v5, null, v17, v5, s0
	v_fma_f64 v[0:1], s[14:15], v[14:15], -v[0:1]
	v_fma_f64 v[2:3], s[16:17], v[14:15], v[2:3]
	s_cbranch_vccnz .LBB571_28
; %bb.27:
	flat_load_dwordx4 v[12:15], v[4:5]
	s_waitcnt vmcnt(0) lgkmcnt(0)
	v_mul_f64 v[19:20], s[40:41], v[14:15]
	v_mul_f64 v[14:15], s[38:39], v[14:15]
	v_fma_f64 v[19:20], s[38:39], v[12:13], -v[19:20]
	v_fma_f64 v[12:13], s[40:41], v[12:13], v[14:15]
	v_add_f64 v[0:1], v[0:1], v[19:20]
	v_add_f64 v[2:3], v[2:3], v[12:13]
.LBB571_28:
	flat_store_dwordx4 v[4:5], v[0:3]
.LBB571_29:
	s_or_b32 exec_lo, exec_lo, s2
	v_cmp_le_i32_e32 vcc_lo, v18, v10
	s_and_b32 s0, vcc_lo, s1
	s_and_saveexec_b32 s1, s0
	s_cbranch_execz .LBB571_34
; %bb.30:
	v_mul_f64 v[0:1], s[16:17], v[6:7]
	v_mul_f64 v[2:3], s[14:15], v[6:7]
	v_lshlrev_b64 v[4:5], 4, v[10:11]
	v_cmp_ne_u32_e32 vcc_lo, 1, v24
	s_and_b32 vcc_lo, exec_lo, vcc_lo
	v_add_co_u32 v4, s0, v16, v4
	v_add_co_ci_u32_e64 v5, null, v17, v5, s0
	v_fma_f64 v[0:1], s[14:15], v[8:9], -v[0:1]
	v_fma_f64 v[2:3], s[16:17], v[8:9], v[2:3]
	s_cbranch_vccnz .LBB571_32
; %bb.31:
	flat_load_dwordx4 v[6:9], v[4:5]
	s_waitcnt vmcnt(0) lgkmcnt(0)
	v_mul_f64 v[10:11], s[40:41], v[8:9]
	v_mul_f64 v[8:9], s[38:39], v[8:9]
	v_fma_f64 v[10:11], s[38:39], v[6:7], -v[10:11]
	v_fma_f64 v[6:7], s[40:41], v[6:7], v[8:9]
	v_add_f64 v[0:1], v[0:1], v[10:11]
	v_add_f64 v[2:3], v[2:3], v[6:7]
.LBB571_32:
	flat_store_dwordx4 v[4:5], v[0:3]
	s_endpgm
.LBB571_33:
.LBB571_34:
	s_endpgm
	.section	.rodata,"a",@progbits
	.p2align	6, 0x0
	.amdhsa_kernel _ZL29rocblas_internal_gemmt_kernelIlLi16ELi32ELi8ELc84ELc84ELc76ELb0ELb0E19rocblas_complex_numIdES1_PKPKS1_PKPS1_EviT_T9_T10_S9_lSB_S9_lSA_T11_S9_li
		.amdhsa_group_segment_fixed_size 8192
		.amdhsa_private_segment_fixed_size 0
		.amdhsa_kernarg_size 124
		.amdhsa_user_sgpr_count 6
		.amdhsa_user_sgpr_private_segment_buffer 1
		.amdhsa_user_sgpr_dispatch_ptr 0
		.amdhsa_user_sgpr_queue_ptr 0
		.amdhsa_user_sgpr_kernarg_segment_ptr 1
		.amdhsa_user_sgpr_dispatch_id 0
		.amdhsa_user_sgpr_flat_scratch_init 0
		.amdhsa_user_sgpr_private_segment_size 0
		.amdhsa_wavefront_size32 1
		.amdhsa_uses_dynamic_stack 0
		.amdhsa_system_sgpr_private_segment_wavefront_offset 0
		.amdhsa_system_sgpr_workgroup_id_x 1
		.amdhsa_system_sgpr_workgroup_id_y 1
		.amdhsa_system_sgpr_workgroup_id_z 1
		.amdhsa_system_sgpr_workgroup_info 0
		.amdhsa_system_vgpr_workitem_id 1
		.amdhsa_next_free_vgpr 142
		.amdhsa_next_free_sgpr 44
		.amdhsa_reserve_vcc 1
		.amdhsa_reserve_flat_scratch 0
		.amdhsa_float_round_mode_32 0
		.amdhsa_float_round_mode_16_64 0
		.amdhsa_float_denorm_mode_32 3
		.amdhsa_float_denorm_mode_16_64 3
		.amdhsa_dx10_clamp 1
		.amdhsa_ieee_mode 1
		.amdhsa_fp16_overflow 0
		.amdhsa_workgroup_processor_mode 1
		.amdhsa_memory_ordered 1
		.amdhsa_forward_progress 1
		.amdhsa_shared_vgpr_count 0
		.amdhsa_exception_fp_ieee_invalid_op 0
		.amdhsa_exception_fp_denorm_src 0
		.amdhsa_exception_fp_ieee_div_zero 0
		.amdhsa_exception_fp_ieee_overflow 0
		.amdhsa_exception_fp_ieee_underflow 0
		.amdhsa_exception_fp_ieee_inexact 0
		.amdhsa_exception_int_div_zero 0
	.end_amdhsa_kernel
	.section	.text._ZL29rocblas_internal_gemmt_kernelIlLi16ELi32ELi8ELc84ELc84ELc76ELb0ELb0E19rocblas_complex_numIdES1_PKPKS1_PKPS1_EviT_T9_T10_S9_lSB_S9_lSA_T11_S9_li,"axG",@progbits,_ZL29rocblas_internal_gemmt_kernelIlLi16ELi32ELi8ELc84ELc84ELc76ELb0ELb0E19rocblas_complex_numIdES1_PKPKS1_PKPS1_EviT_T9_T10_S9_lSB_S9_lSA_T11_S9_li,comdat
.Lfunc_end571:
	.size	_ZL29rocblas_internal_gemmt_kernelIlLi16ELi32ELi8ELc84ELc84ELc76ELb0ELb0E19rocblas_complex_numIdES1_PKPKS1_PKPS1_EviT_T9_T10_S9_lSB_S9_lSA_T11_S9_li, .Lfunc_end571-_ZL29rocblas_internal_gemmt_kernelIlLi16ELi32ELi8ELc84ELc84ELc76ELb0ELb0E19rocblas_complex_numIdES1_PKPKS1_PKPS1_EviT_T9_T10_S9_lSB_S9_lSA_T11_S9_li
                                        ; -- End function
	.set _ZL29rocblas_internal_gemmt_kernelIlLi16ELi32ELi8ELc84ELc84ELc76ELb0ELb0E19rocblas_complex_numIdES1_PKPKS1_PKPS1_EviT_T9_T10_S9_lSB_S9_lSA_T11_S9_li.num_vgpr, 142
	.set _ZL29rocblas_internal_gemmt_kernelIlLi16ELi32ELi8ELc84ELc84ELc76ELb0ELb0E19rocblas_complex_numIdES1_PKPKS1_PKPS1_EviT_T9_T10_S9_lSB_S9_lSA_T11_S9_li.num_agpr, 0
	.set _ZL29rocblas_internal_gemmt_kernelIlLi16ELi32ELi8ELc84ELc84ELc76ELb0ELb0E19rocblas_complex_numIdES1_PKPKS1_PKPS1_EviT_T9_T10_S9_lSB_S9_lSA_T11_S9_li.numbered_sgpr, 44
	.set _ZL29rocblas_internal_gemmt_kernelIlLi16ELi32ELi8ELc84ELc84ELc76ELb0ELb0E19rocblas_complex_numIdES1_PKPKS1_PKPS1_EviT_T9_T10_S9_lSB_S9_lSA_T11_S9_li.num_named_barrier, 0
	.set _ZL29rocblas_internal_gemmt_kernelIlLi16ELi32ELi8ELc84ELc84ELc76ELb0ELb0E19rocblas_complex_numIdES1_PKPKS1_PKPS1_EviT_T9_T10_S9_lSB_S9_lSA_T11_S9_li.private_seg_size, 0
	.set _ZL29rocblas_internal_gemmt_kernelIlLi16ELi32ELi8ELc84ELc84ELc76ELb0ELb0E19rocblas_complex_numIdES1_PKPKS1_PKPS1_EviT_T9_T10_S9_lSB_S9_lSA_T11_S9_li.uses_vcc, 1
	.set _ZL29rocblas_internal_gemmt_kernelIlLi16ELi32ELi8ELc84ELc84ELc76ELb0ELb0E19rocblas_complex_numIdES1_PKPKS1_PKPS1_EviT_T9_T10_S9_lSB_S9_lSA_T11_S9_li.uses_flat_scratch, 0
	.set _ZL29rocblas_internal_gemmt_kernelIlLi16ELi32ELi8ELc84ELc84ELc76ELb0ELb0E19rocblas_complex_numIdES1_PKPKS1_PKPS1_EviT_T9_T10_S9_lSB_S9_lSA_T11_S9_li.has_dyn_sized_stack, 0
	.set _ZL29rocblas_internal_gemmt_kernelIlLi16ELi32ELi8ELc84ELc84ELc76ELb0ELb0E19rocblas_complex_numIdES1_PKPKS1_PKPS1_EviT_T9_T10_S9_lSB_S9_lSA_T11_S9_li.has_recursion, 0
	.set _ZL29rocblas_internal_gemmt_kernelIlLi16ELi32ELi8ELc84ELc84ELc76ELb0ELb0E19rocblas_complex_numIdES1_PKPKS1_PKPS1_EviT_T9_T10_S9_lSB_S9_lSA_T11_S9_li.has_indirect_call, 0
	.section	.AMDGPU.csdata,"",@progbits
; Kernel info:
; codeLenInByte = 3616
; TotalNumSgprs: 46
; NumVgprs: 142
; ScratchSize: 0
; MemoryBound: 0
; FloatMode: 240
; IeeeMode: 1
; LDSByteSize: 8192 bytes/workgroup (compile time only)
; SGPRBlocks: 0
; VGPRBlocks: 17
; NumSGPRsForWavesPerEU: 46
; NumVGPRsForWavesPerEU: 142
; Occupancy: 7
; WaveLimiterHint : 1
; COMPUTE_PGM_RSRC2:SCRATCH_EN: 0
; COMPUTE_PGM_RSRC2:USER_SGPR: 6
; COMPUTE_PGM_RSRC2:TRAP_HANDLER: 0
; COMPUTE_PGM_RSRC2:TGID_X_EN: 1
; COMPUTE_PGM_RSRC2:TGID_Y_EN: 1
; COMPUTE_PGM_RSRC2:TGID_Z_EN: 1
; COMPUTE_PGM_RSRC2:TIDIG_COMP_CNT: 1
	.section	.text._ZL29rocblas_internal_gemmt_kernelIlLi16ELi32ELi8ELc84ELc67ELc76ELb0ELb1E19rocblas_complex_numIdES1_PKPKS1_PKPS1_EviT_T9_T10_S9_lSB_S9_lSA_T11_S9_li,"axG",@progbits,_ZL29rocblas_internal_gemmt_kernelIlLi16ELi32ELi8ELc84ELc67ELc76ELb0ELb1E19rocblas_complex_numIdES1_PKPKS1_PKPS1_EviT_T9_T10_S9_lSB_S9_lSA_T11_S9_li,comdat
	.globl	_ZL29rocblas_internal_gemmt_kernelIlLi16ELi32ELi8ELc84ELc67ELc76ELb0ELb1E19rocblas_complex_numIdES1_PKPKS1_PKPS1_EviT_T9_T10_S9_lSB_S9_lSA_T11_S9_li ; -- Begin function _ZL29rocblas_internal_gemmt_kernelIlLi16ELi32ELi8ELc84ELc67ELc76ELb0ELb1E19rocblas_complex_numIdES1_PKPKS1_PKPS1_EviT_T9_T10_S9_lSB_S9_lSA_T11_S9_li
	.p2align	8
	.type	_ZL29rocblas_internal_gemmt_kernelIlLi16ELi32ELi8ELc84ELc67ELc76ELb0ELb1E19rocblas_complex_numIdES1_PKPKS1_PKPS1_EviT_T9_T10_S9_lSB_S9_lSA_T11_S9_li,@function
_ZL29rocblas_internal_gemmt_kernelIlLi16ELi32ELi8ELc84ELc67ELc76ELb0ELb1E19rocblas_complex_numIdES1_PKPKS1_PKPS1_EviT_T9_T10_S9_lSB_S9_lSA_T11_S9_li: ; @_ZL29rocblas_internal_gemmt_kernelIlLi16ELi32ELi8ELc84ELc67ELc76ELb0ELb1E19rocblas_complex_numIdES1_PKPKS1_PKPS1_EviT_T9_T10_S9_lSB_S9_lSA_T11_S9_li
; %bb.0:
	s_clause 0x1
	s_load_dwordx8 s[36:43], s[4:5], 0x48
	s_load_dwordx16 s[12:27], s[4:5], 0x8
	s_waitcnt lgkmcnt(0)
	v_cmp_eq_f64_e64 s0, s[38:39], 1.0
	v_cmp_eq_f64_e64 s29, s[40:41], 0
	s_and_b32 s0, s0, s29
	s_andn2_b32 vcc_lo, exec_lo, s0
	s_mov_b32 s0, -1
	s_cbranch_vccnz .LBB572_3
; %bb.1:
	s_cmp_lg_u64 s[12:13], 0
	s_cbranch_scc0 .LBB572_31
; %bb.2:
	v_cmp_neq_f64_e64 s0, s[14:15], 0
	v_cmp_neq_f64_e64 s1, s[16:17], 0
	s_or_b32 s0, s0, s1
.LBB572_3:
	s_and_b32 vcc_lo, exec_lo, s0
	s_cbranch_vccz .LBB572_32
; %bb.4:
	v_cmp_eq_f64_e64 s30, s[14:15], 0
	v_cmp_eq_f64_e64 s31, s[16:17], 0
	s_mov_b32 s9, 0
	v_mov_b32_e32 v22, 0
	s_lshl_b64 s[0:1], s[8:9], 3
	v_mov_b32_e32 v24, 0
	s_add_u32 s2, s42, s0
	s_addc_u32 s3, s43, s1
	s_clause 0x1
	s_load_dwordx4 s[8:11], s[4:5], 0x68
	s_load_dword s28, s[4:5], 0x0
	s_load_dwordx2 s[2:3], s[2:3], 0x0
	v_cmp_lt_i64_e64 s4, s[12:13], 1
	v_mov_b32_e32 v18, 0
	v_mov_b32_e32 v20, 0
	;; [unrolled: 1-line block ×13, first 2 shown]
	s_and_b32 s5, s30, s31
	v_mov_b32_e32 v11, 0
	s_or_b32 s4, s5, s4
	s_lshl_b32 s6, s6, 5
	s_and_b32 vcc_lo, exec_lo, s4
	s_lshl_b32 s7, s7, 5
	s_cbranch_vccnz .LBB572_15
; %bb.5:
	s_add_u32 s4, s24, s0
	s_addc_u32 s5, s25, s1
	s_lshl_b64 s[24:25], s[36:37], 4
	s_load_dwordx2 s[4:5], s[4:5], 0x0
	v_lshl_add_u32 v2, v1, 4, v0
	v_and_b32_e32 v26, 7, v0
	v_mov_b32_e32 v10, 0
	v_mov_b32_e32 v12, 0
	;; [unrolled: 1-line block ×3, first 2 shown]
	v_and_b32_e32 v3, 31, v2
	v_lshrrev_b32_e32 v4, 3, v2
	v_lshlrev_b32_e32 v5, 4, v26
	v_lshrrev_b32_e32 v29, 5, v2
	v_mov_b32_e32 v14, 0
	v_or_b32_e32 v6, s6, v3
	v_add_nc_u32_e32 v2, s7, v4
	v_lshl_or_b32 v9, v4, 7, v5
	v_lshlrev_b32_e32 v8, 4, v3
	v_mov_b32_e32 v20, 0
	v_mul_lo_u32 v7, s21, v6
	v_mad_u64_u32 v[4:5], null, s20, v6, 0
	v_ashrrev_i32_e32 v3, 31, v2
	s_waitcnt lgkmcnt(0)
	s_add_u32 s24, s4, s24
	s_addc_u32 s25, s5, s25
	s_add_u32 s0, s18, s0
	s_addc_u32 s1, s19, s1
	s_lshl_b64 s[4:5], s[22:23], 4
	s_load_dwordx2 s[0:1], s[0:1], 0x0
	v_cmp_le_i32_e64 s18, s28, v6
	v_mov_b32_e32 v18, 0
	v_mov_b32_e32 v24, 0
	;; [unrolled: 1-line block ×3, first 2 shown]
	v_lshlrev_b32_e32 v27, 4, v0
	v_lshl_add_u32 v28, v1, 7, 0x1000
	v_mov_b32_e32 v11, 0
	v_mov_b32_e32 v13, 0
	;; [unrolled: 1-line block ×8, first 2 shown]
	v_lshl_or_b32 v30, v29, 9, v8
	v_add_nc_u32_e32 v31, 0x1000, v9
                                        ; implicit-def: $vgpr8_vgpr9
	s_waitcnt lgkmcnt(0)
	s_add_u32 s4, s0, s4
	s_addc_u32 s5, s1, s5
	s_ashr_i32 s1, s6, 31
	v_cmp_gt_i32_e64 s0, s28, v6
	s_mul_i32 s1, s20, s1
	v_add3_u32 v5, v5, s1, v7
	v_lshlrev_b64 v[6:7], 4, v[2:3]
	v_cmp_gt_i32_e64 s1, s28, v2
	v_lshlrev_b64 v[2:3], 4, v[4:5]
	v_add_co_u32 v32, vcc_lo, s24, v6
	v_add_co_ci_u32_e64 v33, null, s25, v7, vcc_lo
	v_add_co_u32 v34, vcc_lo, s4, v2
	v_add_co_ci_u32_e64 v35, null, s5, v3, vcc_lo
	v_mov_b32_e32 v3, 0
	s_mov_b64 s[4:5], 0
	s_branch .LBB572_7
.LBB572_6:                              ;   in Loop: Header=BB572_7 Depth=1
	s_or_b32 exec_lo, exec_lo, s19
	ds_write_b128 v31, v[4:7]
	s_waitcnt lgkmcnt(0)
	s_barrier
	buffer_gl0_inv
	ds_read_b128 v[4:7], v28
	ds_read_b128 v[36:39], v27
	ds_read_b128 v[40:43], v27 offset:256
	ds_read_b128 v[44:47], v28 offset:2048
	;; [unrolled: 1-line block ×11, first 2 shown]
	s_add_u32 s4, s4, 8
	s_addc_u32 s5, s5, 0
	v_cmp_gt_i64_e64 s19, s[12:13], s[4:5]
	s_waitcnt lgkmcnt(11)
	v_mul_f64 v[84:85], v[6:7], v[38:39]
	v_mul_f64 v[86:87], v[4:5], v[38:39]
	s_waitcnt lgkmcnt(10)
	v_mul_f64 v[88:89], v[6:7], v[42:43]
	v_mul_f64 v[90:91], v[4:5], v[42:43]
	;; [unrolled: 3-line block ×3, first 2 shown]
	v_mul_f64 v[94:95], v[46:47], v[42:43]
	v_mul_f64 v[42:43], v[44:45], v[42:43]
	s_waitcnt lgkmcnt(7)
	v_mul_f64 v[96:97], v[50:51], v[54:55]
	v_mul_f64 v[98:99], v[48:49], v[54:55]
	s_waitcnt lgkmcnt(6)
	v_mul_f64 v[100:101], v[50:51], v[58:59]
	s_waitcnt lgkmcnt(5)
	v_mul_f64 v[104:105], v[62:63], v[54:55]
	v_mul_f64 v[54:55], v[60:61], v[54:55]
	;; [unrolled: 1-line block ×5, first 2 shown]
	s_waitcnt lgkmcnt(3)
	v_mul_f64 v[108:109], v[70:71], v[66:67]
	v_mul_f64 v[110:111], v[68:69], v[66:67]
	s_and_b32 vcc_lo, exec_lo, s19
	v_fma_f64 v[84:85], v[4:5], v[36:37], -v[84:85]
	v_fma_f64 v[86:87], v[6:7], v[36:37], v[86:87]
	v_fma_f64 v[88:89], v[4:5], v[40:41], -v[88:89]
	v_fma_f64 v[90:91], v[6:7], v[40:41], v[90:91]
	;; [unrolled: 2-line block ×3, first 2 shown]
	v_fma_f64 v[94:95], v[44:45], v[40:41], -v[94:95]
	ds_read_b128 v[4:7], v27 offset:1536
	s_waitcnt lgkmcnt(3)
	v_mul_f64 v[112:113], v[70:71], v[74:75]
	v_mul_f64 v[114:115], v[68:69], v[74:75]
	v_fma_f64 v[118:119], v[46:47], v[40:41], v[42:43]
	v_fma_f64 v[96:97], v[48:49], v[52:53], -v[96:97]
	v_fma_f64 v[98:99], v[50:51], v[52:53], v[98:99]
	v_fma_f64 v[48:49], v[48:49], v[56:57], -v[100:101]
	s_waitcnt lgkmcnt(2)
	v_mul_f64 v[44:45], v[78:79], v[66:67]
	v_fma_f64 v[100:101], v[60:61], v[52:53], -v[104:105]
	v_fma_f64 v[52:53], v[62:63], v[52:53], v[54:55]
	v_mul_f64 v[46:47], v[76:77], v[66:67]
	v_mul_f64 v[54:55], v[78:79], v[74:75]
	;; [unrolled: 1-line block ×3, first 2 shown]
	v_fma_f64 v[50:51], v[50:51], v[56:57], v[102:103]
	v_fma_f64 v[60:61], v[60:61], v[56:57], -v[106:107]
	v_fma_f64 v[56:57], v[62:63], v[56:57], v[58:59]
	v_fma_f64 v[58:59], v[68:69], v[64:65], -v[108:109]
	v_fma_f64 v[62:63], v[70:71], v[64:65], v[110:111]
	v_add_f64 v[84:85], v[22:23], v[84:85]
	v_add_f64 v[86:87], v[86:87], v[24:25]
	;; [unrolled: 1-line block ×5, first 2 shown]
	v_fma_f64 v[68:69], v[68:69], v[72:73], -v[112:113]
	v_fma_f64 v[70:71], v[70:71], v[72:73], v[114:115]
	v_add_f64 v[106:107], v[116:117], v[16:17]
	ds_read_b128 v[36:39], v27 offset:1792
	ds_read_b128 v[40:43], v28 offset:2096
	s_waitcnt lgkmcnt(2)
	v_mul_f64 v[74:75], v[82:83], v[6:7]
	v_mul_f64 v[102:103], v[80:81], v[6:7]
	v_fma_f64 v[110:111], v[76:77], v[64:65], -v[44:45]
	ds_read_b128 v[14:17], v28 offset:64
	v_fma_f64 v[64:65], v[78:79], v[64:65], v[46:47]
	v_fma_f64 v[76:77], v[76:77], v[72:73], -v[54:55]
	v_fma_f64 v[66:67], v[78:79], v[72:73], v[66:67]
	v_add_f64 v[54:55], v[12:13], v[94:95]
	v_add_f64 v[72:73], v[118:119], v[10:11]
	ds_read_b128 v[18:21], v27 offset:2048
	ds_read_b128 v[22:25], v27 offset:2304
	;; [unrolled: 1-line block ×4, first 2 shown]
	v_add_f64 v[84:85], v[84:85], v[96:97]
	v_add_f64 v[86:87], v[98:99], v[86:87]
	;; [unrolled: 1-line block ×5, first 2 shown]
	s_waitcnt lgkmcnt(6)
	v_mul_f64 v[104:105], v[82:83], v[38:39]
	v_mul_f64 v[108:109], v[80:81], v[38:39]
	s_waitcnt lgkmcnt(5)
	v_mul_f64 v[112:113], v[42:43], v[6:7]
	v_mul_f64 v[6:7], v[40:41], v[6:7]
	v_add_f64 v[52:53], v[52:53], v[106:107]
	v_mul_f64 v[94:95], v[42:43], v[38:39]
	v_mul_f64 v[38:39], v[40:41], v[38:39]
	v_fma_f64 v[74:75], v[80:81], v[4:5], -v[74:75]
	v_fma_f64 v[78:79], v[82:83], v[4:5], v[102:103]
	ds_read_b128 v[48:51], v28 offset:2128
	s_waitcnt lgkmcnt(4)
	v_mul_f64 v[100:101], v[16:17], v[20:21]
	v_mul_f64 v[102:103], v[14:15], v[20:21]
	v_add_f64 v[60:61], v[54:55], v[60:61]
	v_add_f64 v[56:57], v[56:57], v[72:73]
	s_waitcnt lgkmcnt(3)
	v_mul_f64 v[106:107], v[14:15], v[24:25]
	s_waitcnt lgkmcnt(2)
	v_mul_f64 v[72:73], v[46:47], v[20:21]
	v_mul_f64 v[20:21], v[44:45], v[20:21]
	v_add_f64 v[58:59], v[84:85], v[58:59]
	v_add_f64 v[62:63], v[62:63], v[86:87]
	;; [unrolled: 1-line block ×5, first 2 shown]
	v_fma_f64 v[80:81], v[80:81], v[36:37], -v[104:105]
	v_fma_f64 v[82:83], v[82:83], v[36:37], v[108:109]
	v_fma_f64 v[96:97], v[40:41], v[4:5], -v[112:113]
	v_fma_f64 v[98:99], v[42:43], v[4:5], v[6:7]
	v_mul_f64 v[104:105], v[16:17], v[24:25]
	v_add_f64 v[64:65], v[64:65], v[52:53]
	v_mul_f64 v[86:87], v[46:47], v[24:25]
	v_mul_f64 v[24:25], v[44:45], v[24:25]
	v_fma_f64 v[40:41], v[40:41], v[36:37], -v[94:95]
	v_fma_f64 v[42:43], v[42:43], v[36:37], v[38:39]
	ds_read_b128 v[4:7], v28 offset:80
	ds_read_b128 v[52:55], v27 offset:2816
	v_add_f64 v[60:61], v[60:61], v[76:77]
	v_add_f64 v[56:57], v[66:67], v[56:57]
	v_fma_f64 v[90:91], v[14:15], v[18:19], -v[100:101]
	v_fma_f64 v[92:93], v[16:17], v[18:19], v[102:103]
	v_fma_f64 v[100:101], v[16:17], v[22:23], v[106:107]
	v_fma_f64 v[66:67], v[44:45], v[18:19], -v[72:73]
	v_add_f64 v[58:59], v[58:59], v[74:75]
	v_add_f64 v[62:63], v[78:79], v[62:63]
	v_fma_f64 v[72:73], v[46:47], v[18:19], v[20:21]
	v_add_f64 v[68:69], v[68:69], v[80:81]
	v_add_f64 v[70:71], v[82:83], v[70:71]
	;; [unrolled: 1-line block ×3, first 2 shown]
	s_waitcnt lgkmcnt(2)
	v_mul_f64 v[82:83], v[50:51], v[12:13]
	v_fma_f64 v[94:95], v[14:15], v[22:23], -v[104:105]
	v_add_f64 v[64:65], v[98:99], v[64:65]
	v_fma_f64 v[44:45], v[44:45], v[22:23], -v[86:87]
	v_fma_f64 v[46:47], v[46:47], v[22:23], v[24:25]
	s_waitcnt lgkmcnt(1)
	v_mul_f64 v[88:89], v[6:7], v[12:13]
	v_mul_f64 v[76:77], v[4:5], v[12:13]
	s_waitcnt lgkmcnt(0)
	v_mul_f64 v[78:79], v[6:7], v[54:55]
	v_mul_f64 v[80:81], v[4:5], v[54:55]
	;; [unrolled: 1-line block ×5, first 2 shown]
	v_add_f64 v[40:41], v[60:61], v[40:41]
	v_add_f64 v[42:43], v[42:43], v[56:57]
	ds_read_b128 v[14:17], v28 offset:96
	ds_read_b128 v[18:21], v27 offset:3072
	;; [unrolled: 1-line block ×4, first 2 shown]
	v_add_f64 v[56:57], v[58:59], v[90:91]
	v_add_f64 v[58:59], v[92:93], v[62:63]
	;; [unrolled: 1-line block ×3, first 2 shown]
	v_fma_f64 v[82:83], v[48:49], v[10:11], -v[82:83]
	v_add_f64 v[62:63], v[68:69], v[94:95]
	v_add_f64 v[68:69], v[100:101], v[70:71]
	;; [unrolled: 1-line block ×3, first 2 shown]
	v_fma_f64 v[60:61], v[4:5], v[10:11], -v[88:89]
	v_fma_f64 v[70:71], v[6:7], v[10:11], v[76:77]
	v_fma_f64 v[72:73], v[4:5], v[52:53], -v[78:79]
	v_fma_f64 v[74:75], v[6:7], v[52:53], v[80:81]
	ds_read_b128 v[4:7], v28 offset:112
	v_fma_f64 v[88:89], v[50:51], v[10:11], v[12:13]
	s_waitcnt lgkmcnt(3)
	v_mul_f64 v[76:77], v[16:17], v[20:21]
	v_mul_f64 v[78:79], v[14:15], v[20:21]
	s_waitcnt lgkmcnt(2)
	v_mul_f64 v[80:81], v[16:17], v[38:39]
	v_mul_f64 v[86:87], v[14:15], v[38:39]
	v_fma_f64 v[48:49], v[48:49], v[52:53], -v[84:85]
	v_fma_f64 v[50:51], v[50:51], v[52:53], v[54:55]
	v_add_f64 v[52:53], v[40:41], v[44:45]
	v_add_f64 v[46:47], v[46:47], v[42:43]
	s_waitcnt lgkmcnt(1)
	v_mul_f64 v[54:55], v[24:25], v[20:21]
	v_mul_f64 v[20:21], v[22:23], v[20:21]
	v_mul_f64 v[84:85], v[24:25], v[38:39]
	v_mul_f64 v[90:91], v[22:23], v[38:39]
	ds_read_b128 v[10:13], v28 offset:2160
	ds_read_b128 v[38:41], v27 offset:3584
	;; [unrolled: 1-line block ×3, first 2 shown]
	v_add_f64 v[66:67], v[66:67], v[82:83]
	s_waitcnt lgkmcnt(0)
	v_add_f64 v[56:57], v[56:57], v[60:61]
	v_add_f64 v[58:59], v[70:71], v[58:59]
	;; [unrolled: 1-line block ×4, first 2 shown]
	s_barrier
	v_add_f64 v[64:65], v[88:89], v[64:65]
	v_fma_f64 v[60:61], v[14:15], v[18:19], -v[76:77]
	v_fma_f64 v[70:71], v[16:17], v[18:19], v[78:79]
	v_fma_f64 v[14:15], v[14:15], v[36:37], -v[80:81]
	v_fma_f64 v[16:17], v[16:17], v[36:37], v[86:87]
	buffer_gl0_inv
	v_add_f64 v[48:49], v[52:53], v[48:49]
	v_add_f64 v[46:47], v[50:51], v[46:47]
	v_fma_f64 v[50:51], v[22:23], v[18:19], -v[54:55]
	v_fma_f64 v[18:19], v[24:25], v[18:19], v[20:21]
	v_fma_f64 v[20:21], v[22:23], v[36:37], -v[84:85]
	v_fma_f64 v[22:23], v[24:25], v[36:37], v[90:91]
	v_mul_f64 v[24:25], v[6:7], v[40:41]
	v_mul_f64 v[36:37], v[4:5], v[40:41]
	;; [unrolled: 1-line block ×8, first 2 shown]
	v_add_f64 v[56:57], v[56:57], v[60:61]
	v_add_f64 v[58:59], v[70:71], v[58:59]
	;; [unrolled: 1-line block ×8, first 2 shown]
	v_fma_f64 v[18:19], v[4:5], v[38:39], -v[24:25]
	v_fma_f64 v[20:21], v[6:7], v[38:39], v[36:37]
	v_fma_f64 v[4:5], v[4:5], v[42:43], -v[52:53]
	v_fma_f64 v[6:7], v[6:7], v[42:43], v[54:55]
	;; [unrolled: 2-line block ×4, first 2 shown]
	v_add_f64 v[22:23], v[56:57], v[18:19]
	v_add_f64 v[24:25], v[20:21], v[58:59]
	;; [unrolled: 1-line block ×8, first 2 shown]
	s_cbranch_vccz .LBB572_15
.LBB572_7:                              ; =>This Inner Loop Header: Depth=1
	s_mov_b32 s21, s18
	s_mov_b32 s19, 0
	s_and_saveexec_b32 s20, s0
	s_cbranch_execnz .LBB572_13
; %bb.8:                                ;   in Loop: Header=BB572_7 Depth=1
	s_or_b32 exec_lo, exec_lo, s20
	s_and_saveexec_b32 s20, s21
	s_xor_b32 s20, exec_lo, s20
	s_cbranch_execnz .LBB572_14
.LBB572_9:                              ;   in Loop: Header=BB572_7 Depth=1
	s_or_b32 exec_lo, exec_lo, s20
	s_and_saveexec_b32 s20, s19
	s_cbranch_execz .LBB572_11
.LBB572_10:                             ;   in Loop: Header=BB572_7 Depth=1
	v_lshlrev_b64 v[4:5], 4, v[8:9]
	v_add_co_u32 v4, vcc_lo, v34, v4
	v_add_co_ci_u32_e64 v5, null, v35, v5, vcc_lo
	flat_load_dwordx4 v[4:7], v[4:5]
	s_waitcnt vmcnt(0) lgkmcnt(0)
	ds_write2_b64 v30, v[4:5], v[6:7] offset1:1
.LBB572_11:                             ;   in Loop: Header=BB572_7 Depth=1
	s_or_b32 exec_lo, exec_lo, s20
	v_add_nc_u32_e32 v2, s4, v26
	v_mov_b32_e32 v4, 0
	v_mov_b32_e32 v6, 0
	;; [unrolled: 1-line block ×4, first 2 shown]
	v_cmp_gt_u64_e32 vcc_lo, s[12:13], v[2:3]
	s_and_b32 s20, vcc_lo, s1
	s_and_saveexec_b32 s19, s20
	s_cbranch_execz .LBB572_6
; %bb.12:                               ;   in Loop: Header=BB572_7 Depth=1
	v_mad_u64_u32 v[4:5], null, s26, v2, 0
	v_mad_u64_u32 v[5:6], null, s27, v2, v[5:6]
	v_lshlrev_b64 v[4:5], 4, v[4:5]
	v_add_co_u32 v4, vcc_lo, v32, v4
	v_add_co_ci_u32_e64 v5, null, v33, v5, vcc_lo
	flat_load_dwordx4 v[4:7], v[4:5]
	s_waitcnt vmcnt(0) lgkmcnt(0)
	v_xor_b32_e32 v7, 0x80000000, v7
	s_branch .LBB572_6
.LBB572_13:                             ;   in Loop: Header=BB572_7 Depth=1
	v_add_nc_u32_e32 v2, s4, v29
	v_mov_b32_e32 v9, v3
	s_andn2_b32 s21, s18, exec_lo
	s_mov_b32 s19, exec_lo
	v_cmp_le_u64_e32 vcc_lo, s[12:13], v[2:3]
	v_mov_b32_e32 v8, v2
	s_and_b32 s22, vcc_lo, exec_lo
	s_or_b32 s21, s21, s22
	s_or_b32 exec_lo, exec_lo, s20
	s_and_saveexec_b32 s20, s21
	s_xor_b32 s20, exec_lo, s20
	s_cbranch_execz .LBB572_9
.LBB572_14:                             ;   in Loop: Header=BB572_7 Depth=1
	v_mov_b32_e32 v2, v3
	v_mov_b32_e32 v4, v3
	;; [unrolled: 1-line block ×3, first 2 shown]
	s_andn2_b32 s19, s19, exec_lo
	ds_write_b128 v30, v[2:5]
	s_or_b32 exec_lo, exec_lo, s20
	s_and_saveexec_b32 s20, s19
	s_cbranch_execnz .LBB572_10
	s_branch .LBB572_11
.LBB572_15:
	v_add_nc_u32_e32 v27, s7, v1
	v_cmp_neq_f64_e64 s5, s[38:39], 0
	s_waitcnt lgkmcnt(0)
	s_lshl_b64 s[0:1], s[10:11], 4
	s_add_u32 s4, s2, s0
	v_ashrrev_i32_e32 v3, 31, v27
	v_mul_lo_u32 v4, s9, v27
	v_mad_u64_u32 v[1:2], null, s8, v27, 0
	s_addc_u32 s3, s3, s1
	v_mul_lo_u32 v3, s8, v3
	s_xor_b32 s2, s29, -1
	v_add3_u32 v2, v2, v3, v4
	v_add_nc_u32_e32 v4, s6, v0
	s_or_b32 s2, s5, s2
	v_lshlrev_b64 v[0:1], 4, v[1:2]
	v_cmp_le_i32_e32 vcc_lo, v27, v4
	v_cmp_gt_i32_e64 s0, s28, v4
	v_ashrrev_i32_e32 v5, 31, v4
	v_cndmask_b32_e64 v26, 0, 1, s2
	v_add_co_u32 v8, s1, s4, v0
	v_add_co_ci_u32_e64 v9, null, s3, v1, s1
	s_and_b32 s5, vcc_lo, s0
	s_and_saveexec_b32 s1, s5
	s_cbranch_execz .LBB572_19
; %bb.16:
	v_mul_f64 v[0:1], s[16:17], v[24:25]
	v_mul_f64 v[2:3], s[14:15], v[24:25]
	v_lshlrev_b64 v[6:7], 4, v[4:5]
	v_add_co_u32 v6, vcc_lo, v8, v6
	v_add_co_ci_u32_e64 v7, null, v9, v7, vcc_lo
	s_andn2_b32 vcc_lo, exec_lo, s2
	v_fma_f64 v[0:1], s[14:15], v[22:23], -v[0:1]
	v_fma_f64 v[2:3], s[16:17], v[22:23], v[2:3]
	s_cbranch_vccnz .LBB572_18
; %bb.17:
	flat_load_dwordx4 v[22:25], v[6:7]
	s_waitcnt vmcnt(0) lgkmcnt(0)
	v_mul_f64 v[28:29], s[40:41], v[24:25]
	v_mul_f64 v[24:25], s[38:39], v[24:25]
	v_fma_f64 v[28:29], s[38:39], v[22:23], -v[28:29]
	v_fma_f64 v[22:23], s[40:41], v[22:23], v[24:25]
	v_add_f64 v[0:1], v[0:1], v[28:29]
	v_add_f64 v[2:3], v[2:3], v[22:23]
.LBB572_18:
	flat_store_dwordx4 v[6:7], v[0:3]
.LBB572_19:
	s_or_b32 exec_lo, exec_lo, s1
	v_add_nc_u32_e32 v6, 16, v4
	v_cmp_le_i32_e32 vcc_lo, v27, v6
	v_cmp_gt_i32_e64 s1, s28, v6
	v_ashrrev_i32_e32 v7, 31, v6
	s_and_b32 s2, vcc_lo, s1
	s_and_saveexec_b32 s5, s2
	s_cbranch_execz .LBB572_23
; %bb.20:
	v_mul_f64 v[0:1], s[16:17], v[20:21]
	v_mul_f64 v[2:3], s[14:15], v[20:21]
	v_cmp_ne_u32_e32 vcc_lo, 1, v26
	s_and_b32 vcc_lo, exec_lo, vcc_lo
	v_fma_f64 v[0:1], s[14:15], v[18:19], -v[0:1]
	v_fma_f64 v[2:3], s[16:17], v[18:19], v[2:3]
	v_lshlrev_b64 v[18:19], 4, v[6:7]
	v_add_co_u32 v8, s2, v8, v18
	v_add_co_ci_u32_e64 v9, null, v9, v19, s2
	s_cbranch_vccnz .LBB572_22
; %bb.21:
	flat_load_dwordx4 v[18:21], v[8:9]
	s_waitcnt vmcnt(0) lgkmcnt(0)
	v_mul_f64 v[22:23], s[40:41], v[20:21]
	v_mul_f64 v[20:21], s[38:39], v[20:21]
	v_fma_f64 v[22:23], s[38:39], v[18:19], -v[22:23]
	v_fma_f64 v[18:19], s[40:41], v[18:19], v[20:21]
	v_add_f64 v[0:1], v[0:1], v[22:23]
	v_add_f64 v[2:3], v[2:3], v[18:19]
.LBB572_22:
	flat_store_dwordx4 v[8:9], v[0:3]
.LBB572_23:
	s_or_b32 exec_lo, exec_lo, s5
	v_add_nc_u32_e32 v18, 16, v27
	v_ashrrev_i32_e32 v2, 31, v18
	v_mul_lo_u32 v3, s9, v18
	v_mad_u64_u32 v[0:1], null, s8, v18, 0
	v_cmp_le_i32_e32 vcc_lo, v18, v4
	v_mul_lo_u32 v2, s8, v2
	s_and_b32 s0, vcc_lo, s0
	v_add3_u32 v1, v1, v2, v3
	v_lshlrev_b64 v[0:1], 4, v[0:1]
	v_add_co_u32 v8, s2, s4, v0
	v_add_co_ci_u32_e64 v9, null, s3, v1, s2
	s_and_saveexec_b32 s2, s0
	s_cbranch_execz .LBB572_27
; %bb.24:
	v_mul_f64 v[0:1], s[16:17], v[16:17]
	v_mul_f64 v[2:3], s[14:15], v[16:17]
	v_lshlrev_b64 v[4:5], 4, v[4:5]
	v_cmp_ne_u32_e32 vcc_lo, 1, v26
	s_and_b32 vcc_lo, exec_lo, vcc_lo
	v_add_co_u32 v4, s0, v8, v4
	v_add_co_ci_u32_e64 v5, null, v9, v5, s0
	v_fma_f64 v[0:1], s[14:15], v[14:15], -v[0:1]
	v_fma_f64 v[2:3], s[16:17], v[14:15], v[2:3]
	s_cbranch_vccnz .LBB572_26
; %bb.25:
	flat_load_dwordx4 v[14:17], v[4:5]
	s_waitcnt vmcnt(0) lgkmcnt(0)
	v_mul_f64 v[19:20], s[40:41], v[16:17]
	v_mul_f64 v[16:17], s[38:39], v[16:17]
	v_fma_f64 v[19:20], s[38:39], v[14:15], -v[19:20]
	v_fma_f64 v[14:15], s[40:41], v[14:15], v[16:17]
	v_add_f64 v[0:1], v[0:1], v[19:20]
	v_add_f64 v[2:3], v[2:3], v[14:15]
.LBB572_26:
	flat_store_dwordx4 v[4:5], v[0:3]
.LBB572_27:
	s_or_b32 exec_lo, exec_lo, s2
	v_cmp_le_i32_e32 vcc_lo, v18, v6
	s_and_b32 s0, vcc_lo, s1
	s_and_saveexec_b32 s1, s0
	s_cbranch_execz .LBB572_32
; %bb.28:
	v_mul_f64 v[0:1], s[16:17], v[10:11]
	v_mul_f64 v[2:3], s[14:15], v[10:11]
	v_lshlrev_b64 v[4:5], 4, v[6:7]
	v_cmp_ne_u32_e32 vcc_lo, 1, v26
	s_and_b32 vcc_lo, exec_lo, vcc_lo
	v_add_co_u32 v4, s0, v8, v4
	v_add_co_ci_u32_e64 v5, null, v9, v5, s0
	v_fma_f64 v[0:1], s[14:15], v[12:13], -v[0:1]
	v_fma_f64 v[2:3], s[16:17], v[12:13], v[2:3]
	s_cbranch_vccnz .LBB572_30
; %bb.29:
	flat_load_dwordx4 v[6:9], v[4:5]
	s_waitcnt vmcnt(0) lgkmcnt(0)
	v_mul_f64 v[10:11], s[40:41], v[8:9]
	v_mul_f64 v[8:9], s[38:39], v[8:9]
	v_fma_f64 v[10:11], s[38:39], v[6:7], -v[10:11]
	v_fma_f64 v[6:7], s[40:41], v[6:7], v[8:9]
	v_add_f64 v[0:1], v[0:1], v[10:11]
	v_add_f64 v[2:3], v[2:3], v[6:7]
.LBB572_30:
	flat_store_dwordx4 v[4:5], v[0:3]
	s_endpgm
.LBB572_31:
.LBB572_32:
	s_endpgm
	.section	.rodata,"a",@progbits
	.p2align	6, 0x0
	.amdhsa_kernel _ZL29rocblas_internal_gemmt_kernelIlLi16ELi32ELi8ELc84ELc67ELc76ELb0ELb1E19rocblas_complex_numIdES1_PKPKS1_PKPS1_EviT_T9_T10_S9_lSB_S9_lSA_T11_S9_li
		.amdhsa_group_segment_fixed_size 8192
		.amdhsa_private_segment_fixed_size 0
		.amdhsa_kernarg_size 124
		.amdhsa_user_sgpr_count 6
		.amdhsa_user_sgpr_private_segment_buffer 1
		.amdhsa_user_sgpr_dispatch_ptr 0
		.amdhsa_user_sgpr_queue_ptr 0
		.amdhsa_user_sgpr_kernarg_segment_ptr 1
		.amdhsa_user_sgpr_dispatch_id 0
		.amdhsa_user_sgpr_flat_scratch_init 0
		.amdhsa_user_sgpr_private_segment_size 0
		.amdhsa_wavefront_size32 1
		.amdhsa_uses_dynamic_stack 0
		.amdhsa_system_sgpr_private_segment_wavefront_offset 0
		.amdhsa_system_sgpr_workgroup_id_x 1
		.amdhsa_system_sgpr_workgroup_id_y 1
		.amdhsa_system_sgpr_workgroup_id_z 1
		.amdhsa_system_sgpr_workgroup_info 0
		.amdhsa_system_vgpr_workitem_id 1
		.amdhsa_next_free_vgpr 120
		.amdhsa_next_free_sgpr 44
		.amdhsa_reserve_vcc 1
		.amdhsa_reserve_flat_scratch 0
		.amdhsa_float_round_mode_32 0
		.amdhsa_float_round_mode_16_64 0
		.amdhsa_float_denorm_mode_32 3
		.amdhsa_float_denorm_mode_16_64 3
		.amdhsa_dx10_clamp 1
		.amdhsa_ieee_mode 1
		.amdhsa_fp16_overflow 0
		.amdhsa_workgroup_processor_mode 1
		.amdhsa_memory_ordered 1
		.amdhsa_forward_progress 1
		.amdhsa_shared_vgpr_count 0
		.amdhsa_exception_fp_ieee_invalid_op 0
		.amdhsa_exception_fp_denorm_src 0
		.amdhsa_exception_fp_ieee_div_zero 0
		.amdhsa_exception_fp_ieee_overflow 0
		.amdhsa_exception_fp_ieee_underflow 0
		.amdhsa_exception_fp_ieee_inexact 0
		.amdhsa_exception_int_div_zero 0
	.end_amdhsa_kernel
	.section	.text._ZL29rocblas_internal_gemmt_kernelIlLi16ELi32ELi8ELc84ELc67ELc76ELb0ELb1E19rocblas_complex_numIdES1_PKPKS1_PKPS1_EviT_T9_T10_S9_lSB_S9_lSA_T11_S9_li,"axG",@progbits,_ZL29rocblas_internal_gemmt_kernelIlLi16ELi32ELi8ELc84ELc67ELc76ELb0ELb1E19rocblas_complex_numIdES1_PKPKS1_PKPS1_EviT_T9_T10_S9_lSB_S9_lSA_T11_S9_li,comdat
.Lfunc_end572:
	.size	_ZL29rocblas_internal_gemmt_kernelIlLi16ELi32ELi8ELc84ELc67ELc76ELb0ELb1E19rocblas_complex_numIdES1_PKPKS1_PKPS1_EviT_T9_T10_S9_lSB_S9_lSA_T11_S9_li, .Lfunc_end572-_ZL29rocblas_internal_gemmt_kernelIlLi16ELi32ELi8ELc84ELc67ELc76ELb0ELb1E19rocblas_complex_numIdES1_PKPKS1_PKPS1_EviT_T9_T10_S9_lSB_S9_lSA_T11_S9_li
                                        ; -- End function
	.set _ZL29rocblas_internal_gemmt_kernelIlLi16ELi32ELi8ELc84ELc67ELc76ELb0ELb1E19rocblas_complex_numIdES1_PKPKS1_PKPS1_EviT_T9_T10_S9_lSB_S9_lSA_T11_S9_li.num_vgpr, 120
	.set _ZL29rocblas_internal_gemmt_kernelIlLi16ELi32ELi8ELc84ELc67ELc76ELb0ELb1E19rocblas_complex_numIdES1_PKPKS1_PKPS1_EviT_T9_T10_S9_lSB_S9_lSA_T11_S9_li.num_agpr, 0
	.set _ZL29rocblas_internal_gemmt_kernelIlLi16ELi32ELi8ELc84ELc67ELc76ELb0ELb1E19rocblas_complex_numIdES1_PKPKS1_PKPS1_EviT_T9_T10_S9_lSB_S9_lSA_T11_S9_li.numbered_sgpr, 44
	.set _ZL29rocblas_internal_gemmt_kernelIlLi16ELi32ELi8ELc84ELc67ELc76ELb0ELb1E19rocblas_complex_numIdES1_PKPKS1_PKPS1_EviT_T9_T10_S9_lSB_S9_lSA_T11_S9_li.num_named_barrier, 0
	.set _ZL29rocblas_internal_gemmt_kernelIlLi16ELi32ELi8ELc84ELc67ELc76ELb0ELb1E19rocblas_complex_numIdES1_PKPKS1_PKPS1_EviT_T9_T10_S9_lSB_S9_lSA_T11_S9_li.private_seg_size, 0
	.set _ZL29rocblas_internal_gemmt_kernelIlLi16ELi32ELi8ELc84ELc67ELc76ELb0ELb1E19rocblas_complex_numIdES1_PKPKS1_PKPS1_EviT_T9_T10_S9_lSB_S9_lSA_T11_S9_li.uses_vcc, 1
	.set _ZL29rocblas_internal_gemmt_kernelIlLi16ELi32ELi8ELc84ELc67ELc76ELb0ELb1E19rocblas_complex_numIdES1_PKPKS1_PKPS1_EviT_T9_T10_S9_lSB_S9_lSA_T11_S9_li.uses_flat_scratch, 0
	.set _ZL29rocblas_internal_gemmt_kernelIlLi16ELi32ELi8ELc84ELc67ELc76ELb0ELb1E19rocblas_complex_numIdES1_PKPKS1_PKPS1_EviT_T9_T10_S9_lSB_S9_lSA_T11_S9_li.has_dyn_sized_stack, 0
	.set _ZL29rocblas_internal_gemmt_kernelIlLi16ELi32ELi8ELc84ELc67ELc76ELb0ELb1E19rocblas_complex_numIdES1_PKPKS1_PKPS1_EviT_T9_T10_S9_lSB_S9_lSA_T11_S9_li.has_recursion, 0
	.set _ZL29rocblas_internal_gemmt_kernelIlLi16ELi32ELi8ELc84ELc67ELc76ELb0ELb1E19rocblas_complex_numIdES1_PKPKS1_PKPS1_EviT_T9_T10_S9_lSB_S9_lSA_T11_S9_li.has_indirect_call, 0
	.section	.AMDGPU.csdata,"",@progbits
; Kernel info:
; codeLenInByte = 3624
; TotalNumSgprs: 46
; NumVgprs: 120
; ScratchSize: 0
; MemoryBound: 1
; FloatMode: 240
; IeeeMode: 1
; LDSByteSize: 8192 bytes/workgroup (compile time only)
; SGPRBlocks: 0
; VGPRBlocks: 14
; NumSGPRsForWavesPerEU: 46
; NumVGPRsForWavesPerEU: 120
; Occupancy: 8
; WaveLimiterHint : 1
; COMPUTE_PGM_RSRC2:SCRATCH_EN: 0
; COMPUTE_PGM_RSRC2:USER_SGPR: 6
; COMPUTE_PGM_RSRC2:TRAP_HANDLER: 0
; COMPUTE_PGM_RSRC2:TGID_X_EN: 1
; COMPUTE_PGM_RSRC2:TGID_Y_EN: 1
; COMPUTE_PGM_RSRC2:TGID_Z_EN: 1
; COMPUTE_PGM_RSRC2:TIDIG_COMP_CNT: 1
	.section	.text._ZL29rocblas_internal_gemmt_kernelIlLi16ELi32ELi8ELc67ELc78ELc76ELb1ELb0E19rocblas_complex_numIdES1_PKPKS1_PKPS1_EviT_T9_T10_S9_lSB_S9_lSA_T11_S9_li,"axG",@progbits,_ZL29rocblas_internal_gemmt_kernelIlLi16ELi32ELi8ELc67ELc78ELc76ELb1ELb0E19rocblas_complex_numIdES1_PKPKS1_PKPS1_EviT_T9_T10_S9_lSB_S9_lSA_T11_S9_li,comdat
	.globl	_ZL29rocblas_internal_gemmt_kernelIlLi16ELi32ELi8ELc67ELc78ELc76ELb1ELb0E19rocblas_complex_numIdES1_PKPKS1_PKPS1_EviT_T9_T10_S9_lSB_S9_lSA_T11_S9_li ; -- Begin function _ZL29rocblas_internal_gemmt_kernelIlLi16ELi32ELi8ELc67ELc78ELc76ELb1ELb0E19rocblas_complex_numIdES1_PKPKS1_PKPS1_EviT_T9_T10_S9_lSB_S9_lSA_T11_S9_li
	.p2align	8
	.type	_ZL29rocblas_internal_gemmt_kernelIlLi16ELi32ELi8ELc67ELc78ELc76ELb1ELb0E19rocblas_complex_numIdES1_PKPKS1_PKPS1_EviT_T9_T10_S9_lSB_S9_lSA_T11_S9_li,@function
_ZL29rocblas_internal_gemmt_kernelIlLi16ELi32ELi8ELc67ELc78ELc76ELb1ELb0E19rocblas_complex_numIdES1_PKPKS1_PKPS1_EviT_T9_T10_S9_lSB_S9_lSA_T11_S9_li: ; @_ZL29rocblas_internal_gemmt_kernelIlLi16ELi32ELi8ELc67ELc78ELc76ELb1ELb0E19rocblas_complex_numIdES1_PKPKS1_PKPS1_EviT_T9_T10_S9_lSB_S9_lSA_T11_S9_li
; %bb.0:
	s_clause 0x1
	s_load_dwordx8 s[36:43], s[4:5], 0x48
	s_load_dwordx16 s[12:27], s[4:5], 0x8
	s_waitcnt lgkmcnt(0)
	v_cmp_eq_f64_e64 s0, s[38:39], 1.0
	v_cmp_eq_f64_e64 s29, s[40:41], 0
	s_and_b32 s0, s0, s29
	s_andn2_b32 vcc_lo, exec_lo, s0
	s_mov_b32 s0, -1
	s_cbranch_vccnz .LBB573_3
; %bb.1:
	s_cmp_lg_u64 s[12:13], 0
	s_cbranch_scc0 .LBB573_31
; %bb.2:
	v_cmp_neq_f64_e64 s0, s[14:15], 0
	v_cmp_neq_f64_e64 s1, s[16:17], 0
	s_or_b32 s0, s0, s1
.LBB573_3:
	s_and_b32 vcc_lo, exec_lo, s0
	s_cbranch_vccz .LBB573_32
; %bb.4:
	v_cmp_eq_f64_e64 s30, s[14:15], 0
	v_cmp_eq_f64_e64 s31, s[16:17], 0
	s_mov_b32 s9, 0
	v_mov_b32_e32 v20, 0
	s_lshl_b64 s[0:1], s[8:9], 3
	v_mov_b32_e32 v22, 0
	s_add_u32 s2, s42, s0
	s_addc_u32 s3, s43, s1
	s_clause 0x1
	s_load_dwordx4 s[8:11], s[4:5], 0x68
	s_load_dword s28, s[4:5], 0x0
	s_load_dwordx2 s[2:3], s[2:3], 0x0
	v_cmp_lt_i64_e64 s4, s[12:13], 1
	v_mov_b32_e32 v18, 0
	v_mov_b32_e32 v16, 0
	;; [unrolled: 1-line block ×13, first 2 shown]
	s_and_b32 s5, s30, s31
	v_mov_b32_e32 v9, 0
	s_or_b32 s4, s5, s4
	s_lshl_b32 s6, s6, 5
	s_and_b32 vcc_lo, exec_lo, s4
	s_lshl_b32 s7, s7, 5
	s_cbranch_vccnz .LBB573_15
; %bb.5:
	s_add_u32 s4, s24, s0
	s_addc_u32 s5, s25, s1
	s_lshl_b64 s[24:25], s[36:37], 4
	s_load_dwordx2 s[4:5], s[4:5], 0x0
	v_lshl_add_u32 v4, v1, 4, v0
	v_and_b32_e32 v24, 7, v0
	v_mov_b32_e32 v8, 0
	v_mov_b32_e32 v10, 0
	;; [unrolled: 1-line block ×3, first 2 shown]
	v_lshrrev_b32_e32 v6, 3, v4
	v_and_b32_e32 v5, 31, v4
	v_lshlrev_b32_e32 v31, 4, v24
	v_mov_b32_e32 v14, 0
	v_mov_b32_e32 v16, 0
	v_add_nc_u32_e32 v7, s7, v6
	v_or_b32_e32 v28, s6, v5
	v_lshlrev_b32_e32 v32, 4, v5
	v_lshl_or_b32 v6, v6, 7, v31
	v_mov_b32_e32 v18, 0
	v_ashrrev_i32_e32 v27, 31, v7
	v_mul_lo_u32 v29, s27, v7
	v_mad_u64_u32 v[2:3], null, s26, v7, 0
	s_waitcnt lgkmcnt(0)
	s_add_u32 s24, s4, s24
	s_addc_u32 s25, s5, s25
	s_add_u32 s0, s18, s0
	s_addc_u32 s1, s19, s1
	v_mul_lo_u32 v30, s26, v27
	s_load_dwordx2 s[0:1], s[0:1], 0x0
	v_lshrrev_b32_e32 v27, 5, v4
	v_mul_lo_u32 v33, s21, v28
	v_mad_u64_u32 v[4:5], null, s20, v28, 0
	s_lshl_b64 s[4:5], s[22:23], 4
	v_cmp_gt_i32_e32 vcc_lo, s28, v7
	v_add3_u32 v3, v3, v30, v29
	v_mov_b32_e32 v22, 0
	v_mov_b32_e32 v20, 0
	v_lshlrev_b32_e32 v25, 4, v0
	v_lshl_add_u32 v26, v1, 7, 0x1000
	v_lshlrev_b64 v[2:3], 4, v[2:3]
	v_mov_b32_e32 v9, 0
	v_mov_b32_e32 v11, 0
	;; [unrolled: 1-line block ×7, first 2 shown]
	s_waitcnt lgkmcnt(0)
	s_add_u32 s4, s0, s4
	s_addc_u32 s5, s1, s5
	s_ashr_i32 s0, s6, 31
	v_mov_b32_e32 v21, 0
	s_mul_i32 s1, s20, s0
	v_cmp_gt_i32_e64 s0, s28, v28
	v_add3_u32 v5, v5, s1, v33
	v_add_co_u32 v30, s1, s24, v2
	v_lshl_or_b32 v28, v27, 9, v32
	v_add_co_ci_u32_e64 v31, null, s25, v3, s1
	v_lshlrev_b64 v[4:5], 4, v[4:5]
	v_add_nc_u32_e32 v29, 0x1000, v6
	v_mov_b32_e32 v3, 0
	v_add_co_u32 v32, s1, s4, v4
	v_add_co_ci_u32_e64 v33, null, s5, v5, s1
	s_mov_b64 s[4:5], 0
	s_xor_b32 s1, vcc_lo, -1
	s_branch .LBB573_7
.LBB573_6:                              ;   in Loop: Header=BB573_7 Depth=1
	s_or_b32 exec_lo, exec_lo, s18
	s_waitcnt lgkmcnt(0)
	s_barrier
	buffer_gl0_inv
	ds_read_b128 v[4:7], v26
	ds_read_b128 v[34:37], v25
	ds_read_b128 v[38:41], v25 offset:256
	ds_read_b128 v[42:45], v26 offset:2048
	;; [unrolled: 1-line block ×12, first 2 shown]
	s_add_u32 s4, s4, 8
	s_addc_u32 s5, s5, 0
	v_cmp_gt_i64_e64 s18, s[12:13], s[4:5]
	s_and_b32 vcc_lo, exec_lo, s18
	s_waitcnt lgkmcnt(12)
	v_mul_f64 v[86:87], v[6:7], v[36:37]
	v_mul_f64 v[88:89], v[4:5], v[36:37]
	s_waitcnt lgkmcnt(11)
	v_mul_f64 v[90:91], v[6:7], v[40:41]
	v_mul_f64 v[92:93], v[4:5], v[40:41]
	;; [unrolled: 3-line block ×3, first 2 shown]
	v_mul_f64 v[96:97], v[44:45], v[40:41]
	v_mul_f64 v[40:41], v[42:43], v[40:41]
	s_waitcnt lgkmcnt(8)
	v_mul_f64 v[98:99], v[48:49], v[52:53]
	v_mul_f64 v[100:101], v[46:47], v[52:53]
	s_waitcnt lgkmcnt(7)
	;; [unrolled: 3-line block ×3, first 2 shown]
	v_mul_f64 v[106:107], v[60:61], v[52:53]
	v_mul_f64 v[52:53], v[58:59], v[52:53]
	;; [unrolled: 1-line block ×4, first 2 shown]
	s_waitcnt lgkmcnt(3)
	v_mul_f64 v[112:113], v[72:73], v[64:65]
	v_mul_f64 v[116:117], v[70:71], v[64:65]
	;; [unrolled: 1-line block ×4, first 2 shown]
	s_waitcnt lgkmcnt(1)
	v_mul_f64 v[122:123], v[80:81], v[64:65]
	v_mul_f64 v[64:65], v[78:79], v[64:65]
	v_fma_f64 v[86:87], v[4:5], v[34:35], -v[86:87]
	v_fma_f64 v[88:89], v[6:7], v[34:35], v[88:89]
	v_fma_f64 v[90:91], v[4:5], v[38:39], -v[90:91]
	v_fma_f64 v[92:93], v[6:7], v[38:39], v[92:93]
	;; [unrolled: 2-line block ×8, first 2 shown]
	ds_read_b128 v[4:7], v25 offset:1536
	ds_read_b128 v[34:37], v25 offset:1792
	;; [unrolled: 1-line block ×6, first 2 shown]
	v_add_f64 v[54:55], v[20:21], v[86:87]
	v_add_f64 v[22:23], v[88:89], v[22:23]
	v_add_f64 v[56:57], v[18:19], v[90:91]
	v_mul_f64 v[86:87], v[80:81], v[68:69]
	v_mul_f64 v[68:69], v[78:79], v[68:69]
	v_add_f64 v[88:89], v[92:93], v[16:17]
	v_add_f64 v[92:93], v[14:15], v[94:95]
	;; [unrolled: 1-line block ×5, first 2 shown]
	v_fma_f64 v[90:91], v[70:71], v[62:63], -v[112:113]
	v_fma_f64 v[94:95], v[72:73], v[62:63], v[116:117]
	v_fma_f64 v[70:71], v[70:71], v[66:67], -v[118:119]
	v_fma_f64 v[72:73], v[72:73], v[66:67], v[120:121]
	s_waitcnt lgkmcnt(5)
	v_mul_f64 v[108:109], v[76:77], v[6:7]
	v_mul_f64 v[110:111], v[74:75], v[6:7]
	v_fma_f64 v[112:113], v[78:79], v[62:63], -v[122:123]
	v_fma_f64 v[62:63], v[80:81], v[62:63], v[64:65]
	s_waitcnt lgkmcnt(4)
	v_mul_f64 v[64:65], v[76:77], v[36:37]
	v_mul_f64 v[116:117], v[74:75], v[36:37]
	ds_read_b128 v[14:17], v25 offset:2560
	ds_read_b128 v[18:21], v25 offset:2816
	v_add_f64 v[98:99], v[54:55], v[98:99]
	v_add_f64 v[22:23], v[100:101], v[22:23]
	;; [unrolled: 1-line block ×3, first 2 shown]
	v_mul_f64 v[102:103], v[84:85], v[6:7]
	v_mul_f64 v[6:7], v[82:83], v[6:7]
	v_add_f64 v[88:89], v[104:105], v[88:89]
	v_add_f64 v[92:93], v[92:93], v[106:107]
	v_fma_f64 v[78:79], v[78:79], v[66:67], -v[86:87]
	v_fma_f64 v[66:67], v[80:81], v[66:67], v[68:69]
	v_mul_f64 v[68:69], v[84:85], v[36:37]
	v_mul_f64 v[36:37], v[82:83], v[36:37]
	v_add_f64 v[12:13], v[124:125], v[12:13]
	v_add_f64 v[58:59], v[96:97], v[58:59]
	;; [unrolled: 1-line block ×3, first 2 shown]
	ds_read_b128 v[8:11], v26 offset:2112
	ds_read_b128 v[54:57], v26 offset:2128
	s_waitcnt lgkmcnt(5)
	v_mul_f64 v[80:81], v[48:49], v[40:41]
	v_mul_f64 v[86:87], v[46:47], v[40:41]
	;; [unrolled: 1-line block ×4, first 2 shown]
	v_fma_f64 v[106:107], v[74:75], v[4:5], -v[108:109]
	v_fma_f64 v[108:109], v[76:77], v[4:5], v[110:111]
	v_fma_f64 v[64:65], v[74:75], v[34:35], -v[64:65]
	v_fma_f64 v[74:75], v[76:77], v[34:35], v[116:117]
	v_add_f64 v[90:91], v[98:99], v[90:91]
	v_add_f64 v[22:23], v[94:95], v[22:23]
	;; [unrolled: 1-line block ×3, first 2 shown]
	v_fma_f64 v[94:95], v[82:83], v[4:5], -v[102:103]
	v_add_f64 v[72:73], v[72:73], v[88:89]
	v_add_f64 v[88:89], v[92:93], v[112:113]
	v_fma_f64 v[4:5], v[84:85], v[4:5], v[6:7]
	s_waitcnt lgkmcnt(3)
	v_mul_f64 v[98:99], v[52:53], v[16:17]
	v_fma_f64 v[6:7], v[82:83], v[34:35], -v[68:69]
	v_fma_f64 v[68:69], v[84:85], v[34:35], v[36:37]
	s_waitcnt lgkmcnt(1)
	v_mul_f64 v[76:77], v[10:11], v[40:41]
	v_mul_f64 v[40:41], v[8:9], v[40:41]
	;; [unrolled: 1-line block ×4, first 2 shown]
	v_add_f64 v[12:13], v[62:63], v[12:13]
	v_add_f64 v[58:59], v[58:59], v[78:79]
	;; [unrolled: 1-line block ×3, first 2 shown]
	v_mul_f64 v[100:101], v[50:51], v[16:17]
	v_mul_f64 v[62:63], v[52:53], v[20:21]
	v_fma_f64 v[78:79], v[46:47], v[38:39], -v[80:81]
	v_fma_f64 v[80:81], v[48:49], v[38:39], v[86:87]
	v_fma_f64 v[46:47], v[46:47], v[42:43], -v[104:105]
	v_fma_f64 v[48:49], v[48:49], v[42:43], v[96:97]
	v_add_f64 v[66:67], v[90:91], v[106:107]
	v_add_f64 v[82:83], v[108:109], v[22:23]
	;; [unrolled: 1-line block ×5, first 2 shown]
	s_waitcnt lgkmcnt(0)
	v_mul_f64 v[84:85], v[56:57], v[16:17]
	v_mul_f64 v[16:17], v[54:55], v[16:17]
	;; [unrolled: 1-line block ×4, first 2 shown]
	v_fma_f64 v[70:71], v[8:9], v[38:39], -v[76:77]
	v_mul_f64 v[76:77], v[50:51], v[20:21]
	v_fma_f64 v[90:91], v[10:11], v[38:39], v[40:41]
	v_fma_f64 v[8:9], v[8:9], v[42:43], -v[92:93]
	v_add_f64 v[12:13], v[4:5], v[12:13]
	v_add_f64 v[58:59], v[58:59], v[6:7]
	v_fma_f64 v[42:43], v[10:11], v[42:43], v[44:45]
	v_add_f64 v[44:45], v[68:69], v[60:61]
	ds_read_b128 v[4:7], v26 offset:96
	ds_read_b128 v[20:23], v25 offset:3072
	;; [unrolled: 1-line block ×4, first 2 shown]
	v_add_f64 v[60:61], v[66:67], v[78:79]
	v_add_f64 v[66:67], v[80:81], v[82:83]
	v_add_f64 v[46:47], v[64:65], v[46:47]
	v_fma_f64 v[64:65], v[50:51], v[14:15], -v[98:99]
	v_add_f64 v[48:49], v[48:49], v[72:73]
	v_fma_f64 v[50:51], v[50:51], v[18:19], -v[62:63]
	v_fma_f64 v[62:63], v[54:55], v[14:15], -v[84:85]
	v_fma_f64 v[72:73], v[56:57], v[14:15], v[16:17]
	v_fma_f64 v[54:55], v[54:55], v[18:19], -v[86:87]
	v_add_f64 v[68:69], v[74:75], v[70:71]
	v_fma_f64 v[70:71], v[52:53], v[14:15], v[100:101]
	v_fma_f64 v[52:53], v[52:53], v[18:19], v[76:77]
	;; [unrolled: 1-line block ×3, first 2 shown]
	v_add_f64 v[74:75], v[90:91], v[12:13]
	v_add_f64 v[58:59], v[58:59], v[8:9]
	s_waitcnt lgkmcnt(2)
	v_mul_f64 v[76:77], v[6:7], v[22:23]
	v_mul_f64 v[78:79], v[4:5], v[22:23]
	s_waitcnt lgkmcnt(1)
	v_mul_f64 v[80:81], v[6:7], v[36:37]
	v_mul_f64 v[82:83], v[4:5], v[36:37]
	;; [unrolled: 3-line block ×3, first 2 shown]
	v_mul_f64 v[86:87], v[40:41], v[36:37]
	v_add_f64 v[88:89], v[42:43], v[44:45]
	v_mul_f64 v[36:37], v[38:39], v[36:37]
	ds_read_b128 v[8:11], v26 offset:112
	ds_read_b128 v[12:15], v26 offset:2160
	;; [unrolled: 1-line block ×4, first 2 shown]
	v_add_f64 v[60:61], v[60:61], v[64:65]
	v_add_f64 v[46:47], v[46:47], v[50:51]
	s_waitcnt lgkmcnt(0)
	s_barrier
	v_add_f64 v[50:51], v[68:69], v[62:63]
	v_add_f64 v[64:65], v[70:71], v[66:67]
	;; [unrolled: 1-line block ×3, first 2 shown]
	buffer_gl0_inv
	v_add_f64 v[52:53], v[72:73], v[74:75]
	v_add_f64 v[54:55], v[58:59], v[54:55]
	v_fma_f64 v[58:59], v[4:5], v[20:21], -v[76:77]
	v_fma_f64 v[62:63], v[6:7], v[20:21], v[78:79]
	v_fma_f64 v[4:5], v[4:5], v[34:35], -v[80:81]
	v_fma_f64 v[6:7], v[6:7], v[34:35], v[82:83]
	;; [unrolled: 2-line block ×3, first 2 shown]
	v_fma_f64 v[22:23], v[38:39], v[34:35], -v[86:87]
	v_add_f64 v[38:39], v[56:57], v[88:89]
	v_fma_f64 v[34:35], v[40:41], v[34:35], v[36:37]
	v_mul_f64 v[36:37], v[10:11], v[18:19]
	v_mul_f64 v[40:41], v[8:9], v[18:19]
	;; [unrolled: 1-line block ×8, first 2 shown]
	v_add_f64 v[58:59], v[60:61], v[58:59]
	v_add_f64 v[60:61], v[62:63], v[64:65]
	;; [unrolled: 1-line block ×8, first 2 shown]
	v_fma_f64 v[20:21], v[8:9], v[16:17], -v[36:37]
	v_fma_f64 v[22:23], v[10:11], v[16:17], v[40:41]
	v_fma_f64 v[8:9], v[8:9], v[42:43], -v[56:57]
	v_fma_f64 v[10:11], v[10:11], v[42:43], v[68:69]
	;; [unrolled: 2-line block ×4, first 2 shown]
	v_add_f64 v[20:21], v[58:59], v[20:21]
	v_add_f64 v[22:23], v[22:23], v[60:61]
	;; [unrolled: 1-line block ×8, first 2 shown]
	s_cbranch_vccz .LBB573_15
.LBB573_7:                              ; =>This Inner Loop Header: Depth=1
	v_mov_b32_e32 v4, 0
	v_mov_b32_e32 v6, 0
	v_mov_b32_e32 v5, 0
	v_mov_b32_e32 v7, 0
	s_and_saveexec_b32 s18, s0
	s_cbranch_execz .LBB573_11
; %bb.8:                                ;   in Loop: Header=BB573_7 Depth=1
	v_mov_b32_e32 v6, 0
	v_mov_b32_e32 v4, 0
	v_add_nc_u32_e32 v2, s4, v27
	v_mov_b32_e32 v7, 0
	v_mov_b32_e32 v5, 0
	s_mov_b32 s19, exec_lo
	v_cmpx_gt_u64_e64 s[12:13], v[2:3]
	s_cbranch_execz .LBB573_10
; %bb.9:                                ;   in Loop: Header=BB573_7 Depth=1
	v_lshlrev_b64 v[4:5], 4, v[2:3]
	v_add_co_u32 v4, vcc_lo, v32, v4
	v_add_co_ci_u32_e64 v5, null, v33, v5, vcc_lo
	flat_load_dwordx4 v[4:7], v[4:5]
	s_waitcnt vmcnt(0) lgkmcnt(0)
	v_xor_b32_e32 v7, 0x80000000, v7
.LBB573_10:                             ;   in Loop: Header=BB573_7 Depth=1
	s_or_b32 exec_lo, exec_lo, s19
.LBB573_11:                             ;   in Loop: Header=BB573_7 Depth=1
	s_or_b32 exec_lo, exec_lo, s18
	v_add_nc_u32_e32 v2, s4, v24
	ds_write_b128 v28, v[4:7]
	v_cmp_le_u64_e32 vcc_lo, s[12:13], v[2:3]
	s_or_b32 s18, vcc_lo, s1
	s_and_saveexec_b32 s19, s18
	s_xor_b32 s18, exec_lo, s19
	s_cbranch_execz .LBB573_13
; %bb.12:                               ;   in Loop: Header=BB573_7 Depth=1
	v_mov_b32_e32 v2, v3
	v_mov_b32_e32 v4, v3
	;; [unrolled: 1-line block ×3, first 2 shown]
	ds_write_b128 v29, v[2:5]
.LBB573_13:                             ;   in Loop: Header=BB573_7 Depth=1
	s_andn2_saveexec_b32 s18, s18
	s_cbranch_execz .LBB573_6
; %bb.14:                               ;   in Loop: Header=BB573_7 Depth=1
	v_lshlrev_b64 v[4:5], 4, v[2:3]
	v_add_co_u32 v4, vcc_lo, v30, v4
	v_add_co_ci_u32_e64 v5, null, v31, v5, vcc_lo
	flat_load_dwordx4 v[4:7], v[4:5]
	s_waitcnt vmcnt(0) lgkmcnt(0)
	ds_write2_b64 v29, v[4:5], v[6:7] offset1:1
	s_branch .LBB573_6
.LBB573_15:
	v_add_nc_u32_e32 v25, s7, v1
	v_cmp_neq_f64_e64 s5, s[38:39], 0
	s_waitcnt lgkmcnt(0)
	s_lshl_b64 s[0:1], s[10:11], 4
	s_add_u32 s4, s2, s0
	v_ashrrev_i32_e32 v3, 31, v25
	v_mul_lo_u32 v4, s9, v25
	v_mad_u64_u32 v[1:2], null, s8, v25, 0
	s_addc_u32 s3, s3, s1
	v_mul_lo_u32 v3, s8, v3
	s_xor_b32 s2, s29, -1
	v_add3_u32 v2, v2, v3, v4
	v_add_nc_u32_e32 v4, s6, v0
	s_or_b32 s2, s5, s2
	v_lshlrev_b64 v[0:1], 4, v[1:2]
	v_cmp_le_i32_e32 vcc_lo, v25, v4
	v_cmp_gt_i32_e64 s0, s28, v4
	v_ashrrev_i32_e32 v5, 31, v4
	v_cndmask_b32_e64 v24, 0, 1, s2
	v_add_co_u32 v26, s1, s4, v0
	v_add_co_ci_u32_e64 v27, null, s3, v1, s1
	s_and_b32 s5, vcc_lo, s0
	s_and_saveexec_b32 s1, s5
	s_cbranch_execz .LBB573_19
; %bb.16:
	v_mul_f64 v[0:1], s[16:17], v[22:23]
	v_mul_f64 v[2:3], s[14:15], v[22:23]
	v_lshlrev_b64 v[6:7], 4, v[4:5]
	v_add_co_u32 v6, vcc_lo, v26, v6
	v_add_co_ci_u32_e64 v7, null, v27, v7, vcc_lo
	s_andn2_b32 vcc_lo, exec_lo, s2
	v_fma_f64 v[0:1], s[14:15], v[20:21], -v[0:1]
	v_fma_f64 v[2:3], s[16:17], v[20:21], v[2:3]
	s_cbranch_vccnz .LBB573_18
; %bb.17:
	flat_load_dwordx4 v[20:23], v[6:7]
	s_waitcnt vmcnt(0) lgkmcnt(0)
	v_mul_f64 v[28:29], s[40:41], v[22:23]
	v_mul_f64 v[22:23], s[38:39], v[22:23]
	v_fma_f64 v[28:29], s[38:39], v[20:21], -v[28:29]
	v_fma_f64 v[20:21], s[40:41], v[20:21], v[22:23]
	v_add_f64 v[0:1], v[0:1], v[28:29]
	v_add_f64 v[2:3], v[2:3], v[20:21]
.LBB573_18:
	flat_store_dwordx4 v[6:7], v[0:3]
.LBB573_19:
	s_or_b32 exec_lo, exec_lo, s1
	v_add_nc_u32_e32 v6, 16, v4
	v_cmp_le_i32_e32 vcc_lo, v25, v6
	v_cmp_gt_i32_e64 s1, s28, v6
	v_ashrrev_i32_e32 v7, 31, v6
	s_and_b32 s2, vcc_lo, s1
	s_and_saveexec_b32 s5, s2
	s_cbranch_execz .LBB573_23
; %bb.20:
	v_mul_f64 v[0:1], s[16:17], v[16:17]
	v_mul_f64 v[2:3], s[14:15], v[16:17]
	v_lshlrev_b64 v[16:17], 4, v[6:7]
	v_cmp_ne_u32_e32 vcc_lo, 1, v24
	s_and_b32 vcc_lo, exec_lo, vcc_lo
	v_add_co_u32 v16, s2, v26, v16
	v_add_co_ci_u32_e64 v17, null, v27, v17, s2
	v_fma_f64 v[0:1], s[14:15], v[18:19], -v[0:1]
	v_fma_f64 v[2:3], s[16:17], v[18:19], v[2:3]
	s_cbranch_vccnz .LBB573_22
; %bb.21:
	flat_load_dwordx4 v[18:21], v[16:17]
	s_waitcnt vmcnt(0) lgkmcnt(0)
	v_mul_f64 v[22:23], s[40:41], v[20:21]
	v_mul_f64 v[20:21], s[38:39], v[20:21]
	v_fma_f64 v[22:23], s[38:39], v[18:19], -v[22:23]
	v_fma_f64 v[18:19], s[40:41], v[18:19], v[20:21]
	v_add_f64 v[0:1], v[0:1], v[22:23]
	v_add_f64 v[2:3], v[2:3], v[18:19]
.LBB573_22:
	flat_store_dwordx4 v[16:17], v[0:3]
.LBB573_23:
	s_or_b32 exec_lo, exec_lo, s5
	v_add_nc_u32_e32 v18, 16, v25
	v_ashrrev_i32_e32 v2, 31, v18
	v_mul_lo_u32 v3, s9, v18
	v_mad_u64_u32 v[0:1], null, s8, v18, 0
	v_cmp_le_i32_e32 vcc_lo, v18, v4
	v_mul_lo_u32 v2, s8, v2
	s_and_b32 s0, vcc_lo, s0
	v_add3_u32 v1, v1, v2, v3
	v_lshlrev_b64 v[0:1], 4, v[0:1]
	v_add_co_u32 v16, s2, s4, v0
	v_add_co_ci_u32_e64 v17, null, s3, v1, s2
	s_and_saveexec_b32 s2, s0
	s_cbranch_execz .LBB573_27
; %bb.24:
	v_mul_f64 v[0:1], s[16:17], v[12:13]
	v_mul_f64 v[2:3], s[14:15], v[12:13]
	v_lshlrev_b64 v[4:5], 4, v[4:5]
	v_cmp_ne_u32_e32 vcc_lo, 1, v24
	s_and_b32 vcc_lo, exec_lo, vcc_lo
	v_add_co_u32 v4, s0, v16, v4
	v_add_co_ci_u32_e64 v5, null, v17, v5, s0
	v_fma_f64 v[0:1], s[14:15], v[14:15], -v[0:1]
	v_fma_f64 v[2:3], s[16:17], v[14:15], v[2:3]
	s_cbranch_vccnz .LBB573_26
; %bb.25:
	flat_load_dwordx4 v[12:15], v[4:5]
	s_waitcnt vmcnt(0) lgkmcnt(0)
	v_mul_f64 v[19:20], s[40:41], v[14:15]
	v_mul_f64 v[14:15], s[38:39], v[14:15]
	v_fma_f64 v[19:20], s[38:39], v[12:13], -v[19:20]
	v_fma_f64 v[12:13], s[40:41], v[12:13], v[14:15]
	v_add_f64 v[0:1], v[0:1], v[19:20]
	v_add_f64 v[2:3], v[2:3], v[12:13]
.LBB573_26:
	flat_store_dwordx4 v[4:5], v[0:3]
.LBB573_27:
	s_or_b32 exec_lo, exec_lo, s2
	v_cmp_le_i32_e32 vcc_lo, v18, v6
	s_and_b32 s0, vcc_lo, s1
	s_and_saveexec_b32 s1, s0
	s_cbranch_execz .LBB573_32
; %bb.28:
	v_mul_f64 v[0:1], s[16:17], v[8:9]
	v_mul_f64 v[2:3], s[14:15], v[8:9]
	v_lshlrev_b64 v[4:5], 4, v[6:7]
	v_cmp_ne_u32_e32 vcc_lo, 1, v24
	s_and_b32 vcc_lo, exec_lo, vcc_lo
	v_add_co_u32 v4, s0, v16, v4
	v_add_co_ci_u32_e64 v5, null, v17, v5, s0
	v_fma_f64 v[0:1], s[14:15], v[10:11], -v[0:1]
	v_fma_f64 v[2:3], s[16:17], v[10:11], v[2:3]
	s_cbranch_vccnz .LBB573_30
; %bb.29:
	flat_load_dwordx4 v[6:9], v[4:5]
	s_waitcnt vmcnt(0) lgkmcnt(0)
	v_mul_f64 v[10:11], s[40:41], v[8:9]
	v_mul_f64 v[8:9], s[38:39], v[8:9]
	v_fma_f64 v[10:11], s[38:39], v[6:7], -v[10:11]
	v_fma_f64 v[6:7], s[40:41], v[6:7], v[8:9]
	v_add_f64 v[0:1], v[0:1], v[10:11]
	v_add_f64 v[2:3], v[2:3], v[6:7]
.LBB573_30:
	flat_store_dwordx4 v[4:5], v[0:3]
	s_endpgm
.LBB573_31:
.LBB573_32:
	s_endpgm
	.section	.rodata,"a",@progbits
	.p2align	6, 0x0
	.amdhsa_kernel _ZL29rocblas_internal_gemmt_kernelIlLi16ELi32ELi8ELc67ELc78ELc76ELb1ELb0E19rocblas_complex_numIdES1_PKPKS1_PKPS1_EviT_T9_T10_S9_lSB_S9_lSA_T11_S9_li
		.amdhsa_group_segment_fixed_size 8192
		.amdhsa_private_segment_fixed_size 0
		.amdhsa_kernarg_size 124
		.amdhsa_user_sgpr_count 6
		.amdhsa_user_sgpr_private_segment_buffer 1
		.amdhsa_user_sgpr_dispatch_ptr 0
		.amdhsa_user_sgpr_queue_ptr 0
		.amdhsa_user_sgpr_kernarg_segment_ptr 1
		.amdhsa_user_sgpr_dispatch_id 0
		.amdhsa_user_sgpr_flat_scratch_init 0
		.amdhsa_user_sgpr_private_segment_size 0
		.amdhsa_wavefront_size32 1
		.amdhsa_uses_dynamic_stack 0
		.amdhsa_system_sgpr_private_segment_wavefront_offset 0
		.amdhsa_system_sgpr_workgroup_id_x 1
		.amdhsa_system_sgpr_workgroup_id_y 1
		.amdhsa_system_sgpr_workgroup_id_z 1
		.amdhsa_system_sgpr_workgroup_info 0
		.amdhsa_system_vgpr_workitem_id 1
		.amdhsa_next_free_vgpr 126
		.amdhsa_next_free_sgpr 44
		.amdhsa_reserve_vcc 1
		.amdhsa_reserve_flat_scratch 0
		.amdhsa_float_round_mode_32 0
		.amdhsa_float_round_mode_16_64 0
		.amdhsa_float_denorm_mode_32 3
		.amdhsa_float_denorm_mode_16_64 3
		.amdhsa_dx10_clamp 1
		.amdhsa_ieee_mode 1
		.amdhsa_fp16_overflow 0
		.amdhsa_workgroup_processor_mode 1
		.amdhsa_memory_ordered 1
		.amdhsa_forward_progress 1
		.amdhsa_shared_vgpr_count 0
		.amdhsa_exception_fp_ieee_invalid_op 0
		.amdhsa_exception_fp_denorm_src 0
		.amdhsa_exception_fp_ieee_div_zero 0
		.amdhsa_exception_fp_ieee_overflow 0
		.amdhsa_exception_fp_ieee_underflow 0
		.amdhsa_exception_fp_ieee_inexact 0
		.amdhsa_exception_int_div_zero 0
	.end_amdhsa_kernel
	.section	.text._ZL29rocblas_internal_gemmt_kernelIlLi16ELi32ELi8ELc67ELc78ELc76ELb1ELb0E19rocblas_complex_numIdES1_PKPKS1_PKPS1_EviT_T9_T10_S9_lSB_S9_lSA_T11_S9_li,"axG",@progbits,_ZL29rocblas_internal_gemmt_kernelIlLi16ELi32ELi8ELc67ELc78ELc76ELb1ELb0E19rocblas_complex_numIdES1_PKPKS1_PKPS1_EviT_T9_T10_S9_lSB_S9_lSA_T11_S9_li,comdat
.Lfunc_end573:
	.size	_ZL29rocblas_internal_gemmt_kernelIlLi16ELi32ELi8ELc67ELc78ELc76ELb1ELb0E19rocblas_complex_numIdES1_PKPKS1_PKPS1_EviT_T9_T10_S9_lSB_S9_lSA_T11_S9_li, .Lfunc_end573-_ZL29rocblas_internal_gemmt_kernelIlLi16ELi32ELi8ELc67ELc78ELc76ELb1ELb0E19rocblas_complex_numIdES1_PKPKS1_PKPS1_EviT_T9_T10_S9_lSB_S9_lSA_T11_S9_li
                                        ; -- End function
	.set _ZL29rocblas_internal_gemmt_kernelIlLi16ELi32ELi8ELc67ELc78ELc76ELb1ELb0E19rocblas_complex_numIdES1_PKPKS1_PKPS1_EviT_T9_T10_S9_lSB_S9_lSA_T11_S9_li.num_vgpr, 126
	.set _ZL29rocblas_internal_gemmt_kernelIlLi16ELi32ELi8ELc67ELc78ELc76ELb1ELb0E19rocblas_complex_numIdES1_PKPKS1_PKPS1_EviT_T9_T10_S9_lSB_S9_lSA_T11_S9_li.num_agpr, 0
	.set _ZL29rocblas_internal_gemmt_kernelIlLi16ELi32ELi8ELc67ELc78ELc76ELb1ELb0E19rocblas_complex_numIdES1_PKPKS1_PKPS1_EviT_T9_T10_S9_lSB_S9_lSA_T11_S9_li.numbered_sgpr, 44
	.set _ZL29rocblas_internal_gemmt_kernelIlLi16ELi32ELi8ELc67ELc78ELc76ELb1ELb0E19rocblas_complex_numIdES1_PKPKS1_PKPS1_EviT_T9_T10_S9_lSB_S9_lSA_T11_S9_li.num_named_barrier, 0
	.set _ZL29rocblas_internal_gemmt_kernelIlLi16ELi32ELi8ELc67ELc78ELc76ELb1ELb0E19rocblas_complex_numIdES1_PKPKS1_PKPS1_EviT_T9_T10_S9_lSB_S9_lSA_T11_S9_li.private_seg_size, 0
	.set _ZL29rocblas_internal_gemmt_kernelIlLi16ELi32ELi8ELc67ELc78ELc76ELb1ELb0E19rocblas_complex_numIdES1_PKPKS1_PKPS1_EviT_T9_T10_S9_lSB_S9_lSA_T11_S9_li.uses_vcc, 1
	.set _ZL29rocblas_internal_gemmt_kernelIlLi16ELi32ELi8ELc67ELc78ELc76ELb1ELb0E19rocblas_complex_numIdES1_PKPKS1_PKPS1_EviT_T9_T10_S9_lSB_S9_lSA_T11_S9_li.uses_flat_scratch, 0
	.set _ZL29rocblas_internal_gemmt_kernelIlLi16ELi32ELi8ELc67ELc78ELc76ELb1ELb0E19rocblas_complex_numIdES1_PKPKS1_PKPS1_EviT_T9_T10_S9_lSB_S9_lSA_T11_S9_li.has_dyn_sized_stack, 0
	.set _ZL29rocblas_internal_gemmt_kernelIlLi16ELi32ELi8ELc67ELc78ELc76ELb1ELb0E19rocblas_complex_numIdES1_PKPKS1_PKPS1_EviT_T9_T10_S9_lSB_S9_lSA_T11_S9_li.has_recursion, 0
	.set _ZL29rocblas_internal_gemmt_kernelIlLi16ELi32ELi8ELc67ELc78ELc76ELb1ELb0E19rocblas_complex_numIdES1_PKPKS1_PKPS1_EviT_T9_T10_S9_lSB_S9_lSA_T11_S9_li.has_indirect_call, 0
	.section	.AMDGPU.csdata,"",@progbits
; Kernel info:
; codeLenInByte = 3564
; TotalNumSgprs: 46
; NumVgprs: 126
; ScratchSize: 0
; MemoryBound: 1
; FloatMode: 240
; IeeeMode: 1
; LDSByteSize: 8192 bytes/workgroup (compile time only)
; SGPRBlocks: 0
; VGPRBlocks: 15
; NumSGPRsForWavesPerEU: 46
; NumVGPRsForWavesPerEU: 126
; Occupancy: 8
; WaveLimiterHint : 1
; COMPUTE_PGM_RSRC2:SCRATCH_EN: 0
; COMPUTE_PGM_RSRC2:USER_SGPR: 6
; COMPUTE_PGM_RSRC2:TRAP_HANDLER: 0
; COMPUTE_PGM_RSRC2:TGID_X_EN: 1
; COMPUTE_PGM_RSRC2:TGID_Y_EN: 1
; COMPUTE_PGM_RSRC2:TGID_Z_EN: 1
; COMPUTE_PGM_RSRC2:TIDIG_COMP_CNT: 1
	.section	.text._ZL29rocblas_internal_gemmt_kernelIlLi16ELi32ELi8ELc67ELc84ELc76ELb1ELb0E19rocblas_complex_numIdES1_PKPKS1_PKPS1_EviT_T9_T10_S9_lSB_S9_lSA_T11_S9_li,"axG",@progbits,_ZL29rocblas_internal_gemmt_kernelIlLi16ELi32ELi8ELc67ELc84ELc76ELb1ELb0E19rocblas_complex_numIdES1_PKPKS1_PKPS1_EviT_T9_T10_S9_lSB_S9_lSA_T11_S9_li,comdat
	.globl	_ZL29rocblas_internal_gemmt_kernelIlLi16ELi32ELi8ELc67ELc84ELc76ELb1ELb0E19rocblas_complex_numIdES1_PKPKS1_PKPS1_EviT_T9_T10_S9_lSB_S9_lSA_T11_S9_li ; -- Begin function _ZL29rocblas_internal_gemmt_kernelIlLi16ELi32ELi8ELc67ELc84ELc76ELb1ELb0E19rocblas_complex_numIdES1_PKPKS1_PKPS1_EviT_T9_T10_S9_lSB_S9_lSA_T11_S9_li
	.p2align	8
	.type	_ZL29rocblas_internal_gemmt_kernelIlLi16ELi32ELi8ELc67ELc84ELc76ELb1ELb0E19rocblas_complex_numIdES1_PKPKS1_PKPS1_EviT_T9_T10_S9_lSB_S9_lSA_T11_S9_li,@function
_ZL29rocblas_internal_gemmt_kernelIlLi16ELi32ELi8ELc67ELc84ELc76ELb1ELb0E19rocblas_complex_numIdES1_PKPKS1_PKPS1_EviT_T9_T10_S9_lSB_S9_lSA_T11_S9_li: ; @_ZL29rocblas_internal_gemmt_kernelIlLi16ELi32ELi8ELc67ELc84ELc76ELb1ELb0E19rocblas_complex_numIdES1_PKPKS1_PKPS1_EviT_T9_T10_S9_lSB_S9_lSA_T11_S9_li
; %bb.0:
	s_clause 0x1
	s_load_dwordx8 s[36:43], s[4:5], 0x48
	s_load_dwordx16 s[12:27], s[4:5], 0x8
	s_waitcnt lgkmcnt(0)
	v_cmp_eq_f64_e64 s0, s[38:39], 1.0
	v_cmp_eq_f64_e64 s29, s[40:41], 0
	s_and_b32 s0, s0, s29
	s_andn2_b32 vcc_lo, exec_lo, s0
	s_mov_b32 s0, -1
	s_cbranch_vccnz .LBB574_3
; %bb.1:
	s_cmp_lg_u64 s[12:13], 0
	s_cbranch_scc0 .LBB574_31
; %bb.2:
	v_cmp_neq_f64_e64 s0, s[14:15], 0
	v_cmp_neq_f64_e64 s1, s[16:17], 0
	s_or_b32 s0, s0, s1
.LBB574_3:
	s_and_b32 vcc_lo, exec_lo, s0
	s_cbranch_vccz .LBB574_32
; %bb.4:
	v_cmp_eq_f64_e64 s30, s[14:15], 0
	v_cmp_eq_f64_e64 s31, s[16:17], 0
	s_mov_b32 s9, 0
	v_mov_b32_e32 v20, 0
	s_lshl_b64 s[0:1], s[8:9], 3
	v_mov_b32_e32 v22, 0
	s_add_u32 s2, s42, s0
	s_addc_u32 s3, s43, s1
	s_clause 0x1
	s_load_dwordx4 s[8:11], s[4:5], 0x68
	s_load_dword s28, s[4:5], 0x0
	s_load_dwordx2 s[2:3], s[2:3], 0x0
	v_cmp_lt_i64_e64 s4, s[12:13], 1
	v_mov_b32_e32 v18, 0
	v_mov_b32_e32 v16, 0
	;; [unrolled: 1-line block ×13, first 2 shown]
	s_and_b32 s5, s30, s31
	v_mov_b32_e32 v9, 0
	s_or_b32 s4, s5, s4
	s_lshl_b32 s6, s6, 5
	s_and_b32 vcc_lo, exec_lo, s4
	s_lshl_b32 s7, s7, 5
	s_cbranch_vccnz .LBB574_15
; %bb.5:
	s_add_u32 s4, s24, s0
	s_addc_u32 s5, s25, s1
	s_lshl_b64 s[24:25], s[36:37], 4
	s_load_dwordx2 s[4:5], s[4:5], 0x0
	v_lshl_add_u32 v2, v1, 4, v0
	v_and_b32_e32 v24, 7, v0
	v_mov_b32_e32 v8, 0
	v_mov_b32_e32 v10, 0
	;; [unrolled: 1-line block ×3, first 2 shown]
	v_and_b32_e32 v3, 31, v2
	v_lshrrev_b32_e32 v6, 3, v2
	v_lshrrev_b32_e32 v27, 5, v2
	v_lshlrev_b32_e32 v28, 4, v24
	v_mov_b32_e32 v14, 0
	v_or_b32_e32 v7, s6, v3
	v_add_nc_u32_e32 v2, s7, v6
	v_lshlrev_b32_e32 v29, 4, v3
	v_lshl_or_b32 v31, v6, 7, v28
	v_mov_b32_e32 v16, 0
	v_mul_lo_u32 v30, s21, v7
	v_mad_u64_u32 v[4:5], null, s20, v7, 0
	v_ashrrev_i32_e32 v3, 31, v2
	s_waitcnt lgkmcnt(0)
	s_add_u32 s24, s4, s24
	s_addc_u32 s25, s5, s25
	s_add_u32 s0, s18, s0
	s_addc_u32 s1, s19, s1
	s_lshl_b64 s[4:5], s[22:23], 4
	s_load_dwordx2 s[0:1], s[0:1], 0x0
	v_cmp_gt_i32_e32 vcc_lo, s28, v2
	v_lshl_or_b32 v28, v27, 9, v29
	v_add_nc_u32_e32 v29, 0x1000, v31
	v_mov_b32_e32 v18, 0
	v_mov_b32_e32 v22, 0
	;; [unrolled: 1-line block ×3, first 2 shown]
	v_lshlrev_b32_e32 v25, 4, v0
	v_lshl_add_u32 v26, v1, 7, 0x1000
	v_mov_b32_e32 v9, 0
	v_mov_b32_e32 v11, 0
	;; [unrolled: 1-line block ×8, first 2 shown]
	s_waitcnt lgkmcnt(0)
	s_add_u32 s4, s0, s4
	s_addc_u32 s5, s1, s5
	s_ashr_i32 s0, s6, 31
	s_mul_i32 s1, s20, s0
	v_cmp_gt_i32_e64 s0, s28, v7
	v_add3_u32 v5, v5, s1, v30
	v_lshlrev_b64 v[6:7], 4, v[2:3]
	v_lshlrev_b64 v[2:3], 4, v[4:5]
	v_add_co_u32 v30, s1, s24, v6
	v_add_co_ci_u32_e64 v31, null, s25, v7, s1
	v_add_co_u32 v32, s1, s4, v2
	v_add_co_ci_u32_e64 v33, null, s5, v3, s1
	v_mov_b32_e32 v3, 0
	s_mov_b64 s[4:5], 0
	s_xor_b32 s1, vcc_lo, -1
	s_branch .LBB574_7
.LBB574_6:                              ;   in Loop: Header=BB574_7 Depth=1
	s_or_b32 exec_lo, exec_lo, s18
	s_waitcnt lgkmcnt(0)
	s_barrier
	buffer_gl0_inv
	ds_read_b128 v[4:7], v26
	ds_read_b128 v[34:37], v25
	ds_read_b128 v[38:41], v25 offset:256
	ds_read_b128 v[42:45], v26 offset:2048
	;; [unrolled: 1-line block ×12, first 2 shown]
	s_add_u32 s4, s4, 8
	s_addc_u32 s5, s5, 0
	v_cmp_gt_i64_e64 s18, s[12:13], s[4:5]
	s_and_b32 vcc_lo, exec_lo, s18
	s_waitcnt lgkmcnt(12)
	v_mul_f64 v[86:87], v[6:7], v[36:37]
	v_mul_f64 v[88:89], v[4:5], v[36:37]
	s_waitcnt lgkmcnt(11)
	v_mul_f64 v[90:91], v[6:7], v[40:41]
	v_mul_f64 v[92:93], v[4:5], v[40:41]
	;; [unrolled: 3-line block ×3, first 2 shown]
	v_mul_f64 v[96:97], v[44:45], v[40:41]
	v_mul_f64 v[40:41], v[42:43], v[40:41]
	s_waitcnt lgkmcnt(8)
	v_mul_f64 v[98:99], v[48:49], v[52:53]
	v_mul_f64 v[100:101], v[46:47], v[52:53]
	s_waitcnt lgkmcnt(7)
	;; [unrolled: 3-line block ×3, first 2 shown]
	v_mul_f64 v[106:107], v[60:61], v[52:53]
	v_mul_f64 v[52:53], v[58:59], v[52:53]
	;; [unrolled: 1-line block ×4, first 2 shown]
	s_waitcnt lgkmcnt(3)
	v_mul_f64 v[112:113], v[72:73], v[64:65]
	v_mul_f64 v[116:117], v[70:71], v[64:65]
	;; [unrolled: 1-line block ×4, first 2 shown]
	s_waitcnt lgkmcnt(1)
	v_mul_f64 v[122:123], v[80:81], v[64:65]
	v_mul_f64 v[64:65], v[78:79], v[64:65]
	v_fma_f64 v[86:87], v[4:5], v[34:35], -v[86:87]
	v_fma_f64 v[88:89], v[6:7], v[34:35], v[88:89]
	v_fma_f64 v[90:91], v[4:5], v[38:39], -v[90:91]
	v_fma_f64 v[92:93], v[6:7], v[38:39], v[92:93]
	;; [unrolled: 2-line block ×8, first 2 shown]
	ds_read_b128 v[4:7], v25 offset:1536
	ds_read_b128 v[34:37], v25 offset:1792
	;; [unrolled: 1-line block ×6, first 2 shown]
	v_add_f64 v[54:55], v[20:21], v[86:87]
	v_add_f64 v[22:23], v[88:89], v[22:23]
	;; [unrolled: 1-line block ×3, first 2 shown]
	v_mul_f64 v[86:87], v[80:81], v[68:69]
	v_mul_f64 v[68:69], v[78:79], v[68:69]
	v_add_f64 v[88:89], v[92:93], v[16:17]
	v_add_f64 v[92:93], v[14:15], v[94:95]
	;; [unrolled: 1-line block ×5, first 2 shown]
	v_fma_f64 v[90:91], v[70:71], v[62:63], -v[112:113]
	v_fma_f64 v[94:95], v[72:73], v[62:63], v[116:117]
	v_fma_f64 v[70:71], v[70:71], v[66:67], -v[118:119]
	v_fma_f64 v[72:73], v[72:73], v[66:67], v[120:121]
	s_waitcnt lgkmcnt(5)
	v_mul_f64 v[108:109], v[76:77], v[6:7]
	v_mul_f64 v[110:111], v[74:75], v[6:7]
	v_fma_f64 v[112:113], v[78:79], v[62:63], -v[122:123]
	v_fma_f64 v[62:63], v[80:81], v[62:63], v[64:65]
	s_waitcnt lgkmcnt(4)
	v_mul_f64 v[64:65], v[76:77], v[36:37]
	v_mul_f64 v[116:117], v[74:75], v[36:37]
	ds_read_b128 v[14:17], v25 offset:2560
	ds_read_b128 v[18:21], v25 offset:2816
	v_add_f64 v[98:99], v[54:55], v[98:99]
	v_add_f64 v[22:23], v[100:101], v[22:23]
	v_add_f64 v[100:101], v[56:57], v[102:103]
	v_mul_f64 v[102:103], v[84:85], v[6:7]
	v_mul_f64 v[6:7], v[82:83], v[6:7]
	v_add_f64 v[88:89], v[104:105], v[88:89]
	v_add_f64 v[92:93], v[92:93], v[106:107]
	v_fma_f64 v[78:79], v[78:79], v[66:67], -v[86:87]
	v_fma_f64 v[66:67], v[80:81], v[66:67], v[68:69]
	v_mul_f64 v[68:69], v[84:85], v[36:37]
	v_mul_f64 v[36:37], v[82:83], v[36:37]
	v_add_f64 v[12:13], v[124:125], v[12:13]
	v_add_f64 v[58:59], v[96:97], v[58:59]
	;; [unrolled: 1-line block ×3, first 2 shown]
	ds_read_b128 v[8:11], v26 offset:2112
	ds_read_b128 v[54:57], v26 offset:2128
	s_waitcnt lgkmcnt(5)
	v_mul_f64 v[80:81], v[48:49], v[40:41]
	v_mul_f64 v[86:87], v[46:47], v[40:41]
	;; [unrolled: 1-line block ×4, first 2 shown]
	v_fma_f64 v[106:107], v[74:75], v[4:5], -v[108:109]
	v_fma_f64 v[108:109], v[76:77], v[4:5], v[110:111]
	v_fma_f64 v[64:65], v[74:75], v[34:35], -v[64:65]
	v_fma_f64 v[74:75], v[76:77], v[34:35], v[116:117]
	v_add_f64 v[90:91], v[98:99], v[90:91]
	v_add_f64 v[22:23], v[94:95], v[22:23]
	;; [unrolled: 1-line block ×3, first 2 shown]
	v_fma_f64 v[94:95], v[82:83], v[4:5], -v[102:103]
	v_add_f64 v[72:73], v[72:73], v[88:89]
	v_add_f64 v[88:89], v[92:93], v[112:113]
	v_fma_f64 v[4:5], v[84:85], v[4:5], v[6:7]
	s_waitcnt lgkmcnt(3)
	v_mul_f64 v[98:99], v[52:53], v[16:17]
	v_fma_f64 v[6:7], v[82:83], v[34:35], -v[68:69]
	v_fma_f64 v[68:69], v[84:85], v[34:35], v[36:37]
	s_waitcnt lgkmcnt(1)
	v_mul_f64 v[76:77], v[10:11], v[40:41]
	v_mul_f64 v[40:41], v[8:9], v[40:41]
	;; [unrolled: 1-line block ×4, first 2 shown]
	v_add_f64 v[12:13], v[62:63], v[12:13]
	v_add_f64 v[58:59], v[58:59], v[78:79]
	;; [unrolled: 1-line block ×3, first 2 shown]
	v_mul_f64 v[100:101], v[50:51], v[16:17]
	v_mul_f64 v[62:63], v[52:53], v[20:21]
	v_fma_f64 v[78:79], v[46:47], v[38:39], -v[80:81]
	v_fma_f64 v[80:81], v[48:49], v[38:39], v[86:87]
	v_fma_f64 v[46:47], v[46:47], v[42:43], -v[104:105]
	v_fma_f64 v[48:49], v[48:49], v[42:43], v[96:97]
	v_add_f64 v[66:67], v[90:91], v[106:107]
	v_add_f64 v[82:83], v[108:109], v[22:23]
	;; [unrolled: 1-line block ×5, first 2 shown]
	s_waitcnt lgkmcnt(0)
	v_mul_f64 v[84:85], v[56:57], v[16:17]
	v_mul_f64 v[16:17], v[54:55], v[16:17]
	;; [unrolled: 1-line block ×4, first 2 shown]
	v_fma_f64 v[70:71], v[8:9], v[38:39], -v[76:77]
	v_mul_f64 v[76:77], v[50:51], v[20:21]
	v_fma_f64 v[90:91], v[10:11], v[38:39], v[40:41]
	v_fma_f64 v[8:9], v[8:9], v[42:43], -v[92:93]
	v_add_f64 v[12:13], v[4:5], v[12:13]
	v_add_f64 v[58:59], v[58:59], v[6:7]
	v_fma_f64 v[42:43], v[10:11], v[42:43], v[44:45]
	v_add_f64 v[44:45], v[68:69], v[60:61]
	ds_read_b128 v[4:7], v26 offset:96
	ds_read_b128 v[20:23], v25 offset:3072
	;; [unrolled: 1-line block ×4, first 2 shown]
	v_add_f64 v[60:61], v[66:67], v[78:79]
	v_add_f64 v[66:67], v[80:81], v[82:83]
	;; [unrolled: 1-line block ×3, first 2 shown]
	v_fma_f64 v[64:65], v[50:51], v[14:15], -v[98:99]
	v_add_f64 v[48:49], v[48:49], v[72:73]
	v_fma_f64 v[50:51], v[50:51], v[18:19], -v[62:63]
	v_fma_f64 v[62:63], v[54:55], v[14:15], -v[84:85]
	v_fma_f64 v[72:73], v[56:57], v[14:15], v[16:17]
	v_fma_f64 v[54:55], v[54:55], v[18:19], -v[86:87]
	v_add_f64 v[68:69], v[74:75], v[70:71]
	v_fma_f64 v[70:71], v[52:53], v[14:15], v[100:101]
	v_fma_f64 v[52:53], v[52:53], v[18:19], v[76:77]
	;; [unrolled: 1-line block ×3, first 2 shown]
	v_add_f64 v[74:75], v[90:91], v[12:13]
	v_add_f64 v[58:59], v[58:59], v[8:9]
	s_waitcnt lgkmcnt(2)
	v_mul_f64 v[76:77], v[6:7], v[22:23]
	v_mul_f64 v[78:79], v[4:5], v[22:23]
	s_waitcnt lgkmcnt(1)
	v_mul_f64 v[80:81], v[6:7], v[36:37]
	v_mul_f64 v[82:83], v[4:5], v[36:37]
	;; [unrolled: 3-line block ×3, first 2 shown]
	v_mul_f64 v[86:87], v[40:41], v[36:37]
	v_add_f64 v[88:89], v[42:43], v[44:45]
	v_mul_f64 v[36:37], v[38:39], v[36:37]
	ds_read_b128 v[8:11], v26 offset:112
	ds_read_b128 v[12:15], v26 offset:2160
	;; [unrolled: 1-line block ×4, first 2 shown]
	v_add_f64 v[60:61], v[60:61], v[64:65]
	v_add_f64 v[46:47], v[46:47], v[50:51]
	s_waitcnt lgkmcnt(0)
	s_barrier
	v_add_f64 v[50:51], v[68:69], v[62:63]
	v_add_f64 v[64:65], v[70:71], v[66:67]
	;; [unrolled: 1-line block ×3, first 2 shown]
	buffer_gl0_inv
	v_add_f64 v[52:53], v[72:73], v[74:75]
	v_add_f64 v[54:55], v[58:59], v[54:55]
	v_fma_f64 v[58:59], v[4:5], v[20:21], -v[76:77]
	v_fma_f64 v[62:63], v[6:7], v[20:21], v[78:79]
	v_fma_f64 v[4:5], v[4:5], v[34:35], -v[80:81]
	v_fma_f64 v[6:7], v[6:7], v[34:35], v[82:83]
	;; [unrolled: 2-line block ×3, first 2 shown]
	v_fma_f64 v[22:23], v[38:39], v[34:35], -v[86:87]
	v_add_f64 v[38:39], v[56:57], v[88:89]
	v_fma_f64 v[34:35], v[40:41], v[34:35], v[36:37]
	v_mul_f64 v[36:37], v[10:11], v[18:19]
	v_mul_f64 v[40:41], v[8:9], v[18:19]
	;; [unrolled: 1-line block ×8, first 2 shown]
	v_add_f64 v[58:59], v[60:61], v[58:59]
	v_add_f64 v[60:61], v[62:63], v[64:65]
	;; [unrolled: 1-line block ×8, first 2 shown]
	v_fma_f64 v[20:21], v[8:9], v[16:17], -v[36:37]
	v_fma_f64 v[22:23], v[10:11], v[16:17], v[40:41]
	v_fma_f64 v[8:9], v[8:9], v[42:43], -v[56:57]
	v_fma_f64 v[10:11], v[10:11], v[42:43], v[68:69]
	;; [unrolled: 2-line block ×4, first 2 shown]
	v_add_f64 v[20:21], v[58:59], v[20:21]
	v_add_f64 v[22:23], v[22:23], v[60:61]
	;; [unrolled: 1-line block ×8, first 2 shown]
	s_cbranch_vccz .LBB574_15
.LBB574_7:                              ; =>This Inner Loop Header: Depth=1
	v_mov_b32_e32 v4, 0
	v_mov_b32_e32 v6, 0
	;; [unrolled: 1-line block ×4, first 2 shown]
	s_and_saveexec_b32 s18, s0
	s_cbranch_execz .LBB574_11
; %bb.8:                                ;   in Loop: Header=BB574_7 Depth=1
	v_mov_b32_e32 v6, 0
	v_mov_b32_e32 v4, 0
	v_add_nc_u32_e32 v2, s4, v27
	v_mov_b32_e32 v7, 0
	v_mov_b32_e32 v5, 0
	s_mov_b32 s19, exec_lo
	v_cmpx_gt_u64_e64 s[12:13], v[2:3]
	s_cbranch_execz .LBB574_10
; %bb.9:                                ;   in Loop: Header=BB574_7 Depth=1
	v_lshlrev_b64 v[4:5], 4, v[2:3]
	v_add_co_u32 v4, vcc_lo, v32, v4
	v_add_co_ci_u32_e64 v5, null, v33, v5, vcc_lo
	flat_load_dwordx4 v[4:7], v[4:5]
	s_waitcnt vmcnt(0) lgkmcnt(0)
	v_xor_b32_e32 v7, 0x80000000, v7
.LBB574_10:                             ;   in Loop: Header=BB574_7 Depth=1
	s_or_b32 exec_lo, exec_lo, s19
.LBB574_11:                             ;   in Loop: Header=BB574_7 Depth=1
	s_or_b32 exec_lo, exec_lo, s18
	v_add_nc_u32_e32 v2, s4, v24
	ds_write_b128 v28, v[4:7]
	v_cmp_le_u64_e32 vcc_lo, s[12:13], v[2:3]
	s_or_b32 s18, vcc_lo, s1
	s_and_saveexec_b32 s19, s18
	s_xor_b32 s18, exec_lo, s19
	s_cbranch_execz .LBB574_13
; %bb.12:                               ;   in Loop: Header=BB574_7 Depth=1
	v_mov_b32_e32 v2, v3
	v_mov_b32_e32 v4, v3
	;; [unrolled: 1-line block ×3, first 2 shown]
	ds_write_b128 v29, v[2:5]
.LBB574_13:                             ;   in Loop: Header=BB574_7 Depth=1
	s_andn2_saveexec_b32 s18, s18
	s_cbranch_execz .LBB574_6
; %bb.14:                               ;   in Loop: Header=BB574_7 Depth=1
	v_mad_u64_u32 v[4:5], null, s26, v2, 0
	v_mad_u64_u32 v[5:6], null, s27, v2, v[5:6]
	v_lshlrev_b64 v[4:5], 4, v[4:5]
	v_add_co_u32 v4, vcc_lo, v30, v4
	v_add_co_ci_u32_e64 v5, null, v31, v5, vcc_lo
	flat_load_dwordx4 v[4:7], v[4:5]
	s_waitcnt vmcnt(0) lgkmcnt(0)
	ds_write2_b64 v29, v[4:5], v[6:7] offset1:1
	s_branch .LBB574_6
.LBB574_15:
	v_add_nc_u32_e32 v25, s7, v1
	v_cmp_neq_f64_e64 s5, s[38:39], 0
	s_waitcnt lgkmcnt(0)
	s_lshl_b64 s[0:1], s[10:11], 4
	s_add_u32 s4, s2, s0
	v_ashrrev_i32_e32 v3, 31, v25
	v_mul_lo_u32 v4, s9, v25
	v_mad_u64_u32 v[1:2], null, s8, v25, 0
	s_addc_u32 s3, s3, s1
	v_mul_lo_u32 v3, s8, v3
	s_xor_b32 s2, s29, -1
	v_add3_u32 v2, v2, v3, v4
	v_add_nc_u32_e32 v4, s6, v0
	s_or_b32 s2, s5, s2
	v_lshlrev_b64 v[0:1], 4, v[1:2]
	v_cmp_le_i32_e32 vcc_lo, v25, v4
	v_cmp_gt_i32_e64 s0, s28, v4
	v_ashrrev_i32_e32 v5, 31, v4
	v_cndmask_b32_e64 v24, 0, 1, s2
	v_add_co_u32 v26, s1, s4, v0
	v_add_co_ci_u32_e64 v27, null, s3, v1, s1
	s_and_b32 s5, vcc_lo, s0
	s_and_saveexec_b32 s1, s5
	s_cbranch_execz .LBB574_19
; %bb.16:
	v_mul_f64 v[0:1], s[16:17], v[22:23]
	v_mul_f64 v[2:3], s[14:15], v[22:23]
	v_lshlrev_b64 v[6:7], 4, v[4:5]
	v_add_co_u32 v6, vcc_lo, v26, v6
	v_add_co_ci_u32_e64 v7, null, v27, v7, vcc_lo
	s_andn2_b32 vcc_lo, exec_lo, s2
	v_fma_f64 v[0:1], s[14:15], v[20:21], -v[0:1]
	v_fma_f64 v[2:3], s[16:17], v[20:21], v[2:3]
	s_cbranch_vccnz .LBB574_18
; %bb.17:
	flat_load_dwordx4 v[20:23], v[6:7]
	s_waitcnt vmcnt(0) lgkmcnt(0)
	v_mul_f64 v[28:29], s[40:41], v[22:23]
	v_mul_f64 v[22:23], s[38:39], v[22:23]
	v_fma_f64 v[28:29], s[38:39], v[20:21], -v[28:29]
	v_fma_f64 v[20:21], s[40:41], v[20:21], v[22:23]
	v_add_f64 v[0:1], v[0:1], v[28:29]
	v_add_f64 v[2:3], v[2:3], v[20:21]
.LBB574_18:
	flat_store_dwordx4 v[6:7], v[0:3]
.LBB574_19:
	s_or_b32 exec_lo, exec_lo, s1
	v_add_nc_u32_e32 v6, 16, v4
	v_cmp_le_i32_e32 vcc_lo, v25, v6
	v_cmp_gt_i32_e64 s1, s28, v6
	v_ashrrev_i32_e32 v7, 31, v6
	s_and_b32 s2, vcc_lo, s1
	s_and_saveexec_b32 s5, s2
	s_cbranch_execz .LBB574_23
; %bb.20:
	v_mul_f64 v[0:1], s[16:17], v[16:17]
	v_mul_f64 v[2:3], s[14:15], v[16:17]
	v_lshlrev_b64 v[16:17], 4, v[6:7]
	v_cmp_ne_u32_e32 vcc_lo, 1, v24
	s_and_b32 vcc_lo, exec_lo, vcc_lo
	v_add_co_u32 v16, s2, v26, v16
	v_add_co_ci_u32_e64 v17, null, v27, v17, s2
	v_fma_f64 v[0:1], s[14:15], v[18:19], -v[0:1]
	v_fma_f64 v[2:3], s[16:17], v[18:19], v[2:3]
	s_cbranch_vccnz .LBB574_22
; %bb.21:
	flat_load_dwordx4 v[18:21], v[16:17]
	s_waitcnt vmcnt(0) lgkmcnt(0)
	v_mul_f64 v[22:23], s[40:41], v[20:21]
	v_mul_f64 v[20:21], s[38:39], v[20:21]
	v_fma_f64 v[22:23], s[38:39], v[18:19], -v[22:23]
	v_fma_f64 v[18:19], s[40:41], v[18:19], v[20:21]
	v_add_f64 v[0:1], v[0:1], v[22:23]
	v_add_f64 v[2:3], v[2:3], v[18:19]
.LBB574_22:
	flat_store_dwordx4 v[16:17], v[0:3]
.LBB574_23:
	s_or_b32 exec_lo, exec_lo, s5
	v_add_nc_u32_e32 v18, 16, v25
	v_ashrrev_i32_e32 v2, 31, v18
	v_mul_lo_u32 v3, s9, v18
	v_mad_u64_u32 v[0:1], null, s8, v18, 0
	v_cmp_le_i32_e32 vcc_lo, v18, v4
	v_mul_lo_u32 v2, s8, v2
	s_and_b32 s0, vcc_lo, s0
	v_add3_u32 v1, v1, v2, v3
	v_lshlrev_b64 v[0:1], 4, v[0:1]
	v_add_co_u32 v16, s2, s4, v0
	v_add_co_ci_u32_e64 v17, null, s3, v1, s2
	s_and_saveexec_b32 s2, s0
	s_cbranch_execz .LBB574_27
; %bb.24:
	v_mul_f64 v[0:1], s[16:17], v[12:13]
	v_mul_f64 v[2:3], s[14:15], v[12:13]
	v_lshlrev_b64 v[4:5], 4, v[4:5]
	v_cmp_ne_u32_e32 vcc_lo, 1, v24
	s_and_b32 vcc_lo, exec_lo, vcc_lo
	v_add_co_u32 v4, s0, v16, v4
	v_add_co_ci_u32_e64 v5, null, v17, v5, s0
	v_fma_f64 v[0:1], s[14:15], v[14:15], -v[0:1]
	v_fma_f64 v[2:3], s[16:17], v[14:15], v[2:3]
	s_cbranch_vccnz .LBB574_26
; %bb.25:
	flat_load_dwordx4 v[12:15], v[4:5]
	s_waitcnt vmcnt(0) lgkmcnt(0)
	v_mul_f64 v[19:20], s[40:41], v[14:15]
	v_mul_f64 v[14:15], s[38:39], v[14:15]
	v_fma_f64 v[19:20], s[38:39], v[12:13], -v[19:20]
	v_fma_f64 v[12:13], s[40:41], v[12:13], v[14:15]
	v_add_f64 v[0:1], v[0:1], v[19:20]
	v_add_f64 v[2:3], v[2:3], v[12:13]
.LBB574_26:
	flat_store_dwordx4 v[4:5], v[0:3]
.LBB574_27:
	s_or_b32 exec_lo, exec_lo, s2
	v_cmp_le_i32_e32 vcc_lo, v18, v6
	s_and_b32 s0, vcc_lo, s1
	s_and_saveexec_b32 s1, s0
	s_cbranch_execz .LBB574_32
; %bb.28:
	v_mul_f64 v[0:1], s[16:17], v[8:9]
	v_mul_f64 v[2:3], s[14:15], v[8:9]
	v_lshlrev_b64 v[4:5], 4, v[6:7]
	v_cmp_ne_u32_e32 vcc_lo, 1, v24
	s_and_b32 vcc_lo, exec_lo, vcc_lo
	v_add_co_u32 v4, s0, v16, v4
	v_add_co_ci_u32_e64 v5, null, v17, v5, s0
	v_fma_f64 v[0:1], s[14:15], v[10:11], -v[0:1]
	v_fma_f64 v[2:3], s[16:17], v[10:11], v[2:3]
	s_cbranch_vccnz .LBB574_30
; %bb.29:
	flat_load_dwordx4 v[6:9], v[4:5]
	s_waitcnt vmcnt(0) lgkmcnt(0)
	v_mul_f64 v[10:11], s[40:41], v[8:9]
	v_mul_f64 v[8:9], s[38:39], v[8:9]
	v_fma_f64 v[10:11], s[38:39], v[6:7], -v[10:11]
	v_fma_f64 v[6:7], s[40:41], v[6:7], v[8:9]
	v_add_f64 v[0:1], v[0:1], v[10:11]
	v_add_f64 v[2:3], v[2:3], v[6:7]
.LBB574_30:
	flat_store_dwordx4 v[4:5], v[0:3]
	s_endpgm
.LBB574_31:
.LBB574_32:
	s_endpgm
	.section	.rodata,"a",@progbits
	.p2align	6, 0x0
	.amdhsa_kernel _ZL29rocblas_internal_gemmt_kernelIlLi16ELi32ELi8ELc67ELc84ELc76ELb1ELb0E19rocblas_complex_numIdES1_PKPKS1_PKPS1_EviT_T9_T10_S9_lSB_S9_lSA_T11_S9_li
		.amdhsa_group_segment_fixed_size 8192
		.amdhsa_private_segment_fixed_size 0
		.amdhsa_kernarg_size 124
		.amdhsa_user_sgpr_count 6
		.amdhsa_user_sgpr_private_segment_buffer 1
		.amdhsa_user_sgpr_dispatch_ptr 0
		.amdhsa_user_sgpr_queue_ptr 0
		.amdhsa_user_sgpr_kernarg_segment_ptr 1
		.amdhsa_user_sgpr_dispatch_id 0
		.amdhsa_user_sgpr_flat_scratch_init 0
		.amdhsa_user_sgpr_private_segment_size 0
		.amdhsa_wavefront_size32 1
		.amdhsa_uses_dynamic_stack 0
		.amdhsa_system_sgpr_private_segment_wavefront_offset 0
		.amdhsa_system_sgpr_workgroup_id_x 1
		.amdhsa_system_sgpr_workgroup_id_y 1
		.amdhsa_system_sgpr_workgroup_id_z 1
		.amdhsa_system_sgpr_workgroup_info 0
		.amdhsa_system_vgpr_workitem_id 1
		.amdhsa_next_free_vgpr 126
		.amdhsa_next_free_sgpr 44
		.amdhsa_reserve_vcc 1
		.amdhsa_reserve_flat_scratch 0
		.amdhsa_float_round_mode_32 0
		.amdhsa_float_round_mode_16_64 0
		.amdhsa_float_denorm_mode_32 3
		.amdhsa_float_denorm_mode_16_64 3
		.amdhsa_dx10_clamp 1
		.amdhsa_ieee_mode 1
		.amdhsa_fp16_overflow 0
		.amdhsa_workgroup_processor_mode 1
		.amdhsa_memory_ordered 1
		.amdhsa_forward_progress 1
		.amdhsa_shared_vgpr_count 0
		.amdhsa_exception_fp_ieee_invalid_op 0
		.amdhsa_exception_fp_denorm_src 0
		.amdhsa_exception_fp_ieee_div_zero 0
		.amdhsa_exception_fp_ieee_overflow 0
		.amdhsa_exception_fp_ieee_underflow 0
		.amdhsa_exception_fp_ieee_inexact 0
		.amdhsa_exception_int_div_zero 0
	.end_amdhsa_kernel
	.section	.text._ZL29rocblas_internal_gemmt_kernelIlLi16ELi32ELi8ELc67ELc84ELc76ELb1ELb0E19rocblas_complex_numIdES1_PKPKS1_PKPS1_EviT_T9_T10_S9_lSB_S9_lSA_T11_S9_li,"axG",@progbits,_ZL29rocblas_internal_gemmt_kernelIlLi16ELi32ELi8ELc67ELc84ELc76ELb1ELb0E19rocblas_complex_numIdES1_PKPKS1_PKPS1_EviT_T9_T10_S9_lSB_S9_lSA_T11_S9_li,comdat
.Lfunc_end574:
	.size	_ZL29rocblas_internal_gemmt_kernelIlLi16ELi32ELi8ELc67ELc84ELc76ELb1ELb0E19rocblas_complex_numIdES1_PKPKS1_PKPS1_EviT_T9_T10_S9_lSB_S9_lSA_T11_S9_li, .Lfunc_end574-_ZL29rocblas_internal_gemmt_kernelIlLi16ELi32ELi8ELc67ELc84ELc76ELb1ELb0E19rocblas_complex_numIdES1_PKPKS1_PKPS1_EviT_T9_T10_S9_lSB_S9_lSA_T11_S9_li
                                        ; -- End function
	.set _ZL29rocblas_internal_gemmt_kernelIlLi16ELi32ELi8ELc67ELc84ELc76ELb1ELb0E19rocblas_complex_numIdES1_PKPKS1_PKPS1_EviT_T9_T10_S9_lSB_S9_lSA_T11_S9_li.num_vgpr, 126
	.set _ZL29rocblas_internal_gemmt_kernelIlLi16ELi32ELi8ELc67ELc84ELc76ELb1ELb0E19rocblas_complex_numIdES1_PKPKS1_PKPS1_EviT_T9_T10_S9_lSB_S9_lSA_T11_S9_li.num_agpr, 0
	.set _ZL29rocblas_internal_gemmt_kernelIlLi16ELi32ELi8ELc67ELc84ELc76ELb1ELb0E19rocblas_complex_numIdES1_PKPKS1_PKPS1_EviT_T9_T10_S9_lSB_S9_lSA_T11_S9_li.numbered_sgpr, 44
	.set _ZL29rocblas_internal_gemmt_kernelIlLi16ELi32ELi8ELc67ELc84ELc76ELb1ELb0E19rocblas_complex_numIdES1_PKPKS1_PKPS1_EviT_T9_T10_S9_lSB_S9_lSA_T11_S9_li.num_named_barrier, 0
	.set _ZL29rocblas_internal_gemmt_kernelIlLi16ELi32ELi8ELc67ELc84ELc76ELb1ELb0E19rocblas_complex_numIdES1_PKPKS1_PKPS1_EviT_T9_T10_S9_lSB_S9_lSA_T11_S9_li.private_seg_size, 0
	.set _ZL29rocblas_internal_gemmt_kernelIlLi16ELi32ELi8ELc67ELc84ELc76ELb1ELb0E19rocblas_complex_numIdES1_PKPKS1_PKPS1_EviT_T9_T10_S9_lSB_S9_lSA_T11_S9_li.uses_vcc, 1
	.set _ZL29rocblas_internal_gemmt_kernelIlLi16ELi32ELi8ELc67ELc84ELc76ELb1ELb0E19rocblas_complex_numIdES1_PKPKS1_PKPS1_EviT_T9_T10_S9_lSB_S9_lSA_T11_S9_li.uses_flat_scratch, 0
	.set _ZL29rocblas_internal_gemmt_kernelIlLi16ELi32ELi8ELc67ELc84ELc76ELb1ELb0E19rocblas_complex_numIdES1_PKPKS1_PKPS1_EviT_T9_T10_S9_lSB_S9_lSA_T11_S9_li.has_dyn_sized_stack, 0
	.set _ZL29rocblas_internal_gemmt_kernelIlLi16ELi32ELi8ELc67ELc84ELc76ELb1ELb0E19rocblas_complex_numIdES1_PKPKS1_PKPS1_EviT_T9_T10_S9_lSB_S9_lSA_T11_S9_li.has_recursion, 0
	.set _ZL29rocblas_internal_gemmt_kernelIlLi16ELi32ELi8ELc67ELc84ELc76ELb1ELb0E19rocblas_complex_numIdES1_PKPKS1_PKPS1_EviT_T9_T10_S9_lSB_S9_lSA_T11_S9_li.has_indirect_call, 0
	.section	.AMDGPU.csdata,"",@progbits
; Kernel info:
; codeLenInByte = 3548
; TotalNumSgprs: 46
; NumVgprs: 126
; ScratchSize: 0
; MemoryBound: 1
; FloatMode: 240
; IeeeMode: 1
; LDSByteSize: 8192 bytes/workgroup (compile time only)
; SGPRBlocks: 0
; VGPRBlocks: 15
; NumSGPRsForWavesPerEU: 46
; NumVGPRsForWavesPerEU: 126
; Occupancy: 8
; WaveLimiterHint : 1
; COMPUTE_PGM_RSRC2:SCRATCH_EN: 0
; COMPUTE_PGM_RSRC2:USER_SGPR: 6
; COMPUTE_PGM_RSRC2:TRAP_HANDLER: 0
; COMPUTE_PGM_RSRC2:TGID_X_EN: 1
; COMPUTE_PGM_RSRC2:TGID_Y_EN: 1
; COMPUTE_PGM_RSRC2:TGID_Z_EN: 1
; COMPUTE_PGM_RSRC2:TIDIG_COMP_CNT: 1
	.section	.text._ZL29rocblas_internal_gemmt_kernelIlLi16ELi32ELi8ELc67ELc67ELc76ELb1ELb1E19rocblas_complex_numIdES1_PKPKS1_PKPS1_EviT_T9_T10_S9_lSB_S9_lSA_T11_S9_li,"axG",@progbits,_ZL29rocblas_internal_gemmt_kernelIlLi16ELi32ELi8ELc67ELc67ELc76ELb1ELb1E19rocblas_complex_numIdES1_PKPKS1_PKPS1_EviT_T9_T10_S9_lSB_S9_lSA_T11_S9_li,comdat
	.globl	_ZL29rocblas_internal_gemmt_kernelIlLi16ELi32ELi8ELc67ELc67ELc76ELb1ELb1E19rocblas_complex_numIdES1_PKPKS1_PKPS1_EviT_T9_T10_S9_lSB_S9_lSA_T11_S9_li ; -- Begin function _ZL29rocblas_internal_gemmt_kernelIlLi16ELi32ELi8ELc67ELc67ELc76ELb1ELb1E19rocblas_complex_numIdES1_PKPKS1_PKPS1_EviT_T9_T10_S9_lSB_S9_lSA_T11_S9_li
	.p2align	8
	.type	_ZL29rocblas_internal_gemmt_kernelIlLi16ELi32ELi8ELc67ELc67ELc76ELb1ELb1E19rocblas_complex_numIdES1_PKPKS1_PKPS1_EviT_T9_T10_S9_lSB_S9_lSA_T11_S9_li,@function
_ZL29rocblas_internal_gemmt_kernelIlLi16ELi32ELi8ELc67ELc67ELc76ELb1ELb1E19rocblas_complex_numIdES1_PKPKS1_PKPS1_EviT_T9_T10_S9_lSB_S9_lSA_T11_S9_li: ; @_ZL29rocblas_internal_gemmt_kernelIlLi16ELi32ELi8ELc67ELc67ELc76ELb1ELb1E19rocblas_complex_numIdES1_PKPKS1_PKPS1_EviT_T9_T10_S9_lSB_S9_lSA_T11_S9_li
; %bb.0:
	s_clause 0x1
	s_load_dwordx8 s[36:43], s[4:5], 0x48
	s_load_dwordx16 s[12:27], s[4:5], 0x8
	s_waitcnt lgkmcnt(0)
	v_cmp_eq_f64_e64 s0, s[38:39], 1.0
	v_cmp_eq_f64_e64 s29, s[40:41], 0
	s_and_b32 s0, s0, s29
	s_andn2_b32 vcc_lo, exec_lo, s0
	s_mov_b32 s0, -1
	s_cbranch_vccnz .LBB575_3
; %bb.1:
	s_cmp_lg_u64 s[12:13], 0
	s_cbranch_scc0 .LBB575_29
; %bb.2:
	v_cmp_neq_f64_e64 s0, s[14:15], 0
	v_cmp_neq_f64_e64 s1, s[16:17], 0
	s_or_b32 s0, s0, s1
.LBB575_3:
	s_and_b32 vcc_lo, exec_lo, s0
	s_cbranch_vccz .LBB575_30
; %bb.4:
	v_cmp_eq_f64_e64 s30, s[14:15], 0
	v_cmp_eq_f64_e64 s31, s[16:17], 0
	s_mov_b32 s9, 0
	v_mov_b32_e32 v24, 0
	s_lshl_b64 s[0:1], s[8:9], 3
	v_mov_b32_e32 v26, 0
	s_add_u32 s2, s42, s0
	s_addc_u32 s3, s43, s1
	s_clause 0x1
	s_load_dwordx4 s[8:11], s[4:5], 0x68
	s_load_dword s28, s[4:5], 0x0
	s_load_dwordx2 s[2:3], s[2:3], 0x0
	v_cmp_lt_i64_e64 s4, s[12:13], 1
	v_mov_b32_e32 v20, 0
	v_mov_b32_e32 v22, 0
	;; [unrolled: 1-line block ×13, first 2 shown]
	s_and_b32 s5, s30, s31
	v_mov_b32_e32 v13, 0
	s_or_b32 s4, s5, s4
	s_lshl_b32 s6, s6, 5
	s_and_b32 vcc_lo, exec_lo, s4
	s_lshl_b32 s7, s7, 5
	s_cbranch_vccnz .LBB575_13
; %bb.5:
	s_add_u32 s4, s24, s0
	s_addc_u32 s5, s25, s1
	s_lshl_b64 s[24:25], s[36:37], 4
	s_load_dwordx2 s[4:5], s[4:5], 0x0
	v_lshl_add_u32 v2, v1, 4, v0
	v_and_b32_e32 v28, 7, v0
	v_mov_b32_e32 v12, 0
	v_mov_b32_e32 v14, 0
	;; [unrolled: 1-line block ×3, first 2 shown]
	v_and_b32_e32 v3, 31, v2
	v_lshrrev_b32_e32 v6, 3, v2
	v_lshrrev_b32_e32 v31, 5, v2
	v_lshlrev_b32_e32 v8, 4, v28
	v_mov_b32_e32 v16, 0
	v_or_b32_e32 v7, s6, v3
	v_add_nc_u32_e32 v2, s7, v6
	v_lshlrev_b32_e32 v9, 4, v3
	v_lshl_or_b32 v8, v6, 7, v8
	v_mov_b32_e32 v22, 0
	v_mul_lo_u32 v10, s21, v7
	v_mad_u64_u32 v[4:5], null, s20, v7, 0
	v_ashrrev_i32_e32 v3, 31, v2
	s_waitcnt lgkmcnt(0)
	s_add_u32 s24, s4, s24
	s_addc_u32 s25, s5, s25
	s_add_u32 s0, s18, s0
	s_addc_u32 s1, s19, s1
	s_lshl_b64 s[4:5], s[22:23], 4
	s_load_dwordx2 s[0:1], s[0:1], 0x0
	v_mov_b32_e32 v20, 0
	v_mov_b32_e32 v26, 0
	;; [unrolled: 1-line block ×3, first 2 shown]
	v_lshlrev_b32_e32 v29, 4, v0
	v_lshl_add_u32 v30, v1, 7, 0x1000
	v_mov_b32_e32 v13, 0
	v_mov_b32_e32 v15, 0
	;; [unrolled: 1-line block ×8, first 2 shown]
	v_lshl_or_b32 v32, v31, 9, v9
	v_add_nc_u32_e32 v33, 0x1000, v8
	v_mov_b32_e32 v11, 0
	s_waitcnt lgkmcnt(0)
	s_add_u32 s4, s0, s4
	s_addc_u32 s5, s1, s5
	s_ashr_i32 s0, s6, 31
	s_mul_i32 s1, s20, s0
	v_cmp_gt_i32_e64 s0, s28, v7
	v_add3_u32 v5, v5, s1, v10
	v_lshlrev_b64 v[6:7], 4, v[2:3]
	v_cmp_gt_i32_e64 s1, s28, v2
	v_lshlrev_b64 v[2:3], 4, v[4:5]
	v_add_co_u32 v34, vcc_lo, s24, v6
	v_add_co_ci_u32_e64 v35, null, s25, v7, vcc_lo
	v_add_co_u32 v36, vcc_lo, s4, v2
	v_add_co_ci_u32_e64 v37, null, s5, v3, vcc_lo
	s_mov_b64 s[4:5], 0
	s_branch .LBB575_7
.LBB575_6:                              ;   in Loop: Header=BB575_7 Depth=1
	s_or_b32 exec_lo, exec_lo, s18
	ds_write_b128 v33, v[6:9]
	s_waitcnt lgkmcnt(0)
	s_barrier
	buffer_gl0_inv
	ds_read_b128 v[2:5], v30
	ds_read_b128 v[6:9], v29
	ds_read_b128 v[38:41], v29 offset:256
	ds_read_b128 v[42:45], v30 offset:2048
	;; [unrolled: 1-line block ×11, first 2 shown]
	s_add_u32 s4, s4, 8
	s_addc_u32 s5, s5, 0
	v_cmp_gt_i64_e64 s18, s[12:13], s[4:5]
	s_waitcnt lgkmcnt(11)
	v_mul_f64 v[82:83], v[4:5], v[8:9]
	v_mul_f64 v[84:85], v[2:3], v[8:9]
	s_waitcnt lgkmcnt(10)
	v_mul_f64 v[86:87], v[4:5], v[40:41]
	v_mul_f64 v[88:89], v[2:3], v[40:41]
	;; [unrolled: 3-line block ×3, first 2 shown]
	v_mul_f64 v[92:93], v[44:45], v[40:41]
	v_mul_f64 v[40:41], v[42:43], v[40:41]
	s_waitcnt lgkmcnt(7)
	v_mul_f64 v[94:95], v[48:49], v[52:53]
	v_mul_f64 v[96:97], v[46:47], v[52:53]
	s_waitcnt lgkmcnt(6)
	v_mul_f64 v[98:99], v[48:49], v[56:57]
	s_waitcnt lgkmcnt(5)
	v_mul_f64 v[102:103], v[60:61], v[52:53]
	v_mul_f64 v[52:53], v[58:59], v[52:53]
	;; [unrolled: 1-line block ×5, first 2 shown]
	s_waitcnt lgkmcnt(3)
	v_mul_f64 v[106:107], v[68:69], v[64:65]
	v_mul_f64 v[108:109], v[66:67], v[64:65]
	s_and_b32 vcc_lo, exec_lo, s18
	v_fma_f64 v[82:83], v[2:3], v[6:7], -v[82:83]
	v_fma_f64 v[84:85], v[4:5], v[6:7], v[84:85]
	v_fma_f64 v[86:87], v[2:3], v[38:39], -v[86:87]
	v_fma_f64 v[88:89], v[4:5], v[38:39], v[88:89]
	;; [unrolled: 2-line block ×3, first 2 shown]
	v_fma_f64 v[92:93], v[42:43], v[38:39], -v[92:93]
	ds_read_b128 v[2:5], v29 offset:1536
	s_waitcnt lgkmcnt(3)
	v_mul_f64 v[110:111], v[68:69], v[72:73]
	v_mul_f64 v[112:113], v[66:67], v[72:73]
	v_fma_f64 v[116:117], v[44:45], v[38:39], v[40:41]
	v_fma_f64 v[94:95], v[46:47], v[50:51], -v[94:95]
	v_fma_f64 v[96:97], v[48:49], v[50:51], v[96:97]
	v_fma_f64 v[46:47], v[46:47], v[54:55], -v[98:99]
	s_waitcnt lgkmcnt(2)
	v_mul_f64 v[42:43], v[76:77], v[64:65]
	v_fma_f64 v[98:99], v[58:59], v[50:51], -v[102:103]
	v_fma_f64 v[50:51], v[60:61], v[50:51], v[52:53]
	v_mul_f64 v[44:45], v[74:75], v[64:65]
	v_mul_f64 v[52:53], v[76:77], v[72:73]
	;; [unrolled: 1-line block ×3, first 2 shown]
	v_fma_f64 v[48:49], v[48:49], v[54:55], v[100:101]
	v_fma_f64 v[58:59], v[58:59], v[54:55], -v[104:105]
	v_fma_f64 v[54:55], v[60:61], v[54:55], v[56:57]
	v_fma_f64 v[56:57], v[66:67], v[62:63], -v[106:107]
	v_fma_f64 v[60:61], v[68:69], v[62:63], v[108:109]
	v_add_f64 v[82:83], v[24:25], v[82:83]
	v_add_f64 v[84:85], v[84:85], v[26:27]
	v_add_f64 v[86:87], v[20:21], v[86:87]
	v_add_f64 v[88:89], v[88:89], v[22:23]
	v_add_f64 v[90:91], v[16:17], v[90:91]
	v_fma_f64 v[66:67], v[66:67], v[70:71], -v[110:111]
	v_fma_f64 v[68:69], v[68:69], v[70:71], v[112:113]
	v_add_f64 v[104:105], v[114:115], v[18:19]
	ds_read_b128 v[6:9], v29 offset:1792
	ds_read_b128 v[38:41], v30 offset:2096
	s_waitcnt lgkmcnt(2)
	v_mul_f64 v[72:73], v[80:81], v[4:5]
	v_mul_f64 v[100:101], v[78:79], v[4:5]
	v_fma_f64 v[108:109], v[74:75], v[62:63], -v[42:43]
	ds_read_b128 v[16:19], v30 offset:64
	v_fma_f64 v[62:63], v[76:77], v[62:63], v[44:45]
	v_fma_f64 v[74:75], v[74:75], v[70:71], -v[52:53]
	v_fma_f64 v[64:65], v[76:77], v[70:71], v[64:65]
	v_add_f64 v[52:53], v[14:15], v[92:93]
	v_add_f64 v[70:71], v[116:117], v[12:13]
	ds_read_b128 v[20:23], v29 offset:2048
	ds_read_b128 v[24:27], v29 offset:2304
	;; [unrolled: 1-line block ×4, first 2 shown]
	v_add_f64 v[82:83], v[82:83], v[94:95]
	v_add_f64 v[84:85], v[96:97], v[84:85]
	;; [unrolled: 1-line block ×5, first 2 shown]
	s_waitcnt lgkmcnt(6)
	v_mul_f64 v[102:103], v[80:81], v[8:9]
	v_mul_f64 v[106:107], v[78:79], v[8:9]
	s_waitcnt lgkmcnt(5)
	v_mul_f64 v[110:111], v[40:41], v[4:5]
	v_mul_f64 v[4:5], v[38:39], v[4:5]
	v_add_f64 v[50:51], v[50:51], v[104:105]
	v_mul_f64 v[92:93], v[40:41], v[8:9]
	v_mul_f64 v[8:9], v[38:39], v[8:9]
	v_fma_f64 v[72:73], v[78:79], v[2:3], -v[72:73]
	v_fma_f64 v[76:77], v[80:81], v[2:3], v[100:101]
	ds_read_b128 v[46:49], v30 offset:2128
	s_waitcnt lgkmcnt(4)
	v_mul_f64 v[98:99], v[18:19], v[22:23]
	v_mul_f64 v[100:101], v[16:17], v[22:23]
	v_add_f64 v[58:59], v[52:53], v[58:59]
	v_add_f64 v[54:55], v[54:55], v[70:71]
	s_waitcnt lgkmcnt(3)
	v_mul_f64 v[104:105], v[16:17], v[26:27]
	s_waitcnt lgkmcnt(2)
	v_mul_f64 v[70:71], v[44:45], v[22:23]
	v_mul_f64 v[22:23], v[42:43], v[22:23]
	v_add_f64 v[56:57], v[82:83], v[56:57]
	v_add_f64 v[60:61], v[60:61], v[84:85]
	;; [unrolled: 1-line block ×5, first 2 shown]
	v_fma_f64 v[78:79], v[78:79], v[6:7], -v[102:103]
	v_fma_f64 v[80:81], v[80:81], v[6:7], v[106:107]
	v_fma_f64 v[94:95], v[38:39], v[2:3], -v[110:111]
	v_fma_f64 v[96:97], v[40:41], v[2:3], v[4:5]
	v_mul_f64 v[102:103], v[18:19], v[26:27]
	v_add_f64 v[62:63], v[62:63], v[50:51]
	v_mul_f64 v[84:85], v[44:45], v[26:27]
	v_mul_f64 v[26:27], v[42:43], v[26:27]
	v_fma_f64 v[38:39], v[38:39], v[6:7], -v[92:93]
	v_fma_f64 v[40:41], v[40:41], v[6:7], v[8:9]
	ds_read_b128 v[2:5], v30 offset:80
	ds_read_b128 v[50:53], v29 offset:2816
	v_add_f64 v[58:59], v[58:59], v[74:75]
	v_add_f64 v[54:55], v[64:65], v[54:55]
	v_fma_f64 v[88:89], v[16:17], v[20:21], -v[98:99]
	v_fma_f64 v[90:91], v[18:19], v[20:21], v[100:101]
	v_fma_f64 v[98:99], v[18:19], v[24:25], v[104:105]
	v_fma_f64 v[64:65], v[42:43], v[20:21], -v[70:71]
	v_add_f64 v[56:57], v[56:57], v[72:73]
	v_add_f64 v[60:61], v[76:77], v[60:61]
	v_fma_f64 v[70:71], v[44:45], v[20:21], v[22:23]
	v_add_f64 v[66:67], v[66:67], v[78:79]
	v_add_f64 v[68:69], v[80:81], v[68:69]
	;; [unrolled: 1-line block ×3, first 2 shown]
	s_waitcnt lgkmcnt(2)
	v_mul_f64 v[80:81], v[48:49], v[14:15]
	v_fma_f64 v[92:93], v[16:17], v[24:25], -v[102:103]
	v_add_f64 v[62:63], v[96:97], v[62:63]
	v_fma_f64 v[42:43], v[42:43], v[24:25], -v[84:85]
	v_fma_f64 v[44:45], v[44:45], v[24:25], v[26:27]
	s_waitcnt lgkmcnt(1)
	v_mul_f64 v[86:87], v[4:5], v[14:15]
	v_mul_f64 v[74:75], v[2:3], v[14:15]
	s_waitcnt lgkmcnt(0)
	v_mul_f64 v[76:77], v[4:5], v[52:53]
	v_mul_f64 v[78:79], v[2:3], v[52:53]
	v_mul_f64 v[14:15], v[46:47], v[14:15]
	v_mul_f64 v[82:83], v[48:49], v[52:53]
	v_mul_f64 v[52:53], v[46:47], v[52:53]
	v_add_f64 v[38:39], v[58:59], v[38:39]
	v_add_f64 v[40:41], v[40:41], v[54:55]
	ds_read_b128 v[6:9], v30 offset:96
	ds_read_b128 v[16:19], v29 offset:3072
	;; [unrolled: 1-line block ×4, first 2 shown]
	v_add_f64 v[54:55], v[56:57], v[88:89]
	v_add_f64 v[56:57], v[90:91], v[60:61]
	;; [unrolled: 1-line block ×3, first 2 shown]
	v_fma_f64 v[80:81], v[46:47], v[12:13], -v[80:81]
	v_add_f64 v[60:61], v[66:67], v[92:93]
	v_add_f64 v[66:67], v[98:99], v[68:69]
	;; [unrolled: 1-line block ×3, first 2 shown]
	v_fma_f64 v[58:59], v[2:3], v[12:13], -v[86:87]
	v_fma_f64 v[68:69], v[4:5], v[12:13], v[74:75]
	v_fma_f64 v[70:71], v[2:3], v[50:51], -v[76:77]
	v_fma_f64 v[72:73], v[4:5], v[50:51], v[78:79]
	ds_read_b128 v[2:5], v30 offset:112
	v_fma_f64 v[86:87], v[48:49], v[12:13], v[14:15]
	s_waitcnt lgkmcnt(3)
	v_mul_f64 v[74:75], v[8:9], v[18:19]
	v_mul_f64 v[76:77], v[6:7], v[18:19]
	s_waitcnt lgkmcnt(2)
	v_mul_f64 v[78:79], v[8:9], v[22:23]
	v_mul_f64 v[84:85], v[6:7], v[22:23]
	v_fma_f64 v[46:47], v[46:47], v[50:51], -v[82:83]
	v_fma_f64 v[48:49], v[48:49], v[50:51], v[52:53]
	v_add_f64 v[50:51], v[38:39], v[42:43]
	v_add_f64 v[52:53], v[44:45], v[40:41]
	s_waitcnt lgkmcnt(1)
	v_mul_f64 v[82:83], v[26:27], v[18:19]
	v_mul_f64 v[18:19], v[24:25], v[18:19]
	v_mul_f64 v[88:89], v[26:27], v[22:23]
	v_mul_f64 v[22:23], v[24:25], v[22:23]
	ds_read_b128 v[12:15], v30 offset:2160
	ds_read_b128 v[38:41], v29 offset:3584
	;; [unrolled: 1-line block ×3, first 2 shown]
	v_add_f64 v[64:65], v[64:65], v[80:81]
	s_waitcnt lgkmcnt(0)
	v_add_f64 v[54:55], v[54:55], v[58:59]
	v_add_f64 v[56:57], v[68:69], v[56:57]
	;; [unrolled: 1-line block ×4, first 2 shown]
	s_barrier
	v_add_f64 v[62:63], v[86:87], v[62:63]
	v_fma_f64 v[58:59], v[6:7], v[16:17], -v[74:75]
	v_fma_f64 v[68:69], v[8:9], v[16:17], v[76:77]
	v_fma_f64 v[6:7], v[6:7], v[20:21], -v[78:79]
	v_fma_f64 v[8:9], v[8:9], v[20:21], v[84:85]
	buffer_gl0_inv
	v_add_f64 v[46:47], v[50:51], v[46:47]
	v_add_f64 v[48:49], v[48:49], v[52:53]
	v_fma_f64 v[50:51], v[24:25], v[16:17], -v[82:83]
	v_fma_f64 v[16:17], v[26:27], v[16:17], v[18:19]
	v_fma_f64 v[18:19], v[24:25], v[20:21], -v[88:89]
	v_fma_f64 v[20:21], v[26:27], v[20:21], v[22:23]
	v_mul_f64 v[22:23], v[4:5], v[40:41]
	v_mul_f64 v[24:25], v[2:3], v[40:41]
	v_mul_f64 v[26:27], v[4:5], v[44:45]
	v_mul_f64 v[52:53], v[2:3], v[44:45]
	v_mul_f64 v[70:71], v[14:15], v[40:41]
	v_mul_f64 v[40:41], v[12:13], v[40:41]
	v_mul_f64 v[72:73], v[14:15], v[44:45]
	v_mul_f64 v[44:45], v[12:13], v[44:45]
	v_add_f64 v[54:55], v[54:55], v[58:59]
	v_add_f64 v[56:57], v[68:69], v[56:57]
	;; [unrolled: 1-line block ×8, first 2 shown]
	v_fma_f64 v[16:17], v[2:3], v[38:39], -v[22:23]
	v_fma_f64 v[18:19], v[4:5], v[38:39], v[24:25]
	v_fma_f64 v[2:3], v[2:3], v[42:43], -v[26:27]
	v_fma_f64 v[4:5], v[4:5], v[42:43], v[52:53]
	v_fma_f64 v[52:53], v[12:13], v[38:39], -v[70:71]
	v_fma_f64 v[38:39], v[14:15], v[38:39], v[40:41]
	v_fma_f64 v[12:13], v[12:13], v[42:43], -v[72:73]
	v_fma_f64 v[40:41], v[14:15], v[42:43], v[44:45]
	v_add_f64 v[24:25], v[54:55], v[16:17]
	v_add_f64 v[26:27], v[18:19], v[56:57]
	;; [unrolled: 1-line block ×8, first 2 shown]
	s_cbranch_vccz .LBB575_13
.LBB575_7:                              ; =>This Inner Loop Header: Depth=1
	v_mov_b32_e32 v2, 0
	v_mov_b32_e32 v4, 0
	;; [unrolled: 1-line block ×4, first 2 shown]
	s_and_saveexec_b32 s18, s0
	s_cbranch_execz .LBB575_11
; %bb.8:                                ;   in Loop: Header=BB575_7 Depth=1
	v_mov_b32_e32 v4, 0
	v_mov_b32_e32 v2, 0
	v_add_nc_u32_e32 v10, s4, v31
	v_mov_b32_e32 v5, 0
	v_mov_b32_e32 v3, 0
	s_mov_b32 s19, exec_lo
	v_cmpx_gt_u64_e64 s[12:13], v[10:11]
	s_cbranch_execz .LBB575_10
; %bb.9:                                ;   in Loop: Header=BB575_7 Depth=1
	v_lshlrev_b64 v[2:3], 4, v[10:11]
	v_add_co_u32 v2, vcc_lo, v36, v2
	v_add_co_ci_u32_e64 v3, null, v37, v3, vcc_lo
	flat_load_dwordx4 v[2:5], v[2:3]
	s_waitcnt vmcnt(0) lgkmcnt(0)
	v_xor_b32_e32 v5, 0x80000000, v5
.LBB575_10:                             ;   in Loop: Header=BB575_7 Depth=1
	s_or_b32 exec_lo, exec_lo, s19
.LBB575_11:                             ;   in Loop: Header=BB575_7 Depth=1
	s_or_b32 exec_lo, exec_lo, s18
	v_add_nc_u32_e32 v10, s4, v28
	v_mov_b32_e32 v6, 0
	v_mov_b32_e32 v8, 0
	;; [unrolled: 1-line block ×4, first 2 shown]
	v_cmp_gt_u64_e32 vcc_lo, s[12:13], v[10:11]
	ds_write_b128 v32, v[2:5]
	s_and_b32 s19, vcc_lo, s1
	s_and_saveexec_b32 s18, s19
	s_cbranch_execz .LBB575_6
; %bb.12:                               ;   in Loop: Header=BB575_7 Depth=1
	v_mad_u64_u32 v[2:3], null, s26, v10, 0
	v_mad_u64_u32 v[3:4], null, s27, v10, v[3:4]
	v_lshlrev_b64 v[2:3], 4, v[2:3]
	v_add_co_u32 v2, vcc_lo, v34, v2
	v_add_co_ci_u32_e64 v3, null, v35, v3, vcc_lo
	flat_load_dwordx4 v[6:9], v[2:3]
	s_waitcnt vmcnt(0) lgkmcnt(0)
	v_xor_b32_e32 v9, 0x80000000, v9
	s_branch .LBB575_6
.LBB575_13:
	v_add_nc_u32_e32 v11, s7, v1
	v_cmp_neq_f64_e64 s5, s[38:39], 0
	s_waitcnt lgkmcnt(0)
	s_lshl_b64 s[0:1], s[10:11], 4
	s_add_u32 s4, s2, s0
	v_ashrrev_i32_e32 v3, 31, v11
	v_mul_lo_u32 v4, s9, v11
	v_mad_u64_u32 v[1:2], null, s8, v11, 0
	s_addc_u32 s3, s3, s1
	v_mul_lo_u32 v3, s8, v3
	s_xor_b32 s2, s29, -1
	v_add3_u32 v2, v2, v3, v4
	v_add_nc_u32_e32 v4, s6, v0
	s_or_b32 s2, s5, s2
	v_lshlrev_b64 v[0:1], 4, v[1:2]
	v_cmp_le_i32_e32 vcc_lo, v11, v4
	v_cmp_gt_i32_e64 s0, s28, v4
	v_ashrrev_i32_e32 v5, 31, v4
	v_cndmask_b32_e64 v10, 0, 1, s2
	v_add_co_u32 v8, s1, s4, v0
	v_add_co_ci_u32_e64 v9, null, s3, v1, s1
	s_and_b32 s5, vcc_lo, s0
	s_and_saveexec_b32 s1, s5
	s_cbranch_execz .LBB575_17
; %bb.14:
	v_mul_f64 v[0:1], s[16:17], v[26:27]
	v_mul_f64 v[2:3], s[14:15], v[26:27]
	v_lshlrev_b64 v[6:7], 4, v[4:5]
	v_add_co_u32 v6, vcc_lo, v8, v6
	v_add_co_ci_u32_e64 v7, null, v9, v7, vcc_lo
	s_andn2_b32 vcc_lo, exec_lo, s2
	v_fma_f64 v[0:1], s[14:15], v[24:25], -v[0:1]
	v_fma_f64 v[2:3], s[16:17], v[24:25], v[2:3]
	s_cbranch_vccnz .LBB575_16
; %bb.15:
	flat_load_dwordx4 v[24:27], v[6:7]
	s_waitcnt vmcnt(0) lgkmcnt(0)
	v_mul_f64 v[28:29], s[40:41], v[26:27]
	v_mul_f64 v[26:27], s[38:39], v[26:27]
	v_fma_f64 v[28:29], s[38:39], v[24:25], -v[28:29]
	v_fma_f64 v[24:25], s[40:41], v[24:25], v[26:27]
	v_add_f64 v[0:1], v[0:1], v[28:29]
	v_add_f64 v[2:3], v[2:3], v[24:25]
.LBB575_16:
	flat_store_dwordx4 v[6:7], v[0:3]
.LBB575_17:
	s_or_b32 exec_lo, exec_lo, s1
	v_add_nc_u32_e32 v6, 16, v4
	v_cmp_le_i32_e32 vcc_lo, v11, v6
	v_cmp_gt_i32_e64 s1, s28, v6
	v_ashrrev_i32_e32 v7, 31, v6
	s_and_b32 s2, vcc_lo, s1
	s_and_saveexec_b32 s5, s2
	s_cbranch_execz .LBB575_21
; %bb.18:
	v_mul_f64 v[0:1], s[16:17], v[22:23]
	v_mul_f64 v[2:3], s[14:15], v[22:23]
	v_cmp_ne_u32_e32 vcc_lo, 1, v10
	s_and_b32 vcc_lo, exec_lo, vcc_lo
	v_fma_f64 v[0:1], s[14:15], v[20:21], -v[0:1]
	v_fma_f64 v[2:3], s[16:17], v[20:21], v[2:3]
	v_lshlrev_b64 v[20:21], 4, v[6:7]
	v_add_co_u32 v8, s2, v8, v20
	v_add_co_ci_u32_e64 v9, null, v9, v21, s2
	s_cbranch_vccnz .LBB575_20
; %bb.19:
	flat_load_dwordx4 v[20:23], v[8:9]
	s_waitcnt vmcnt(0) lgkmcnt(0)
	v_mul_f64 v[24:25], s[40:41], v[22:23]
	v_mul_f64 v[22:23], s[38:39], v[22:23]
	v_fma_f64 v[24:25], s[38:39], v[20:21], -v[24:25]
	v_fma_f64 v[20:21], s[40:41], v[20:21], v[22:23]
	v_add_f64 v[0:1], v[0:1], v[24:25]
	v_add_f64 v[2:3], v[2:3], v[20:21]
.LBB575_20:
	flat_store_dwordx4 v[8:9], v[0:3]
.LBB575_21:
	s_or_b32 exec_lo, exec_lo, s5
	v_add_nc_u32_e32 v11, 16, v11
	v_ashrrev_i32_e32 v2, 31, v11
	v_mul_lo_u32 v3, s9, v11
	v_mad_u64_u32 v[0:1], null, s8, v11, 0
	v_cmp_le_i32_e32 vcc_lo, v11, v4
	v_mul_lo_u32 v2, s8, v2
	s_and_b32 s0, vcc_lo, s0
	v_add3_u32 v1, v1, v2, v3
	v_lshlrev_b64 v[0:1], 4, v[0:1]
	v_add_co_u32 v8, s2, s4, v0
	v_add_co_ci_u32_e64 v9, null, s3, v1, s2
	s_and_saveexec_b32 s2, s0
	s_cbranch_execz .LBB575_25
; %bb.22:
	v_mul_f64 v[0:1], s[16:17], v[18:19]
	v_mul_f64 v[2:3], s[14:15], v[18:19]
	v_lshlrev_b64 v[4:5], 4, v[4:5]
	v_cmp_ne_u32_e32 vcc_lo, 1, v10
	s_and_b32 vcc_lo, exec_lo, vcc_lo
	v_add_co_u32 v4, s0, v8, v4
	v_add_co_ci_u32_e64 v5, null, v9, v5, s0
	v_fma_f64 v[0:1], s[14:15], v[16:17], -v[0:1]
	v_fma_f64 v[2:3], s[16:17], v[16:17], v[2:3]
	s_cbranch_vccnz .LBB575_24
; %bb.23:
	flat_load_dwordx4 v[16:19], v[4:5]
	s_waitcnt vmcnt(0) lgkmcnt(0)
	v_mul_f64 v[20:21], s[40:41], v[18:19]
	v_mul_f64 v[18:19], s[38:39], v[18:19]
	v_fma_f64 v[20:21], s[38:39], v[16:17], -v[20:21]
	v_fma_f64 v[16:17], s[40:41], v[16:17], v[18:19]
	v_add_f64 v[0:1], v[0:1], v[20:21]
	v_add_f64 v[2:3], v[2:3], v[16:17]
.LBB575_24:
	flat_store_dwordx4 v[4:5], v[0:3]
.LBB575_25:
	s_or_b32 exec_lo, exec_lo, s2
	v_cmp_le_i32_e32 vcc_lo, v11, v6
	s_and_b32 s0, vcc_lo, s1
	s_and_saveexec_b32 s1, s0
	s_cbranch_execz .LBB575_30
; %bb.26:
	v_mul_f64 v[0:1], s[16:17], v[12:13]
	v_mul_f64 v[2:3], s[14:15], v[12:13]
	v_lshlrev_b64 v[4:5], 4, v[6:7]
	v_cmp_ne_u32_e32 vcc_lo, 1, v10
	s_and_b32 vcc_lo, exec_lo, vcc_lo
	v_add_co_u32 v4, s0, v8, v4
	v_add_co_ci_u32_e64 v5, null, v9, v5, s0
	v_fma_f64 v[0:1], s[14:15], v[14:15], -v[0:1]
	v_fma_f64 v[2:3], s[16:17], v[14:15], v[2:3]
	s_cbranch_vccnz .LBB575_28
; %bb.27:
	flat_load_dwordx4 v[6:9], v[4:5]
	s_waitcnt vmcnt(0) lgkmcnt(0)
	v_mul_f64 v[10:11], s[40:41], v[8:9]
	v_mul_f64 v[8:9], s[38:39], v[8:9]
	v_fma_f64 v[10:11], s[38:39], v[6:7], -v[10:11]
	v_fma_f64 v[6:7], s[40:41], v[6:7], v[8:9]
	v_add_f64 v[0:1], v[0:1], v[10:11]
	v_add_f64 v[2:3], v[2:3], v[6:7]
.LBB575_28:
	flat_store_dwordx4 v[4:5], v[0:3]
	s_endpgm
.LBB575_29:
.LBB575_30:
	s_endpgm
	.section	.rodata,"a",@progbits
	.p2align	6, 0x0
	.amdhsa_kernel _ZL29rocblas_internal_gemmt_kernelIlLi16ELi32ELi8ELc67ELc67ELc76ELb1ELb1E19rocblas_complex_numIdES1_PKPKS1_PKPS1_EviT_T9_T10_S9_lSB_S9_lSA_T11_S9_li
		.amdhsa_group_segment_fixed_size 8192
		.amdhsa_private_segment_fixed_size 0
		.amdhsa_kernarg_size 124
		.amdhsa_user_sgpr_count 6
		.amdhsa_user_sgpr_private_segment_buffer 1
		.amdhsa_user_sgpr_dispatch_ptr 0
		.amdhsa_user_sgpr_queue_ptr 0
		.amdhsa_user_sgpr_kernarg_segment_ptr 1
		.amdhsa_user_sgpr_dispatch_id 0
		.amdhsa_user_sgpr_flat_scratch_init 0
		.amdhsa_user_sgpr_private_segment_size 0
		.amdhsa_wavefront_size32 1
		.amdhsa_uses_dynamic_stack 0
		.amdhsa_system_sgpr_private_segment_wavefront_offset 0
		.amdhsa_system_sgpr_workgroup_id_x 1
		.amdhsa_system_sgpr_workgroup_id_y 1
		.amdhsa_system_sgpr_workgroup_id_z 1
		.amdhsa_system_sgpr_workgroup_info 0
		.amdhsa_system_vgpr_workitem_id 1
		.amdhsa_next_free_vgpr 118
		.amdhsa_next_free_sgpr 44
		.amdhsa_reserve_vcc 1
		.amdhsa_reserve_flat_scratch 0
		.amdhsa_float_round_mode_32 0
		.amdhsa_float_round_mode_16_64 0
		.amdhsa_float_denorm_mode_32 3
		.amdhsa_float_denorm_mode_16_64 3
		.amdhsa_dx10_clamp 1
		.amdhsa_ieee_mode 1
		.amdhsa_fp16_overflow 0
		.amdhsa_workgroup_processor_mode 1
		.amdhsa_memory_ordered 1
		.amdhsa_forward_progress 1
		.amdhsa_shared_vgpr_count 0
		.amdhsa_exception_fp_ieee_invalid_op 0
		.amdhsa_exception_fp_denorm_src 0
		.amdhsa_exception_fp_ieee_div_zero 0
		.amdhsa_exception_fp_ieee_overflow 0
		.amdhsa_exception_fp_ieee_underflow 0
		.amdhsa_exception_fp_ieee_inexact 0
		.amdhsa_exception_int_div_zero 0
	.end_amdhsa_kernel
	.section	.text._ZL29rocblas_internal_gemmt_kernelIlLi16ELi32ELi8ELc67ELc67ELc76ELb1ELb1E19rocblas_complex_numIdES1_PKPKS1_PKPS1_EviT_T9_T10_S9_lSB_S9_lSA_T11_S9_li,"axG",@progbits,_ZL29rocblas_internal_gemmt_kernelIlLi16ELi32ELi8ELc67ELc67ELc76ELb1ELb1E19rocblas_complex_numIdES1_PKPKS1_PKPS1_EviT_T9_T10_S9_lSB_S9_lSA_T11_S9_li,comdat
.Lfunc_end575:
	.size	_ZL29rocblas_internal_gemmt_kernelIlLi16ELi32ELi8ELc67ELc67ELc76ELb1ELb1E19rocblas_complex_numIdES1_PKPKS1_PKPS1_EviT_T9_T10_S9_lSB_S9_lSA_T11_S9_li, .Lfunc_end575-_ZL29rocblas_internal_gemmt_kernelIlLi16ELi32ELi8ELc67ELc67ELc76ELb1ELb1E19rocblas_complex_numIdES1_PKPKS1_PKPS1_EviT_T9_T10_S9_lSB_S9_lSA_T11_S9_li
                                        ; -- End function
	.set _ZL29rocblas_internal_gemmt_kernelIlLi16ELi32ELi8ELc67ELc67ELc76ELb1ELb1E19rocblas_complex_numIdES1_PKPKS1_PKPS1_EviT_T9_T10_S9_lSB_S9_lSA_T11_S9_li.num_vgpr, 118
	.set _ZL29rocblas_internal_gemmt_kernelIlLi16ELi32ELi8ELc67ELc67ELc76ELb1ELb1E19rocblas_complex_numIdES1_PKPKS1_PKPS1_EviT_T9_T10_S9_lSB_S9_lSA_T11_S9_li.num_agpr, 0
	.set _ZL29rocblas_internal_gemmt_kernelIlLi16ELi32ELi8ELc67ELc67ELc76ELb1ELb1E19rocblas_complex_numIdES1_PKPKS1_PKPS1_EviT_T9_T10_S9_lSB_S9_lSA_T11_S9_li.numbered_sgpr, 44
	.set _ZL29rocblas_internal_gemmt_kernelIlLi16ELi32ELi8ELc67ELc67ELc76ELb1ELb1E19rocblas_complex_numIdES1_PKPKS1_PKPS1_EviT_T9_T10_S9_lSB_S9_lSA_T11_S9_li.num_named_barrier, 0
	.set _ZL29rocblas_internal_gemmt_kernelIlLi16ELi32ELi8ELc67ELc67ELc76ELb1ELb1E19rocblas_complex_numIdES1_PKPKS1_PKPS1_EviT_T9_T10_S9_lSB_S9_lSA_T11_S9_li.private_seg_size, 0
	.set _ZL29rocblas_internal_gemmt_kernelIlLi16ELi32ELi8ELc67ELc67ELc76ELb1ELb1E19rocblas_complex_numIdES1_PKPKS1_PKPS1_EviT_T9_T10_S9_lSB_S9_lSA_T11_S9_li.uses_vcc, 1
	.set _ZL29rocblas_internal_gemmt_kernelIlLi16ELi32ELi8ELc67ELc67ELc76ELb1ELb1E19rocblas_complex_numIdES1_PKPKS1_PKPS1_EviT_T9_T10_S9_lSB_S9_lSA_T11_S9_li.uses_flat_scratch, 0
	.set _ZL29rocblas_internal_gemmt_kernelIlLi16ELi32ELi8ELc67ELc67ELc76ELb1ELb1E19rocblas_complex_numIdES1_PKPKS1_PKPS1_EviT_T9_T10_S9_lSB_S9_lSA_T11_S9_li.has_dyn_sized_stack, 0
	.set _ZL29rocblas_internal_gemmt_kernelIlLi16ELi32ELi8ELc67ELc67ELc76ELb1ELb1E19rocblas_complex_numIdES1_PKPKS1_PKPS1_EviT_T9_T10_S9_lSB_S9_lSA_T11_S9_li.has_recursion, 0
	.set _ZL29rocblas_internal_gemmt_kernelIlLi16ELi32ELi8ELc67ELc67ELc76ELb1ELb1E19rocblas_complex_numIdES1_PKPKS1_PKPS1_EviT_T9_T10_S9_lSB_S9_lSA_T11_S9_li.has_indirect_call, 0
	.section	.AMDGPU.csdata,"",@progbits
; Kernel info:
; codeLenInByte = 3556
; TotalNumSgprs: 46
; NumVgprs: 118
; ScratchSize: 0
; MemoryBound: 1
; FloatMode: 240
; IeeeMode: 1
; LDSByteSize: 8192 bytes/workgroup (compile time only)
; SGPRBlocks: 0
; VGPRBlocks: 14
; NumSGPRsForWavesPerEU: 46
; NumVGPRsForWavesPerEU: 118
; Occupancy: 8
; WaveLimiterHint : 1
; COMPUTE_PGM_RSRC2:SCRATCH_EN: 0
; COMPUTE_PGM_RSRC2:USER_SGPR: 6
; COMPUTE_PGM_RSRC2:TRAP_HANDLER: 0
; COMPUTE_PGM_RSRC2:TGID_X_EN: 1
; COMPUTE_PGM_RSRC2:TGID_Y_EN: 1
; COMPUTE_PGM_RSRC2:TGID_Z_EN: 1
; COMPUTE_PGM_RSRC2:TIDIG_COMP_CNT: 1
	.section	.AMDGPU.gpr_maximums,"",@progbits
	.set amdgpu.max_num_vgpr, 0
	.set amdgpu.max_num_agpr, 0
	.set amdgpu.max_num_sgpr, 0
	.section	.AMDGPU.csdata,"",@progbits
	.type	__hip_cuid_b6cff185a2c0fe0c,@object ; @__hip_cuid_b6cff185a2c0fe0c
	.section	.bss,"aw",@nobits
	.globl	__hip_cuid_b6cff185a2c0fe0c
__hip_cuid_b6cff185a2c0fe0c:
	.byte	0                               ; 0x0
	.size	__hip_cuid_b6cff185a2c0fe0c, 1

	.ident	"AMD clang version 22.0.0git (https://github.com/RadeonOpenCompute/llvm-project roc-7.2.4 26084 f58b06dce1f9c15707c5f808fd002e18c2accf7e)"
	.section	".note.GNU-stack","",@progbits
	.addrsig
	.addrsig_sym __hip_cuid_b6cff185a2c0fe0c
	.amdgpu_metadata
---
amdhsa.kernels:
  - .args:
      - .offset:         0
        .size:           4
        .value_kind:     by_value
      - .offset:         4
        .size:           4
        .value_kind:     by_value
      - .address_space:  global
        .offset:         8
        .size:           8
        .value_kind:     global_buffer
      - .address_space:  global
        .offset:         16
        .size:           8
        .value_kind:     global_buffer
      - .offset:         24
        .size:           4
        .value_kind:     by_value
      - .offset:         32
        .size:           8
        .value_kind:     by_value
      - .address_space:  global
        .offset:         40
        .size:           8
        .value_kind:     global_buffer
      - .offset:         48
        .size:           4
        .value_kind:     by_value
      - .offset:         56
        .size:           8
        .value_kind:     by_value
      - .address_space:  global
        .offset:         64
        .size:           8
        .value_kind:     global_buffer
      - .address_space:  global
        .offset:         72
        .size:           8
        .value_kind:     global_buffer
      - .offset:         80
        .size:           4
        .value_kind:     by_value
      - .offset:         88
        .size:           8
        .value_kind:     by_value
      - .offset:         96
        .size:           4
        .value_kind:     by_value
    .group_segment_fixed_size: 2048
    .kernarg_segment_align: 8
    .kernarg_segment_size: 100
    .language:       OpenCL C
    .language_version:
      - 2
      - 0
    .max_flat_workgroup_size: 256
    .name:           _ZL29rocblas_internal_gemmt_kernelIiLi16ELi32ELi8ELc78ELc78ELc85ELb0ELb0EfPKfS1_PfEviT_T9_T10_S3_lS5_S3_lS4_T11_S3_li
    .private_segment_fixed_size: 0
    .sgpr_count:     26
    .sgpr_spill_count: 0
    .symbol:         _ZL29rocblas_internal_gemmt_kernelIiLi16ELi32ELi8ELc78ELc78ELc85ELb0ELb0EfPKfS1_PfEviT_T9_T10_S3_lS5_S3_lS4_T11_S3_li.kd
    .uniform_work_group_size: 1
    .uses_dynamic_stack: false
    .vgpr_count:     42
    .vgpr_spill_count: 0
    .wavefront_size: 32
    .workgroup_processor_mode: 1
  - .args:
      - .offset:         0
        .size:           4
        .value_kind:     by_value
      - .offset:         4
        .size:           4
        .value_kind:     by_value
      - .address_space:  global
        .offset:         8
        .size:           8
        .value_kind:     global_buffer
      - .address_space:  global
        .offset:         16
        .size:           8
        .value_kind:     global_buffer
      - .offset:         24
        .size:           4
        .value_kind:     by_value
      - .offset:         32
        .size:           8
        .value_kind:     by_value
      - .address_space:  global
        .offset:         40
        .size:           8
        .value_kind:     global_buffer
      - .offset:         48
        .size:           4
        .value_kind:     by_value
      - .offset:         56
        .size:           8
        .value_kind:     by_value
      - .address_space:  global
        .offset:         64
        .size:           8
        .value_kind:     global_buffer
      - .address_space:  global
        .offset:         72
        .size:           8
        .value_kind:     global_buffer
      - .offset:         80
        .size:           4
        .value_kind:     by_value
      - .offset:         88
        .size:           8
        .value_kind:     by_value
      - .offset:         96
        .size:           4
        .value_kind:     by_value
    .group_segment_fixed_size: 2048
    .kernarg_segment_align: 8
    .kernarg_segment_size: 100
    .language:       OpenCL C
    .language_version:
      - 2
      - 0
    .max_flat_workgroup_size: 256
    .name:           _ZL29rocblas_internal_gemmt_kernelIiLi16ELi32ELi8ELc78ELc84ELc85ELb0ELb0EfPKfS1_PfEviT_T9_T10_S3_lS5_S3_lS4_T11_S3_li
    .private_segment_fixed_size: 0
    .sgpr_count:     28
    .sgpr_spill_count: 0
    .symbol:         _ZL29rocblas_internal_gemmt_kernelIiLi16ELi32ELi8ELc78ELc84ELc85ELb0ELb0EfPKfS1_PfEviT_T9_T10_S3_lS5_S3_lS4_T11_S3_li.kd
    .uniform_work_group_size: 1
    .uses_dynamic_stack: false
    .vgpr_count:     42
    .vgpr_spill_count: 0
    .wavefront_size: 32
    .workgroup_processor_mode: 1
  - .args:
      - .offset:         0
        .size:           4
        .value_kind:     by_value
      - .offset:         4
        .size:           4
        .value_kind:     by_value
      - .address_space:  global
        .offset:         8
        .size:           8
        .value_kind:     global_buffer
      - .address_space:  global
        .offset:         16
        .size:           8
        .value_kind:     global_buffer
      - .offset:         24
        .size:           4
        .value_kind:     by_value
      - .offset:         32
        .size:           8
        .value_kind:     by_value
      - .address_space:  global
        .offset:         40
        .size:           8
        .value_kind:     global_buffer
      - .offset:         48
        .size:           4
        .value_kind:     by_value
      - .offset:         56
        .size:           8
        .value_kind:     by_value
      - .address_space:  global
        .offset:         64
        .size:           8
        .value_kind:     global_buffer
      - .address_space:  global
        .offset:         72
        .size:           8
        .value_kind:     global_buffer
      - .offset:         80
        .size:           4
        .value_kind:     by_value
      - .offset:         88
        .size:           8
        .value_kind:     by_value
      - .offset:         96
        .size:           4
        .value_kind:     by_value
    .group_segment_fixed_size: 2048
    .kernarg_segment_align: 8
    .kernarg_segment_size: 100
    .language:       OpenCL C
    .language_version:
      - 2
      - 0
    .max_flat_workgroup_size: 256
    .name:           _ZL29rocblas_internal_gemmt_kernelIiLi16ELi32ELi8ELc78ELc67ELc85ELb0ELb0EfPKfS1_PfEviT_T9_T10_S3_lS5_S3_lS4_T11_S3_li
    .private_segment_fixed_size: 0
    .sgpr_count:     28
    .sgpr_spill_count: 0
    .symbol:         _ZL29rocblas_internal_gemmt_kernelIiLi16ELi32ELi8ELc78ELc67ELc85ELb0ELb0EfPKfS1_PfEviT_T9_T10_S3_lS5_S3_lS4_T11_S3_li.kd
    .uniform_work_group_size: 1
    .uses_dynamic_stack: false
    .vgpr_count:     42
    .vgpr_spill_count: 0
    .wavefront_size: 32
    .workgroup_processor_mode: 1
  - .args:
      - .offset:         0
        .size:           4
        .value_kind:     by_value
      - .offset:         4
        .size:           4
        .value_kind:     by_value
      - .address_space:  global
        .offset:         8
        .size:           8
        .value_kind:     global_buffer
      - .address_space:  global
        .offset:         16
        .size:           8
        .value_kind:     global_buffer
      - .offset:         24
        .size:           4
        .value_kind:     by_value
      - .offset:         32
        .size:           8
        .value_kind:     by_value
      - .address_space:  global
        .offset:         40
        .size:           8
        .value_kind:     global_buffer
      - .offset:         48
        .size:           4
        .value_kind:     by_value
      - .offset:         56
        .size:           8
        .value_kind:     by_value
      - .address_space:  global
        .offset:         64
        .size:           8
        .value_kind:     global_buffer
      - .address_space:  global
        .offset:         72
        .size:           8
        .value_kind:     global_buffer
      - .offset:         80
        .size:           4
        .value_kind:     by_value
      - .offset:         88
        .size:           8
        .value_kind:     by_value
      - .offset:         96
        .size:           4
        .value_kind:     by_value
    .group_segment_fixed_size: 2048
    .kernarg_segment_align: 8
    .kernarg_segment_size: 100
    .language:       OpenCL C
    .language_version:
      - 2
      - 0
    .max_flat_workgroup_size: 256
    .name:           _ZL29rocblas_internal_gemmt_kernelIiLi16ELi32ELi8ELc84ELc78ELc85ELb0ELb0EfPKfS1_PfEviT_T9_T10_S3_lS5_S3_lS4_T11_S3_li
    .private_segment_fixed_size: 0
    .sgpr_count:     25
    .sgpr_spill_count: 0
    .symbol:         _ZL29rocblas_internal_gemmt_kernelIiLi16ELi32ELi8ELc84ELc78ELc85ELb0ELb0EfPKfS1_PfEviT_T9_T10_S3_lS5_S3_lS4_T11_S3_li.kd
    .uniform_work_group_size: 1
    .uses_dynamic_stack: false
    .vgpr_count:     42
    .vgpr_spill_count: 0
    .wavefront_size: 32
    .workgroup_processor_mode: 1
  - .args:
      - .offset:         0
        .size:           4
        .value_kind:     by_value
      - .offset:         4
        .size:           4
        .value_kind:     by_value
      - .address_space:  global
        .offset:         8
        .size:           8
        .value_kind:     global_buffer
      - .address_space:  global
        .offset:         16
        .size:           8
        .value_kind:     global_buffer
      - .offset:         24
        .size:           4
        .value_kind:     by_value
      - .offset:         32
        .size:           8
        .value_kind:     by_value
      - .address_space:  global
        .offset:         40
        .size:           8
        .value_kind:     global_buffer
      - .offset:         48
        .size:           4
        .value_kind:     by_value
      - .offset:         56
        .size:           8
        .value_kind:     by_value
      - .address_space:  global
        .offset:         64
        .size:           8
        .value_kind:     global_buffer
      - .address_space:  global
        .offset:         72
        .size:           8
        .value_kind:     global_buffer
      - .offset:         80
        .size:           4
        .value_kind:     by_value
      - .offset:         88
        .size:           8
        .value_kind:     by_value
      - .offset:         96
        .size:           4
        .value_kind:     by_value
    .group_segment_fixed_size: 2048
    .kernarg_segment_align: 8
    .kernarg_segment_size: 100
    .language:       OpenCL C
    .language_version:
      - 2
      - 0
    .max_flat_workgroup_size: 256
    .name:           _ZL29rocblas_internal_gemmt_kernelIiLi16ELi32ELi8ELc84ELc84ELc85ELb0ELb0EfPKfS1_PfEviT_T9_T10_S3_lS5_S3_lS4_T11_S3_li
    .private_segment_fixed_size: 0
    .sgpr_count:     26
    .sgpr_spill_count: 0
    .symbol:         _ZL29rocblas_internal_gemmt_kernelIiLi16ELi32ELi8ELc84ELc84ELc85ELb0ELb0EfPKfS1_PfEviT_T9_T10_S3_lS5_S3_lS4_T11_S3_li.kd
    .uniform_work_group_size: 1
    .uses_dynamic_stack: false
    .vgpr_count:     42
    .vgpr_spill_count: 0
    .wavefront_size: 32
    .workgroup_processor_mode: 1
  - .args:
      - .offset:         0
        .size:           4
        .value_kind:     by_value
      - .offset:         4
        .size:           4
        .value_kind:     by_value
      - .address_space:  global
        .offset:         8
        .size:           8
        .value_kind:     global_buffer
      - .address_space:  global
        .offset:         16
        .size:           8
        .value_kind:     global_buffer
      - .offset:         24
        .size:           4
        .value_kind:     by_value
      - .offset:         32
        .size:           8
        .value_kind:     by_value
      - .address_space:  global
        .offset:         40
        .size:           8
        .value_kind:     global_buffer
      - .offset:         48
        .size:           4
        .value_kind:     by_value
      - .offset:         56
        .size:           8
        .value_kind:     by_value
      - .address_space:  global
        .offset:         64
        .size:           8
        .value_kind:     global_buffer
      - .address_space:  global
        .offset:         72
        .size:           8
        .value_kind:     global_buffer
      - .offset:         80
        .size:           4
        .value_kind:     by_value
      - .offset:         88
        .size:           8
        .value_kind:     by_value
      - .offset:         96
        .size:           4
        .value_kind:     by_value
    .group_segment_fixed_size: 2048
    .kernarg_segment_align: 8
    .kernarg_segment_size: 100
    .language:       OpenCL C
    .language_version:
      - 2
      - 0
    .max_flat_workgroup_size: 256
    .name:           _ZL29rocblas_internal_gemmt_kernelIiLi16ELi32ELi8ELc84ELc67ELc85ELb0ELb0EfPKfS1_PfEviT_T9_T10_S3_lS5_S3_lS4_T11_S3_li
    .private_segment_fixed_size: 0
    .sgpr_count:     26
    .sgpr_spill_count: 0
    .symbol:         _ZL29rocblas_internal_gemmt_kernelIiLi16ELi32ELi8ELc84ELc67ELc85ELb0ELb0EfPKfS1_PfEviT_T9_T10_S3_lS5_S3_lS4_T11_S3_li.kd
    .uniform_work_group_size: 1
    .uses_dynamic_stack: false
    .vgpr_count:     42
    .vgpr_spill_count: 0
    .wavefront_size: 32
    .workgroup_processor_mode: 1
  - .args:
      - .offset:         0
        .size:           4
        .value_kind:     by_value
      - .offset:         4
        .size:           4
        .value_kind:     by_value
      - .address_space:  global
        .offset:         8
        .size:           8
        .value_kind:     global_buffer
      - .address_space:  global
        .offset:         16
        .size:           8
        .value_kind:     global_buffer
      - .offset:         24
        .size:           4
        .value_kind:     by_value
      - .offset:         32
        .size:           8
        .value_kind:     by_value
      - .address_space:  global
        .offset:         40
        .size:           8
        .value_kind:     global_buffer
      - .offset:         48
        .size:           4
        .value_kind:     by_value
      - .offset:         56
        .size:           8
        .value_kind:     by_value
      - .address_space:  global
        .offset:         64
        .size:           8
        .value_kind:     global_buffer
      - .address_space:  global
        .offset:         72
        .size:           8
        .value_kind:     global_buffer
      - .offset:         80
        .size:           4
        .value_kind:     by_value
      - .offset:         88
        .size:           8
        .value_kind:     by_value
      - .offset:         96
        .size:           4
        .value_kind:     by_value
    .group_segment_fixed_size: 2048
    .kernarg_segment_align: 8
    .kernarg_segment_size: 100
    .language:       OpenCL C
    .language_version:
      - 2
      - 0
    .max_flat_workgroup_size: 256
    .name:           _ZL29rocblas_internal_gemmt_kernelIiLi16ELi32ELi8ELc67ELc78ELc85ELb0ELb0EfPKfS1_PfEviT_T9_T10_S3_lS5_S3_lS4_T11_S3_li
    .private_segment_fixed_size: 0
    .sgpr_count:     25
    .sgpr_spill_count: 0
    .symbol:         _ZL29rocblas_internal_gemmt_kernelIiLi16ELi32ELi8ELc67ELc78ELc85ELb0ELb0EfPKfS1_PfEviT_T9_T10_S3_lS5_S3_lS4_T11_S3_li.kd
    .uniform_work_group_size: 1
    .uses_dynamic_stack: false
    .vgpr_count:     42
    .vgpr_spill_count: 0
    .wavefront_size: 32
    .workgroup_processor_mode: 1
  - .args:
      - .offset:         0
        .size:           4
        .value_kind:     by_value
      - .offset:         4
        .size:           4
        .value_kind:     by_value
      - .address_space:  global
        .offset:         8
        .size:           8
        .value_kind:     global_buffer
      - .address_space:  global
        .offset:         16
        .size:           8
        .value_kind:     global_buffer
      - .offset:         24
        .size:           4
        .value_kind:     by_value
      - .offset:         32
        .size:           8
        .value_kind:     by_value
      - .address_space:  global
        .offset:         40
        .size:           8
        .value_kind:     global_buffer
      - .offset:         48
        .size:           4
        .value_kind:     by_value
      - .offset:         56
        .size:           8
        .value_kind:     by_value
      - .address_space:  global
        .offset:         64
        .size:           8
        .value_kind:     global_buffer
      - .address_space:  global
        .offset:         72
        .size:           8
        .value_kind:     global_buffer
      - .offset:         80
        .size:           4
        .value_kind:     by_value
      - .offset:         88
        .size:           8
        .value_kind:     by_value
      - .offset:         96
        .size:           4
        .value_kind:     by_value
    .group_segment_fixed_size: 2048
    .kernarg_segment_align: 8
    .kernarg_segment_size: 100
    .language:       OpenCL C
    .language_version:
      - 2
      - 0
    .max_flat_workgroup_size: 256
    .name:           _ZL29rocblas_internal_gemmt_kernelIiLi16ELi32ELi8ELc67ELc84ELc85ELb0ELb0EfPKfS1_PfEviT_T9_T10_S3_lS5_S3_lS4_T11_S3_li
    .private_segment_fixed_size: 0
    .sgpr_count:     26
    .sgpr_spill_count: 0
    .symbol:         _ZL29rocblas_internal_gemmt_kernelIiLi16ELi32ELi8ELc67ELc84ELc85ELb0ELb0EfPKfS1_PfEviT_T9_T10_S3_lS5_S3_lS4_T11_S3_li.kd
    .uniform_work_group_size: 1
    .uses_dynamic_stack: false
    .vgpr_count:     42
    .vgpr_spill_count: 0
    .wavefront_size: 32
    .workgroup_processor_mode: 1
  - .args:
      - .offset:         0
        .size:           4
        .value_kind:     by_value
      - .offset:         4
        .size:           4
        .value_kind:     by_value
      - .address_space:  global
        .offset:         8
        .size:           8
        .value_kind:     global_buffer
      - .address_space:  global
        .offset:         16
        .size:           8
        .value_kind:     global_buffer
      - .offset:         24
        .size:           4
        .value_kind:     by_value
      - .offset:         32
        .size:           8
        .value_kind:     by_value
      - .address_space:  global
        .offset:         40
        .size:           8
        .value_kind:     global_buffer
      - .offset:         48
        .size:           4
        .value_kind:     by_value
      - .offset:         56
        .size:           8
        .value_kind:     by_value
      - .address_space:  global
        .offset:         64
        .size:           8
        .value_kind:     global_buffer
      - .address_space:  global
        .offset:         72
        .size:           8
        .value_kind:     global_buffer
      - .offset:         80
        .size:           4
        .value_kind:     by_value
      - .offset:         88
        .size:           8
        .value_kind:     by_value
      - .offset:         96
        .size:           4
        .value_kind:     by_value
    .group_segment_fixed_size: 2048
    .kernarg_segment_align: 8
    .kernarg_segment_size: 100
    .language:       OpenCL C
    .language_version:
      - 2
      - 0
    .max_flat_workgroup_size: 256
    .name:           _ZL29rocblas_internal_gemmt_kernelIiLi16ELi32ELi8ELc67ELc67ELc85ELb0ELb0EfPKfS1_PfEviT_T9_T10_S3_lS5_S3_lS4_T11_S3_li
    .private_segment_fixed_size: 0
    .sgpr_count:     26
    .sgpr_spill_count: 0
    .symbol:         _ZL29rocblas_internal_gemmt_kernelIiLi16ELi32ELi8ELc67ELc67ELc85ELb0ELb0EfPKfS1_PfEviT_T9_T10_S3_lS5_S3_lS4_T11_S3_li.kd
    .uniform_work_group_size: 1
    .uses_dynamic_stack: false
    .vgpr_count:     42
    .vgpr_spill_count: 0
    .wavefront_size: 32
    .workgroup_processor_mode: 1
  - .args:
      - .offset:         0
        .size:           4
        .value_kind:     by_value
      - .offset:         4
        .size:           4
        .value_kind:     by_value
      - .address_space:  global
        .offset:         8
        .size:           8
        .value_kind:     global_buffer
      - .address_space:  global
        .offset:         16
        .size:           8
        .value_kind:     global_buffer
      - .offset:         24
        .size:           4
        .value_kind:     by_value
      - .offset:         32
        .size:           8
        .value_kind:     by_value
      - .address_space:  global
        .offset:         40
        .size:           8
        .value_kind:     global_buffer
      - .offset:         48
        .size:           4
        .value_kind:     by_value
      - .offset:         56
        .size:           8
        .value_kind:     by_value
      - .address_space:  global
        .offset:         64
        .size:           8
        .value_kind:     global_buffer
      - .address_space:  global
        .offset:         72
        .size:           8
        .value_kind:     global_buffer
      - .offset:         80
        .size:           4
        .value_kind:     by_value
      - .offset:         88
        .size:           8
        .value_kind:     by_value
      - .offset:         96
        .size:           4
        .value_kind:     by_value
    .group_segment_fixed_size: 2048
    .kernarg_segment_align: 8
    .kernarg_segment_size: 100
    .language:       OpenCL C
    .language_version:
      - 2
      - 0
    .max_flat_workgroup_size: 256
    .name:           _ZL29rocblas_internal_gemmt_kernelIiLi16ELi32ELi8ELc78ELc78ELc76ELb0ELb0EfPKfS1_PfEviT_T9_T10_S3_lS5_S3_lS4_T11_S3_li
    .private_segment_fixed_size: 0
    .sgpr_count:     26
    .sgpr_spill_count: 0
    .symbol:         _ZL29rocblas_internal_gemmt_kernelIiLi16ELi32ELi8ELc78ELc78ELc76ELb0ELb0EfPKfS1_PfEviT_T9_T10_S3_lS5_S3_lS4_T11_S3_li.kd
    .uniform_work_group_size: 1
    .uses_dynamic_stack: false
    .vgpr_count:     42
    .vgpr_spill_count: 0
    .wavefront_size: 32
    .workgroup_processor_mode: 1
  - .args:
      - .offset:         0
        .size:           4
        .value_kind:     by_value
      - .offset:         4
        .size:           4
        .value_kind:     by_value
      - .address_space:  global
        .offset:         8
        .size:           8
        .value_kind:     global_buffer
      - .address_space:  global
        .offset:         16
        .size:           8
        .value_kind:     global_buffer
      - .offset:         24
        .size:           4
        .value_kind:     by_value
      - .offset:         32
        .size:           8
        .value_kind:     by_value
      - .address_space:  global
        .offset:         40
        .size:           8
        .value_kind:     global_buffer
      - .offset:         48
        .size:           4
        .value_kind:     by_value
      - .offset:         56
        .size:           8
        .value_kind:     by_value
      - .address_space:  global
        .offset:         64
        .size:           8
        .value_kind:     global_buffer
      - .address_space:  global
        .offset:         72
        .size:           8
        .value_kind:     global_buffer
      - .offset:         80
        .size:           4
        .value_kind:     by_value
      - .offset:         88
        .size:           8
        .value_kind:     by_value
      - .offset:         96
        .size:           4
        .value_kind:     by_value
    .group_segment_fixed_size: 2048
    .kernarg_segment_align: 8
    .kernarg_segment_size: 100
    .language:       OpenCL C
    .language_version:
      - 2
      - 0
    .max_flat_workgroup_size: 256
    .name:           _ZL29rocblas_internal_gemmt_kernelIiLi16ELi32ELi8ELc78ELc84ELc76ELb0ELb0EfPKfS1_PfEviT_T9_T10_S3_lS5_S3_lS4_T11_S3_li
    .private_segment_fixed_size: 0
    .sgpr_count:     28
    .sgpr_spill_count: 0
    .symbol:         _ZL29rocblas_internal_gemmt_kernelIiLi16ELi32ELi8ELc78ELc84ELc76ELb0ELb0EfPKfS1_PfEviT_T9_T10_S3_lS5_S3_lS4_T11_S3_li.kd
    .uniform_work_group_size: 1
    .uses_dynamic_stack: false
    .vgpr_count:     42
    .vgpr_spill_count: 0
    .wavefront_size: 32
    .workgroup_processor_mode: 1
  - .args:
      - .offset:         0
        .size:           4
        .value_kind:     by_value
      - .offset:         4
        .size:           4
        .value_kind:     by_value
      - .address_space:  global
        .offset:         8
        .size:           8
        .value_kind:     global_buffer
      - .address_space:  global
        .offset:         16
        .size:           8
        .value_kind:     global_buffer
      - .offset:         24
        .size:           4
        .value_kind:     by_value
      - .offset:         32
        .size:           8
        .value_kind:     by_value
      - .address_space:  global
        .offset:         40
        .size:           8
        .value_kind:     global_buffer
      - .offset:         48
        .size:           4
        .value_kind:     by_value
      - .offset:         56
        .size:           8
        .value_kind:     by_value
      - .address_space:  global
        .offset:         64
        .size:           8
        .value_kind:     global_buffer
      - .address_space:  global
        .offset:         72
        .size:           8
        .value_kind:     global_buffer
      - .offset:         80
        .size:           4
        .value_kind:     by_value
      - .offset:         88
        .size:           8
        .value_kind:     by_value
      - .offset:         96
        .size:           4
        .value_kind:     by_value
    .group_segment_fixed_size: 2048
    .kernarg_segment_align: 8
    .kernarg_segment_size: 100
    .language:       OpenCL C
    .language_version:
      - 2
      - 0
    .max_flat_workgroup_size: 256
    .name:           _ZL29rocblas_internal_gemmt_kernelIiLi16ELi32ELi8ELc78ELc67ELc76ELb0ELb0EfPKfS1_PfEviT_T9_T10_S3_lS5_S3_lS4_T11_S3_li
    .private_segment_fixed_size: 0
    .sgpr_count:     28
    .sgpr_spill_count: 0
    .symbol:         _ZL29rocblas_internal_gemmt_kernelIiLi16ELi32ELi8ELc78ELc67ELc76ELb0ELb0EfPKfS1_PfEviT_T9_T10_S3_lS5_S3_lS4_T11_S3_li.kd
    .uniform_work_group_size: 1
    .uses_dynamic_stack: false
    .vgpr_count:     42
    .vgpr_spill_count: 0
    .wavefront_size: 32
    .workgroup_processor_mode: 1
  - .args:
      - .offset:         0
        .size:           4
        .value_kind:     by_value
      - .offset:         4
        .size:           4
        .value_kind:     by_value
      - .address_space:  global
        .offset:         8
        .size:           8
        .value_kind:     global_buffer
      - .address_space:  global
        .offset:         16
        .size:           8
        .value_kind:     global_buffer
      - .offset:         24
        .size:           4
        .value_kind:     by_value
      - .offset:         32
        .size:           8
        .value_kind:     by_value
      - .address_space:  global
        .offset:         40
        .size:           8
        .value_kind:     global_buffer
      - .offset:         48
        .size:           4
        .value_kind:     by_value
      - .offset:         56
        .size:           8
        .value_kind:     by_value
      - .address_space:  global
        .offset:         64
        .size:           8
        .value_kind:     global_buffer
      - .address_space:  global
        .offset:         72
        .size:           8
        .value_kind:     global_buffer
      - .offset:         80
        .size:           4
        .value_kind:     by_value
      - .offset:         88
        .size:           8
        .value_kind:     by_value
      - .offset:         96
        .size:           4
        .value_kind:     by_value
    .group_segment_fixed_size: 2048
    .kernarg_segment_align: 8
    .kernarg_segment_size: 100
    .language:       OpenCL C
    .language_version:
      - 2
      - 0
    .max_flat_workgroup_size: 256
    .name:           _ZL29rocblas_internal_gemmt_kernelIiLi16ELi32ELi8ELc84ELc78ELc76ELb0ELb0EfPKfS1_PfEviT_T9_T10_S3_lS5_S3_lS4_T11_S3_li
    .private_segment_fixed_size: 0
    .sgpr_count:     25
    .sgpr_spill_count: 0
    .symbol:         _ZL29rocblas_internal_gemmt_kernelIiLi16ELi32ELi8ELc84ELc78ELc76ELb0ELb0EfPKfS1_PfEviT_T9_T10_S3_lS5_S3_lS4_T11_S3_li.kd
    .uniform_work_group_size: 1
    .uses_dynamic_stack: false
    .vgpr_count:     42
    .vgpr_spill_count: 0
    .wavefront_size: 32
    .workgroup_processor_mode: 1
  - .args:
      - .offset:         0
        .size:           4
        .value_kind:     by_value
      - .offset:         4
        .size:           4
        .value_kind:     by_value
      - .address_space:  global
        .offset:         8
        .size:           8
        .value_kind:     global_buffer
      - .address_space:  global
        .offset:         16
        .size:           8
        .value_kind:     global_buffer
      - .offset:         24
        .size:           4
        .value_kind:     by_value
      - .offset:         32
        .size:           8
        .value_kind:     by_value
      - .address_space:  global
        .offset:         40
        .size:           8
        .value_kind:     global_buffer
      - .offset:         48
        .size:           4
        .value_kind:     by_value
      - .offset:         56
        .size:           8
        .value_kind:     by_value
      - .address_space:  global
        .offset:         64
        .size:           8
        .value_kind:     global_buffer
      - .address_space:  global
        .offset:         72
        .size:           8
        .value_kind:     global_buffer
      - .offset:         80
        .size:           4
        .value_kind:     by_value
      - .offset:         88
        .size:           8
        .value_kind:     by_value
      - .offset:         96
        .size:           4
        .value_kind:     by_value
    .group_segment_fixed_size: 2048
    .kernarg_segment_align: 8
    .kernarg_segment_size: 100
    .language:       OpenCL C
    .language_version:
      - 2
      - 0
    .max_flat_workgroup_size: 256
    .name:           _ZL29rocblas_internal_gemmt_kernelIiLi16ELi32ELi8ELc84ELc84ELc76ELb0ELb0EfPKfS1_PfEviT_T9_T10_S3_lS5_S3_lS4_T11_S3_li
    .private_segment_fixed_size: 0
    .sgpr_count:     26
    .sgpr_spill_count: 0
    .symbol:         _ZL29rocblas_internal_gemmt_kernelIiLi16ELi32ELi8ELc84ELc84ELc76ELb0ELb0EfPKfS1_PfEviT_T9_T10_S3_lS5_S3_lS4_T11_S3_li.kd
    .uniform_work_group_size: 1
    .uses_dynamic_stack: false
    .vgpr_count:     42
    .vgpr_spill_count: 0
    .wavefront_size: 32
    .workgroup_processor_mode: 1
  - .args:
      - .offset:         0
        .size:           4
        .value_kind:     by_value
      - .offset:         4
        .size:           4
        .value_kind:     by_value
      - .address_space:  global
        .offset:         8
        .size:           8
        .value_kind:     global_buffer
      - .address_space:  global
        .offset:         16
        .size:           8
        .value_kind:     global_buffer
      - .offset:         24
        .size:           4
        .value_kind:     by_value
      - .offset:         32
        .size:           8
        .value_kind:     by_value
      - .address_space:  global
        .offset:         40
        .size:           8
        .value_kind:     global_buffer
      - .offset:         48
        .size:           4
        .value_kind:     by_value
      - .offset:         56
        .size:           8
        .value_kind:     by_value
      - .address_space:  global
        .offset:         64
        .size:           8
        .value_kind:     global_buffer
      - .address_space:  global
        .offset:         72
        .size:           8
        .value_kind:     global_buffer
      - .offset:         80
        .size:           4
        .value_kind:     by_value
      - .offset:         88
        .size:           8
        .value_kind:     by_value
      - .offset:         96
        .size:           4
        .value_kind:     by_value
    .group_segment_fixed_size: 2048
    .kernarg_segment_align: 8
    .kernarg_segment_size: 100
    .language:       OpenCL C
    .language_version:
      - 2
      - 0
    .max_flat_workgroup_size: 256
    .name:           _ZL29rocblas_internal_gemmt_kernelIiLi16ELi32ELi8ELc84ELc67ELc76ELb0ELb0EfPKfS1_PfEviT_T9_T10_S3_lS5_S3_lS4_T11_S3_li
    .private_segment_fixed_size: 0
    .sgpr_count:     26
    .sgpr_spill_count: 0
    .symbol:         _ZL29rocblas_internal_gemmt_kernelIiLi16ELi32ELi8ELc84ELc67ELc76ELb0ELb0EfPKfS1_PfEviT_T9_T10_S3_lS5_S3_lS4_T11_S3_li.kd
    .uniform_work_group_size: 1
    .uses_dynamic_stack: false
    .vgpr_count:     42
    .vgpr_spill_count: 0
    .wavefront_size: 32
    .workgroup_processor_mode: 1
  - .args:
      - .offset:         0
        .size:           4
        .value_kind:     by_value
      - .offset:         4
        .size:           4
        .value_kind:     by_value
      - .address_space:  global
        .offset:         8
        .size:           8
        .value_kind:     global_buffer
      - .address_space:  global
        .offset:         16
        .size:           8
        .value_kind:     global_buffer
      - .offset:         24
        .size:           4
        .value_kind:     by_value
      - .offset:         32
        .size:           8
        .value_kind:     by_value
      - .address_space:  global
        .offset:         40
        .size:           8
        .value_kind:     global_buffer
      - .offset:         48
        .size:           4
        .value_kind:     by_value
      - .offset:         56
        .size:           8
        .value_kind:     by_value
      - .address_space:  global
        .offset:         64
        .size:           8
        .value_kind:     global_buffer
      - .address_space:  global
        .offset:         72
        .size:           8
        .value_kind:     global_buffer
      - .offset:         80
        .size:           4
        .value_kind:     by_value
      - .offset:         88
        .size:           8
        .value_kind:     by_value
      - .offset:         96
        .size:           4
        .value_kind:     by_value
    .group_segment_fixed_size: 2048
    .kernarg_segment_align: 8
    .kernarg_segment_size: 100
    .language:       OpenCL C
    .language_version:
      - 2
      - 0
    .max_flat_workgroup_size: 256
    .name:           _ZL29rocblas_internal_gemmt_kernelIiLi16ELi32ELi8ELc67ELc78ELc76ELb0ELb0EfPKfS1_PfEviT_T9_T10_S3_lS5_S3_lS4_T11_S3_li
    .private_segment_fixed_size: 0
    .sgpr_count:     25
    .sgpr_spill_count: 0
    .symbol:         _ZL29rocblas_internal_gemmt_kernelIiLi16ELi32ELi8ELc67ELc78ELc76ELb0ELb0EfPKfS1_PfEviT_T9_T10_S3_lS5_S3_lS4_T11_S3_li.kd
    .uniform_work_group_size: 1
    .uses_dynamic_stack: false
    .vgpr_count:     42
    .vgpr_spill_count: 0
    .wavefront_size: 32
    .workgroup_processor_mode: 1
  - .args:
      - .offset:         0
        .size:           4
        .value_kind:     by_value
      - .offset:         4
        .size:           4
        .value_kind:     by_value
      - .address_space:  global
        .offset:         8
        .size:           8
        .value_kind:     global_buffer
      - .address_space:  global
        .offset:         16
        .size:           8
        .value_kind:     global_buffer
      - .offset:         24
        .size:           4
        .value_kind:     by_value
      - .offset:         32
        .size:           8
        .value_kind:     by_value
      - .address_space:  global
        .offset:         40
        .size:           8
        .value_kind:     global_buffer
      - .offset:         48
        .size:           4
        .value_kind:     by_value
      - .offset:         56
        .size:           8
        .value_kind:     by_value
      - .address_space:  global
        .offset:         64
        .size:           8
        .value_kind:     global_buffer
      - .address_space:  global
        .offset:         72
        .size:           8
        .value_kind:     global_buffer
      - .offset:         80
        .size:           4
        .value_kind:     by_value
      - .offset:         88
        .size:           8
        .value_kind:     by_value
      - .offset:         96
        .size:           4
        .value_kind:     by_value
    .group_segment_fixed_size: 2048
    .kernarg_segment_align: 8
    .kernarg_segment_size: 100
    .language:       OpenCL C
    .language_version:
      - 2
      - 0
    .max_flat_workgroup_size: 256
    .name:           _ZL29rocblas_internal_gemmt_kernelIiLi16ELi32ELi8ELc67ELc84ELc76ELb0ELb0EfPKfS1_PfEviT_T9_T10_S3_lS5_S3_lS4_T11_S3_li
    .private_segment_fixed_size: 0
    .sgpr_count:     26
    .sgpr_spill_count: 0
    .symbol:         _ZL29rocblas_internal_gemmt_kernelIiLi16ELi32ELi8ELc67ELc84ELc76ELb0ELb0EfPKfS1_PfEviT_T9_T10_S3_lS5_S3_lS4_T11_S3_li.kd
    .uniform_work_group_size: 1
    .uses_dynamic_stack: false
    .vgpr_count:     42
    .vgpr_spill_count: 0
    .wavefront_size: 32
    .workgroup_processor_mode: 1
  - .args:
      - .offset:         0
        .size:           4
        .value_kind:     by_value
      - .offset:         4
        .size:           4
        .value_kind:     by_value
      - .address_space:  global
        .offset:         8
        .size:           8
        .value_kind:     global_buffer
      - .address_space:  global
        .offset:         16
        .size:           8
        .value_kind:     global_buffer
      - .offset:         24
        .size:           4
        .value_kind:     by_value
      - .offset:         32
        .size:           8
        .value_kind:     by_value
      - .address_space:  global
        .offset:         40
        .size:           8
        .value_kind:     global_buffer
      - .offset:         48
        .size:           4
        .value_kind:     by_value
      - .offset:         56
        .size:           8
        .value_kind:     by_value
      - .address_space:  global
        .offset:         64
        .size:           8
        .value_kind:     global_buffer
      - .address_space:  global
        .offset:         72
        .size:           8
        .value_kind:     global_buffer
      - .offset:         80
        .size:           4
        .value_kind:     by_value
      - .offset:         88
        .size:           8
        .value_kind:     by_value
      - .offset:         96
        .size:           4
        .value_kind:     by_value
    .group_segment_fixed_size: 2048
    .kernarg_segment_align: 8
    .kernarg_segment_size: 100
    .language:       OpenCL C
    .language_version:
      - 2
      - 0
    .max_flat_workgroup_size: 256
    .name:           _ZL29rocblas_internal_gemmt_kernelIiLi16ELi32ELi8ELc67ELc67ELc76ELb0ELb0EfPKfS1_PfEviT_T9_T10_S3_lS5_S3_lS4_T11_S3_li
    .private_segment_fixed_size: 0
    .sgpr_count:     26
    .sgpr_spill_count: 0
    .symbol:         _ZL29rocblas_internal_gemmt_kernelIiLi16ELi32ELi8ELc67ELc67ELc76ELb0ELb0EfPKfS1_PfEviT_T9_T10_S3_lS5_S3_lS4_T11_S3_li.kd
    .uniform_work_group_size: 1
    .uses_dynamic_stack: false
    .vgpr_count:     42
    .vgpr_spill_count: 0
    .wavefront_size: 32
    .workgroup_processor_mode: 1
  - .args:
      - .offset:         0
        .size:           4
        .value_kind:     by_value
      - .offset:         4
        .size:           4
        .value_kind:     by_value
      - .offset:         8
        .size:           4
        .value_kind:     by_value
      - .address_space:  global
        .offset:         16
        .size:           8
        .value_kind:     global_buffer
      - .offset:         24
        .size:           4
        .value_kind:     by_value
      - .offset:         32
        .size:           8
        .value_kind:     by_value
      - .address_space:  global
        .offset:         40
        .size:           8
        .value_kind:     global_buffer
      - .offset:         48
        .size:           4
        .value_kind:     by_value
      - .offset:         56
        .size:           8
        .value_kind:     by_value
      - .offset:         64
        .size:           4
        .value_kind:     by_value
      - .address_space:  global
        .offset:         72
        .size:           8
        .value_kind:     global_buffer
      - .offset:         80
        .size:           4
        .value_kind:     by_value
      - .offset:         88
        .size:           8
        .value_kind:     by_value
      - .offset:         96
        .size:           4
        .value_kind:     by_value
    .group_segment_fixed_size: 2048
    .kernarg_segment_align: 8
    .kernarg_segment_size: 100
    .language:       OpenCL C
    .language_version:
      - 2
      - 0
    .max_flat_workgroup_size: 256
    .name:           _ZL29rocblas_internal_gemmt_kernelIiLi16ELi32ELi8ELc78ELc78ELc85ELb0ELb0EffPKfPfEviT_T9_T10_S3_lS5_S3_lS4_T11_S3_li
    .private_segment_fixed_size: 0
    .sgpr_count:     26
    .sgpr_spill_count: 0
    .symbol:         _ZL29rocblas_internal_gemmt_kernelIiLi16ELi32ELi8ELc78ELc78ELc85ELb0ELb0EffPKfPfEviT_T9_T10_S3_lS5_S3_lS4_T11_S3_li.kd
    .uniform_work_group_size: 1
    .uses_dynamic_stack: false
    .vgpr_count:     42
    .vgpr_spill_count: 0
    .wavefront_size: 32
    .workgroup_processor_mode: 1
  - .args:
      - .offset:         0
        .size:           4
        .value_kind:     by_value
      - .offset:         4
        .size:           4
        .value_kind:     by_value
      - .offset:         8
        .size:           4
        .value_kind:     by_value
      - .address_space:  global
        .offset:         16
        .size:           8
        .value_kind:     global_buffer
      - .offset:         24
        .size:           4
        .value_kind:     by_value
      - .offset:         32
        .size:           8
        .value_kind:     by_value
      - .address_space:  global
        .offset:         40
        .size:           8
        .value_kind:     global_buffer
      - .offset:         48
        .size:           4
        .value_kind:     by_value
      - .offset:         56
        .size:           8
        .value_kind:     by_value
      - .offset:         64
        .size:           4
        .value_kind:     by_value
      - .address_space:  global
        .offset:         72
        .size:           8
        .value_kind:     global_buffer
      - .offset:         80
        .size:           4
        .value_kind:     by_value
      - .offset:         88
        .size:           8
        .value_kind:     by_value
      - .offset:         96
        .size:           4
        .value_kind:     by_value
    .group_segment_fixed_size: 2048
    .kernarg_segment_align: 8
    .kernarg_segment_size: 100
    .language:       OpenCL C
    .language_version:
      - 2
      - 0
    .max_flat_workgroup_size: 256
    .name:           _ZL29rocblas_internal_gemmt_kernelIiLi16ELi32ELi8ELc78ELc84ELc85ELb0ELb0EffPKfPfEviT_T9_T10_S3_lS5_S3_lS4_T11_S3_li
    .private_segment_fixed_size: 0
    .sgpr_count:     26
    .sgpr_spill_count: 0
    .symbol:         _ZL29rocblas_internal_gemmt_kernelIiLi16ELi32ELi8ELc78ELc84ELc85ELb0ELb0EffPKfPfEviT_T9_T10_S3_lS5_S3_lS4_T11_S3_li.kd
    .uniform_work_group_size: 1
    .uses_dynamic_stack: false
    .vgpr_count:     42
    .vgpr_spill_count: 0
    .wavefront_size: 32
    .workgroup_processor_mode: 1
  - .args:
      - .offset:         0
        .size:           4
        .value_kind:     by_value
      - .offset:         4
        .size:           4
        .value_kind:     by_value
      - .offset:         8
        .size:           4
        .value_kind:     by_value
      - .address_space:  global
        .offset:         16
        .size:           8
        .value_kind:     global_buffer
      - .offset:         24
        .size:           4
        .value_kind:     by_value
      - .offset:         32
        .size:           8
        .value_kind:     by_value
      - .address_space:  global
        .offset:         40
        .size:           8
        .value_kind:     global_buffer
      - .offset:         48
        .size:           4
        .value_kind:     by_value
      - .offset:         56
        .size:           8
        .value_kind:     by_value
      - .offset:         64
        .size:           4
        .value_kind:     by_value
      - .address_space:  global
        .offset:         72
        .size:           8
        .value_kind:     global_buffer
      - .offset:         80
        .size:           4
        .value_kind:     by_value
      - .offset:         88
        .size:           8
        .value_kind:     by_value
      - .offset:         96
        .size:           4
        .value_kind:     by_value
    .group_segment_fixed_size: 2048
    .kernarg_segment_align: 8
    .kernarg_segment_size: 100
    .language:       OpenCL C
    .language_version:
      - 2
      - 0
    .max_flat_workgroup_size: 256
    .name:           _ZL29rocblas_internal_gemmt_kernelIiLi16ELi32ELi8ELc78ELc67ELc85ELb0ELb0EffPKfPfEviT_T9_T10_S3_lS5_S3_lS4_T11_S3_li
    .private_segment_fixed_size: 0
    .sgpr_count:     26
    .sgpr_spill_count: 0
    .symbol:         _ZL29rocblas_internal_gemmt_kernelIiLi16ELi32ELi8ELc78ELc67ELc85ELb0ELb0EffPKfPfEviT_T9_T10_S3_lS5_S3_lS4_T11_S3_li.kd
    .uniform_work_group_size: 1
    .uses_dynamic_stack: false
    .vgpr_count:     42
    .vgpr_spill_count: 0
    .wavefront_size: 32
    .workgroup_processor_mode: 1
  - .args:
      - .offset:         0
        .size:           4
        .value_kind:     by_value
      - .offset:         4
        .size:           4
        .value_kind:     by_value
      - .offset:         8
        .size:           4
        .value_kind:     by_value
      - .address_space:  global
        .offset:         16
        .size:           8
        .value_kind:     global_buffer
      - .offset:         24
        .size:           4
        .value_kind:     by_value
      - .offset:         32
        .size:           8
        .value_kind:     by_value
      - .address_space:  global
        .offset:         40
        .size:           8
        .value_kind:     global_buffer
      - .offset:         48
        .size:           4
        .value_kind:     by_value
      - .offset:         56
        .size:           8
        .value_kind:     by_value
      - .offset:         64
        .size:           4
        .value_kind:     by_value
      - .address_space:  global
        .offset:         72
        .size:           8
        .value_kind:     global_buffer
      - .offset:         80
        .size:           4
        .value_kind:     by_value
      - .offset:         88
        .size:           8
        .value_kind:     by_value
      - .offset:         96
        .size:           4
        .value_kind:     by_value
    .group_segment_fixed_size: 2048
    .kernarg_segment_align: 8
    .kernarg_segment_size: 100
    .language:       OpenCL C
    .language_version:
      - 2
      - 0
    .max_flat_workgroup_size: 256
    .name:           _ZL29rocblas_internal_gemmt_kernelIiLi16ELi32ELi8ELc84ELc78ELc85ELb0ELb0EffPKfPfEviT_T9_T10_S3_lS5_S3_lS4_T11_S3_li
    .private_segment_fixed_size: 0
    .sgpr_count:     24
    .sgpr_spill_count: 0
    .symbol:         _ZL29rocblas_internal_gemmt_kernelIiLi16ELi32ELi8ELc84ELc78ELc85ELb0ELb0EffPKfPfEviT_T9_T10_S3_lS5_S3_lS4_T11_S3_li.kd
    .uniform_work_group_size: 1
    .uses_dynamic_stack: false
    .vgpr_count:     42
    .vgpr_spill_count: 0
    .wavefront_size: 32
    .workgroup_processor_mode: 1
  - .args:
      - .offset:         0
        .size:           4
        .value_kind:     by_value
      - .offset:         4
        .size:           4
        .value_kind:     by_value
      - .offset:         8
        .size:           4
        .value_kind:     by_value
      - .address_space:  global
        .offset:         16
        .size:           8
        .value_kind:     global_buffer
      - .offset:         24
        .size:           4
        .value_kind:     by_value
      - .offset:         32
        .size:           8
        .value_kind:     by_value
      - .address_space:  global
        .offset:         40
        .size:           8
        .value_kind:     global_buffer
      - .offset:         48
        .size:           4
        .value_kind:     by_value
      - .offset:         56
        .size:           8
        .value_kind:     by_value
      - .offset:         64
        .size:           4
        .value_kind:     by_value
      - .address_space:  global
        .offset:         72
        .size:           8
        .value_kind:     global_buffer
      - .offset:         80
        .size:           4
        .value_kind:     by_value
      - .offset:         88
        .size:           8
        .value_kind:     by_value
      - .offset:         96
        .size:           4
        .value_kind:     by_value
    .group_segment_fixed_size: 2048
    .kernarg_segment_align: 8
    .kernarg_segment_size: 100
    .language:       OpenCL C
    .language_version:
      - 2
      - 0
    .max_flat_workgroup_size: 256
    .name:           _ZL29rocblas_internal_gemmt_kernelIiLi16ELi32ELi8ELc84ELc84ELc85ELb0ELb0EffPKfPfEviT_T9_T10_S3_lS5_S3_lS4_T11_S3_li
    .private_segment_fixed_size: 0
    .sgpr_count:     26
    .sgpr_spill_count: 0
    .symbol:         _ZL29rocblas_internal_gemmt_kernelIiLi16ELi32ELi8ELc84ELc84ELc85ELb0ELb0EffPKfPfEviT_T9_T10_S3_lS5_S3_lS4_T11_S3_li.kd
    .uniform_work_group_size: 1
    .uses_dynamic_stack: false
    .vgpr_count:     42
    .vgpr_spill_count: 0
    .wavefront_size: 32
    .workgroup_processor_mode: 1
  - .args:
      - .offset:         0
        .size:           4
        .value_kind:     by_value
      - .offset:         4
        .size:           4
        .value_kind:     by_value
      - .offset:         8
        .size:           4
        .value_kind:     by_value
      - .address_space:  global
        .offset:         16
        .size:           8
        .value_kind:     global_buffer
      - .offset:         24
        .size:           4
        .value_kind:     by_value
      - .offset:         32
        .size:           8
        .value_kind:     by_value
      - .address_space:  global
        .offset:         40
        .size:           8
        .value_kind:     global_buffer
      - .offset:         48
        .size:           4
        .value_kind:     by_value
      - .offset:         56
        .size:           8
        .value_kind:     by_value
      - .offset:         64
        .size:           4
        .value_kind:     by_value
      - .address_space:  global
        .offset:         72
        .size:           8
        .value_kind:     global_buffer
      - .offset:         80
        .size:           4
        .value_kind:     by_value
      - .offset:         88
        .size:           8
        .value_kind:     by_value
      - .offset:         96
        .size:           4
        .value_kind:     by_value
    .group_segment_fixed_size: 2048
    .kernarg_segment_align: 8
    .kernarg_segment_size: 100
    .language:       OpenCL C
    .language_version:
      - 2
      - 0
    .max_flat_workgroup_size: 256
    .name:           _ZL29rocblas_internal_gemmt_kernelIiLi16ELi32ELi8ELc84ELc67ELc85ELb0ELb0EffPKfPfEviT_T9_T10_S3_lS5_S3_lS4_T11_S3_li
    .private_segment_fixed_size: 0
    .sgpr_count:     26
    .sgpr_spill_count: 0
    .symbol:         _ZL29rocblas_internal_gemmt_kernelIiLi16ELi32ELi8ELc84ELc67ELc85ELb0ELb0EffPKfPfEviT_T9_T10_S3_lS5_S3_lS4_T11_S3_li.kd
    .uniform_work_group_size: 1
    .uses_dynamic_stack: false
    .vgpr_count:     42
    .vgpr_spill_count: 0
    .wavefront_size: 32
    .workgroup_processor_mode: 1
  - .args:
      - .offset:         0
        .size:           4
        .value_kind:     by_value
      - .offset:         4
        .size:           4
        .value_kind:     by_value
      - .offset:         8
        .size:           4
        .value_kind:     by_value
      - .address_space:  global
        .offset:         16
        .size:           8
        .value_kind:     global_buffer
      - .offset:         24
        .size:           4
        .value_kind:     by_value
      - .offset:         32
        .size:           8
        .value_kind:     by_value
      - .address_space:  global
        .offset:         40
        .size:           8
        .value_kind:     global_buffer
      - .offset:         48
        .size:           4
        .value_kind:     by_value
      - .offset:         56
        .size:           8
        .value_kind:     by_value
      - .offset:         64
        .size:           4
        .value_kind:     by_value
      - .address_space:  global
        .offset:         72
        .size:           8
        .value_kind:     global_buffer
      - .offset:         80
        .size:           4
        .value_kind:     by_value
      - .offset:         88
        .size:           8
        .value_kind:     by_value
      - .offset:         96
        .size:           4
        .value_kind:     by_value
    .group_segment_fixed_size: 2048
    .kernarg_segment_align: 8
    .kernarg_segment_size: 100
    .language:       OpenCL C
    .language_version:
      - 2
      - 0
    .max_flat_workgroup_size: 256
    .name:           _ZL29rocblas_internal_gemmt_kernelIiLi16ELi32ELi8ELc67ELc78ELc85ELb0ELb0EffPKfPfEviT_T9_T10_S3_lS5_S3_lS4_T11_S3_li
    .private_segment_fixed_size: 0
    .sgpr_count:     24
    .sgpr_spill_count: 0
    .symbol:         _ZL29rocblas_internal_gemmt_kernelIiLi16ELi32ELi8ELc67ELc78ELc85ELb0ELb0EffPKfPfEviT_T9_T10_S3_lS5_S3_lS4_T11_S3_li.kd
    .uniform_work_group_size: 1
    .uses_dynamic_stack: false
    .vgpr_count:     42
    .vgpr_spill_count: 0
    .wavefront_size: 32
    .workgroup_processor_mode: 1
  - .args:
      - .offset:         0
        .size:           4
        .value_kind:     by_value
      - .offset:         4
        .size:           4
        .value_kind:     by_value
      - .offset:         8
        .size:           4
        .value_kind:     by_value
      - .address_space:  global
        .offset:         16
        .size:           8
        .value_kind:     global_buffer
      - .offset:         24
        .size:           4
        .value_kind:     by_value
      - .offset:         32
        .size:           8
        .value_kind:     by_value
      - .address_space:  global
        .offset:         40
        .size:           8
        .value_kind:     global_buffer
      - .offset:         48
        .size:           4
        .value_kind:     by_value
      - .offset:         56
        .size:           8
        .value_kind:     by_value
      - .offset:         64
        .size:           4
        .value_kind:     by_value
      - .address_space:  global
        .offset:         72
        .size:           8
        .value_kind:     global_buffer
      - .offset:         80
        .size:           4
        .value_kind:     by_value
      - .offset:         88
        .size:           8
        .value_kind:     by_value
      - .offset:         96
        .size:           4
        .value_kind:     by_value
    .group_segment_fixed_size: 2048
    .kernarg_segment_align: 8
    .kernarg_segment_size: 100
    .language:       OpenCL C
    .language_version:
      - 2
      - 0
    .max_flat_workgroup_size: 256
    .name:           _ZL29rocblas_internal_gemmt_kernelIiLi16ELi32ELi8ELc67ELc84ELc85ELb0ELb0EffPKfPfEviT_T9_T10_S3_lS5_S3_lS4_T11_S3_li
    .private_segment_fixed_size: 0
    .sgpr_count:     26
    .sgpr_spill_count: 0
    .symbol:         _ZL29rocblas_internal_gemmt_kernelIiLi16ELi32ELi8ELc67ELc84ELc85ELb0ELb0EffPKfPfEviT_T9_T10_S3_lS5_S3_lS4_T11_S3_li.kd
    .uniform_work_group_size: 1
    .uses_dynamic_stack: false
    .vgpr_count:     42
    .vgpr_spill_count: 0
    .wavefront_size: 32
    .workgroup_processor_mode: 1
  - .args:
      - .offset:         0
        .size:           4
        .value_kind:     by_value
      - .offset:         4
        .size:           4
        .value_kind:     by_value
      - .offset:         8
        .size:           4
        .value_kind:     by_value
      - .address_space:  global
        .offset:         16
        .size:           8
        .value_kind:     global_buffer
      - .offset:         24
        .size:           4
        .value_kind:     by_value
      - .offset:         32
        .size:           8
        .value_kind:     by_value
      - .address_space:  global
        .offset:         40
        .size:           8
        .value_kind:     global_buffer
      - .offset:         48
        .size:           4
        .value_kind:     by_value
      - .offset:         56
        .size:           8
        .value_kind:     by_value
      - .offset:         64
        .size:           4
        .value_kind:     by_value
      - .address_space:  global
        .offset:         72
        .size:           8
        .value_kind:     global_buffer
      - .offset:         80
        .size:           4
        .value_kind:     by_value
      - .offset:         88
        .size:           8
        .value_kind:     by_value
      - .offset:         96
        .size:           4
        .value_kind:     by_value
    .group_segment_fixed_size: 2048
    .kernarg_segment_align: 8
    .kernarg_segment_size: 100
    .language:       OpenCL C
    .language_version:
      - 2
      - 0
    .max_flat_workgroup_size: 256
    .name:           _ZL29rocblas_internal_gemmt_kernelIiLi16ELi32ELi8ELc67ELc67ELc85ELb0ELb0EffPKfPfEviT_T9_T10_S3_lS5_S3_lS4_T11_S3_li
    .private_segment_fixed_size: 0
    .sgpr_count:     26
    .sgpr_spill_count: 0
    .symbol:         _ZL29rocblas_internal_gemmt_kernelIiLi16ELi32ELi8ELc67ELc67ELc85ELb0ELb0EffPKfPfEviT_T9_T10_S3_lS5_S3_lS4_T11_S3_li.kd
    .uniform_work_group_size: 1
    .uses_dynamic_stack: false
    .vgpr_count:     42
    .vgpr_spill_count: 0
    .wavefront_size: 32
    .workgroup_processor_mode: 1
  - .args:
      - .offset:         0
        .size:           4
        .value_kind:     by_value
      - .offset:         4
        .size:           4
        .value_kind:     by_value
      - .offset:         8
        .size:           4
        .value_kind:     by_value
      - .address_space:  global
        .offset:         16
        .size:           8
        .value_kind:     global_buffer
      - .offset:         24
        .size:           4
        .value_kind:     by_value
      - .offset:         32
        .size:           8
        .value_kind:     by_value
      - .address_space:  global
        .offset:         40
        .size:           8
        .value_kind:     global_buffer
      - .offset:         48
        .size:           4
        .value_kind:     by_value
      - .offset:         56
        .size:           8
        .value_kind:     by_value
      - .offset:         64
        .size:           4
        .value_kind:     by_value
      - .address_space:  global
        .offset:         72
        .size:           8
        .value_kind:     global_buffer
      - .offset:         80
        .size:           4
        .value_kind:     by_value
      - .offset:         88
        .size:           8
        .value_kind:     by_value
      - .offset:         96
        .size:           4
        .value_kind:     by_value
    .group_segment_fixed_size: 2048
    .kernarg_segment_align: 8
    .kernarg_segment_size: 100
    .language:       OpenCL C
    .language_version:
      - 2
      - 0
    .max_flat_workgroup_size: 256
    .name:           _ZL29rocblas_internal_gemmt_kernelIiLi16ELi32ELi8ELc78ELc78ELc76ELb0ELb0EffPKfPfEviT_T9_T10_S3_lS5_S3_lS4_T11_S3_li
    .private_segment_fixed_size: 0
    .sgpr_count:     26
    .sgpr_spill_count: 0
    .symbol:         _ZL29rocblas_internal_gemmt_kernelIiLi16ELi32ELi8ELc78ELc78ELc76ELb0ELb0EffPKfPfEviT_T9_T10_S3_lS5_S3_lS4_T11_S3_li.kd
    .uniform_work_group_size: 1
    .uses_dynamic_stack: false
    .vgpr_count:     42
    .vgpr_spill_count: 0
    .wavefront_size: 32
    .workgroup_processor_mode: 1
  - .args:
      - .offset:         0
        .size:           4
        .value_kind:     by_value
      - .offset:         4
        .size:           4
        .value_kind:     by_value
      - .offset:         8
        .size:           4
        .value_kind:     by_value
      - .address_space:  global
        .offset:         16
        .size:           8
        .value_kind:     global_buffer
      - .offset:         24
        .size:           4
        .value_kind:     by_value
      - .offset:         32
        .size:           8
        .value_kind:     by_value
      - .address_space:  global
        .offset:         40
        .size:           8
        .value_kind:     global_buffer
      - .offset:         48
        .size:           4
        .value_kind:     by_value
      - .offset:         56
        .size:           8
        .value_kind:     by_value
      - .offset:         64
        .size:           4
        .value_kind:     by_value
      - .address_space:  global
        .offset:         72
        .size:           8
        .value_kind:     global_buffer
      - .offset:         80
        .size:           4
        .value_kind:     by_value
      - .offset:         88
        .size:           8
        .value_kind:     by_value
      - .offset:         96
        .size:           4
        .value_kind:     by_value
    .group_segment_fixed_size: 2048
    .kernarg_segment_align: 8
    .kernarg_segment_size: 100
    .language:       OpenCL C
    .language_version:
      - 2
      - 0
    .max_flat_workgroup_size: 256
    .name:           _ZL29rocblas_internal_gemmt_kernelIiLi16ELi32ELi8ELc78ELc84ELc76ELb0ELb0EffPKfPfEviT_T9_T10_S3_lS5_S3_lS4_T11_S3_li
    .private_segment_fixed_size: 0
    .sgpr_count:     26
    .sgpr_spill_count: 0
    .symbol:         _ZL29rocblas_internal_gemmt_kernelIiLi16ELi32ELi8ELc78ELc84ELc76ELb0ELb0EffPKfPfEviT_T9_T10_S3_lS5_S3_lS4_T11_S3_li.kd
    .uniform_work_group_size: 1
    .uses_dynamic_stack: false
    .vgpr_count:     42
    .vgpr_spill_count: 0
    .wavefront_size: 32
    .workgroup_processor_mode: 1
  - .args:
      - .offset:         0
        .size:           4
        .value_kind:     by_value
      - .offset:         4
        .size:           4
        .value_kind:     by_value
      - .offset:         8
        .size:           4
        .value_kind:     by_value
      - .address_space:  global
        .offset:         16
        .size:           8
        .value_kind:     global_buffer
      - .offset:         24
        .size:           4
        .value_kind:     by_value
      - .offset:         32
        .size:           8
        .value_kind:     by_value
      - .address_space:  global
        .offset:         40
        .size:           8
        .value_kind:     global_buffer
      - .offset:         48
        .size:           4
        .value_kind:     by_value
      - .offset:         56
        .size:           8
        .value_kind:     by_value
      - .offset:         64
        .size:           4
        .value_kind:     by_value
      - .address_space:  global
        .offset:         72
        .size:           8
        .value_kind:     global_buffer
      - .offset:         80
        .size:           4
        .value_kind:     by_value
      - .offset:         88
        .size:           8
        .value_kind:     by_value
      - .offset:         96
        .size:           4
        .value_kind:     by_value
    .group_segment_fixed_size: 2048
    .kernarg_segment_align: 8
    .kernarg_segment_size: 100
    .language:       OpenCL C
    .language_version:
      - 2
      - 0
    .max_flat_workgroup_size: 256
    .name:           _ZL29rocblas_internal_gemmt_kernelIiLi16ELi32ELi8ELc78ELc67ELc76ELb0ELb0EffPKfPfEviT_T9_T10_S3_lS5_S3_lS4_T11_S3_li
    .private_segment_fixed_size: 0
    .sgpr_count:     26
    .sgpr_spill_count: 0
    .symbol:         _ZL29rocblas_internal_gemmt_kernelIiLi16ELi32ELi8ELc78ELc67ELc76ELb0ELb0EffPKfPfEviT_T9_T10_S3_lS5_S3_lS4_T11_S3_li.kd
    .uniform_work_group_size: 1
    .uses_dynamic_stack: false
    .vgpr_count:     42
    .vgpr_spill_count: 0
    .wavefront_size: 32
    .workgroup_processor_mode: 1
  - .args:
      - .offset:         0
        .size:           4
        .value_kind:     by_value
      - .offset:         4
        .size:           4
        .value_kind:     by_value
      - .offset:         8
        .size:           4
        .value_kind:     by_value
      - .address_space:  global
        .offset:         16
        .size:           8
        .value_kind:     global_buffer
      - .offset:         24
        .size:           4
        .value_kind:     by_value
      - .offset:         32
        .size:           8
        .value_kind:     by_value
      - .address_space:  global
        .offset:         40
        .size:           8
        .value_kind:     global_buffer
      - .offset:         48
        .size:           4
        .value_kind:     by_value
      - .offset:         56
        .size:           8
        .value_kind:     by_value
      - .offset:         64
        .size:           4
        .value_kind:     by_value
      - .address_space:  global
        .offset:         72
        .size:           8
        .value_kind:     global_buffer
      - .offset:         80
        .size:           4
        .value_kind:     by_value
      - .offset:         88
        .size:           8
        .value_kind:     by_value
      - .offset:         96
        .size:           4
        .value_kind:     by_value
    .group_segment_fixed_size: 2048
    .kernarg_segment_align: 8
    .kernarg_segment_size: 100
    .language:       OpenCL C
    .language_version:
      - 2
      - 0
    .max_flat_workgroup_size: 256
    .name:           _ZL29rocblas_internal_gemmt_kernelIiLi16ELi32ELi8ELc84ELc78ELc76ELb0ELb0EffPKfPfEviT_T9_T10_S3_lS5_S3_lS4_T11_S3_li
    .private_segment_fixed_size: 0
    .sgpr_count:     24
    .sgpr_spill_count: 0
    .symbol:         _ZL29rocblas_internal_gemmt_kernelIiLi16ELi32ELi8ELc84ELc78ELc76ELb0ELb0EffPKfPfEviT_T9_T10_S3_lS5_S3_lS4_T11_S3_li.kd
    .uniform_work_group_size: 1
    .uses_dynamic_stack: false
    .vgpr_count:     42
    .vgpr_spill_count: 0
    .wavefront_size: 32
    .workgroup_processor_mode: 1
  - .args:
      - .offset:         0
        .size:           4
        .value_kind:     by_value
      - .offset:         4
        .size:           4
        .value_kind:     by_value
      - .offset:         8
        .size:           4
        .value_kind:     by_value
      - .address_space:  global
        .offset:         16
        .size:           8
        .value_kind:     global_buffer
      - .offset:         24
        .size:           4
        .value_kind:     by_value
      - .offset:         32
        .size:           8
        .value_kind:     by_value
      - .address_space:  global
        .offset:         40
        .size:           8
        .value_kind:     global_buffer
      - .offset:         48
        .size:           4
        .value_kind:     by_value
      - .offset:         56
        .size:           8
        .value_kind:     by_value
      - .offset:         64
        .size:           4
        .value_kind:     by_value
      - .address_space:  global
        .offset:         72
        .size:           8
        .value_kind:     global_buffer
      - .offset:         80
        .size:           4
        .value_kind:     by_value
      - .offset:         88
        .size:           8
        .value_kind:     by_value
      - .offset:         96
        .size:           4
        .value_kind:     by_value
    .group_segment_fixed_size: 2048
    .kernarg_segment_align: 8
    .kernarg_segment_size: 100
    .language:       OpenCL C
    .language_version:
      - 2
      - 0
    .max_flat_workgroup_size: 256
    .name:           _ZL29rocblas_internal_gemmt_kernelIiLi16ELi32ELi8ELc84ELc84ELc76ELb0ELb0EffPKfPfEviT_T9_T10_S3_lS5_S3_lS4_T11_S3_li
    .private_segment_fixed_size: 0
    .sgpr_count:     26
    .sgpr_spill_count: 0
    .symbol:         _ZL29rocblas_internal_gemmt_kernelIiLi16ELi32ELi8ELc84ELc84ELc76ELb0ELb0EffPKfPfEviT_T9_T10_S3_lS5_S3_lS4_T11_S3_li.kd
    .uniform_work_group_size: 1
    .uses_dynamic_stack: false
    .vgpr_count:     42
    .vgpr_spill_count: 0
    .wavefront_size: 32
    .workgroup_processor_mode: 1
  - .args:
      - .offset:         0
        .size:           4
        .value_kind:     by_value
      - .offset:         4
        .size:           4
        .value_kind:     by_value
      - .offset:         8
        .size:           4
        .value_kind:     by_value
      - .address_space:  global
        .offset:         16
        .size:           8
        .value_kind:     global_buffer
      - .offset:         24
        .size:           4
        .value_kind:     by_value
      - .offset:         32
        .size:           8
        .value_kind:     by_value
      - .address_space:  global
        .offset:         40
        .size:           8
        .value_kind:     global_buffer
      - .offset:         48
        .size:           4
        .value_kind:     by_value
      - .offset:         56
        .size:           8
        .value_kind:     by_value
      - .offset:         64
        .size:           4
        .value_kind:     by_value
      - .address_space:  global
        .offset:         72
        .size:           8
        .value_kind:     global_buffer
      - .offset:         80
        .size:           4
        .value_kind:     by_value
      - .offset:         88
        .size:           8
        .value_kind:     by_value
      - .offset:         96
        .size:           4
        .value_kind:     by_value
    .group_segment_fixed_size: 2048
    .kernarg_segment_align: 8
    .kernarg_segment_size: 100
    .language:       OpenCL C
    .language_version:
      - 2
      - 0
    .max_flat_workgroup_size: 256
    .name:           _ZL29rocblas_internal_gemmt_kernelIiLi16ELi32ELi8ELc84ELc67ELc76ELb0ELb0EffPKfPfEviT_T9_T10_S3_lS5_S3_lS4_T11_S3_li
    .private_segment_fixed_size: 0
    .sgpr_count:     26
    .sgpr_spill_count: 0
    .symbol:         _ZL29rocblas_internal_gemmt_kernelIiLi16ELi32ELi8ELc84ELc67ELc76ELb0ELb0EffPKfPfEviT_T9_T10_S3_lS5_S3_lS4_T11_S3_li.kd
    .uniform_work_group_size: 1
    .uses_dynamic_stack: false
    .vgpr_count:     42
    .vgpr_spill_count: 0
    .wavefront_size: 32
    .workgroup_processor_mode: 1
  - .args:
      - .offset:         0
        .size:           4
        .value_kind:     by_value
      - .offset:         4
        .size:           4
        .value_kind:     by_value
      - .offset:         8
        .size:           4
        .value_kind:     by_value
      - .address_space:  global
        .offset:         16
        .size:           8
        .value_kind:     global_buffer
      - .offset:         24
        .size:           4
        .value_kind:     by_value
      - .offset:         32
        .size:           8
        .value_kind:     by_value
      - .address_space:  global
        .offset:         40
        .size:           8
        .value_kind:     global_buffer
      - .offset:         48
        .size:           4
        .value_kind:     by_value
      - .offset:         56
        .size:           8
        .value_kind:     by_value
      - .offset:         64
        .size:           4
        .value_kind:     by_value
      - .address_space:  global
        .offset:         72
        .size:           8
        .value_kind:     global_buffer
      - .offset:         80
        .size:           4
        .value_kind:     by_value
      - .offset:         88
        .size:           8
        .value_kind:     by_value
      - .offset:         96
        .size:           4
        .value_kind:     by_value
    .group_segment_fixed_size: 2048
    .kernarg_segment_align: 8
    .kernarg_segment_size: 100
    .language:       OpenCL C
    .language_version:
      - 2
      - 0
    .max_flat_workgroup_size: 256
    .name:           _ZL29rocblas_internal_gemmt_kernelIiLi16ELi32ELi8ELc67ELc78ELc76ELb0ELb0EffPKfPfEviT_T9_T10_S3_lS5_S3_lS4_T11_S3_li
    .private_segment_fixed_size: 0
    .sgpr_count:     24
    .sgpr_spill_count: 0
    .symbol:         _ZL29rocblas_internal_gemmt_kernelIiLi16ELi32ELi8ELc67ELc78ELc76ELb0ELb0EffPKfPfEviT_T9_T10_S3_lS5_S3_lS4_T11_S3_li.kd
    .uniform_work_group_size: 1
    .uses_dynamic_stack: false
    .vgpr_count:     42
    .vgpr_spill_count: 0
    .wavefront_size: 32
    .workgroup_processor_mode: 1
  - .args:
      - .offset:         0
        .size:           4
        .value_kind:     by_value
      - .offset:         4
        .size:           4
        .value_kind:     by_value
      - .offset:         8
        .size:           4
        .value_kind:     by_value
      - .address_space:  global
        .offset:         16
        .size:           8
        .value_kind:     global_buffer
      - .offset:         24
        .size:           4
        .value_kind:     by_value
      - .offset:         32
        .size:           8
        .value_kind:     by_value
      - .address_space:  global
        .offset:         40
        .size:           8
        .value_kind:     global_buffer
      - .offset:         48
        .size:           4
        .value_kind:     by_value
      - .offset:         56
        .size:           8
        .value_kind:     by_value
      - .offset:         64
        .size:           4
        .value_kind:     by_value
      - .address_space:  global
        .offset:         72
        .size:           8
        .value_kind:     global_buffer
      - .offset:         80
        .size:           4
        .value_kind:     by_value
      - .offset:         88
        .size:           8
        .value_kind:     by_value
      - .offset:         96
        .size:           4
        .value_kind:     by_value
    .group_segment_fixed_size: 2048
    .kernarg_segment_align: 8
    .kernarg_segment_size: 100
    .language:       OpenCL C
    .language_version:
      - 2
      - 0
    .max_flat_workgroup_size: 256
    .name:           _ZL29rocblas_internal_gemmt_kernelIiLi16ELi32ELi8ELc67ELc84ELc76ELb0ELb0EffPKfPfEviT_T9_T10_S3_lS5_S3_lS4_T11_S3_li
    .private_segment_fixed_size: 0
    .sgpr_count:     26
    .sgpr_spill_count: 0
    .symbol:         _ZL29rocblas_internal_gemmt_kernelIiLi16ELi32ELi8ELc67ELc84ELc76ELb0ELb0EffPKfPfEviT_T9_T10_S3_lS5_S3_lS4_T11_S3_li.kd
    .uniform_work_group_size: 1
    .uses_dynamic_stack: false
    .vgpr_count:     42
    .vgpr_spill_count: 0
    .wavefront_size: 32
    .workgroup_processor_mode: 1
  - .args:
      - .offset:         0
        .size:           4
        .value_kind:     by_value
      - .offset:         4
        .size:           4
        .value_kind:     by_value
      - .offset:         8
        .size:           4
        .value_kind:     by_value
      - .address_space:  global
        .offset:         16
        .size:           8
        .value_kind:     global_buffer
      - .offset:         24
        .size:           4
        .value_kind:     by_value
      - .offset:         32
        .size:           8
        .value_kind:     by_value
      - .address_space:  global
        .offset:         40
        .size:           8
        .value_kind:     global_buffer
      - .offset:         48
        .size:           4
        .value_kind:     by_value
      - .offset:         56
        .size:           8
        .value_kind:     by_value
      - .offset:         64
        .size:           4
        .value_kind:     by_value
      - .address_space:  global
        .offset:         72
        .size:           8
        .value_kind:     global_buffer
      - .offset:         80
        .size:           4
        .value_kind:     by_value
      - .offset:         88
        .size:           8
        .value_kind:     by_value
      - .offset:         96
        .size:           4
        .value_kind:     by_value
    .group_segment_fixed_size: 2048
    .kernarg_segment_align: 8
    .kernarg_segment_size: 100
    .language:       OpenCL C
    .language_version:
      - 2
      - 0
    .max_flat_workgroup_size: 256
    .name:           _ZL29rocblas_internal_gemmt_kernelIiLi16ELi32ELi8ELc67ELc67ELc76ELb0ELb0EffPKfPfEviT_T9_T10_S3_lS5_S3_lS4_T11_S3_li
    .private_segment_fixed_size: 0
    .sgpr_count:     26
    .sgpr_spill_count: 0
    .symbol:         _ZL29rocblas_internal_gemmt_kernelIiLi16ELi32ELi8ELc67ELc67ELc76ELb0ELb0EffPKfPfEviT_T9_T10_S3_lS5_S3_lS4_T11_S3_li.kd
    .uniform_work_group_size: 1
    .uses_dynamic_stack: false
    .vgpr_count:     42
    .vgpr_spill_count: 0
    .wavefront_size: 32
    .workgroup_processor_mode: 1
  - .args:
      - .offset:         0
        .size:           4
        .value_kind:     by_value
      - .offset:         4
        .size:           4
        .value_kind:     by_value
      - .address_space:  global
        .offset:         8
        .size:           8
        .value_kind:     global_buffer
      - .address_space:  global
        .offset:         16
        .size:           8
        .value_kind:     global_buffer
      - .offset:         24
        .size:           4
        .value_kind:     by_value
      - .offset:         32
        .size:           8
        .value_kind:     by_value
      - .address_space:  global
        .offset:         40
        .size:           8
        .value_kind:     global_buffer
      - .offset:         48
        .size:           4
        .value_kind:     by_value
      - .offset:         56
        .size:           8
        .value_kind:     by_value
      - .address_space:  global
        .offset:         64
        .size:           8
        .value_kind:     global_buffer
      - .address_space:  global
        .offset:         72
        .size:           8
        .value_kind:     global_buffer
      - .offset:         80
        .size:           4
        .value_kind:     by_value
      - .offset:         88
        .size:           8
        .value_kind:     by_value
      - .offset:         96
        .size:           4
        .value_kind:     by_value
    .group_segment_fixed_size: 4096
    .kernarg_segment_align: 8
    .kernarg_segment_size: 100
    .language:       OpenCL C
    .language_version:
      - 2
      - 0
    .max_flat_workgroup_size: 256
    .name:           _ZL29rocblas_internal_gemmt_kernelIiLi16ELi32ELi8ELc78ELc78ELc85ELb0ELb0EdPKdS1_PdEviT_T9_T10_S3_lS5_S3_lS4_T11_S3_li
    .private_segment_fixed_size: 0
    .sgpr_count:     28
    .sgpr_spill_count: 0
    .symbol:         _ZL29rocblas_internal_gemmt_kernelIiLi16ELi32ELi8ELc78ELc78ELc85ELb0ELb0EdPKdS1_PdEviT_T9_T10_S3_lS5_S3_lS4_T11_S3_li.kd
    .uniform_work_group_size: 1
    .uses_dynamic_stack: false
    .vgpr_count:     44
    .vgpr_spill_count: 0
    .wavefront_size: 32
    .workgroup_processor_mode: 1
  - .args:
      - .offset:         0
        .size:           4
        .value_kind:     by_value
      - .offset:         4
        .size:           4
        .value_kind:     by_value
      - .address_space:  global
        .offset:         8
        .size:           8
        .value_kind:     global_buffer
      - .address_space:  global
        .offset:         16
        .size:           8
        .value_kind:     global_buffer
      - .offset:         24
        .size:           4
        .value_kind:     by_value
      - .offset:         32
        .size:           8
        .value_kind:     by_value
      - .address_space:  global
        .offset:         40
        .size:           8
        .value_kind:     global_buffer
      - .offset:         48
        .size:           4
        .value_kind:     by_value
      - .offset:         56
        .size:           8
        .value_kind:     by_value
      - .address_space:  global
        .offset:         64
        .size:           8
        .value_kind:     global_buffer
      - .address_space:  global
        .offset:         72
        .size:           8
        .value_kind:     global_buffer
      - .offset:         80
        .size:           4
        .value_kind:     by_value
      - .offset:         88
        .size:           8
        .value_kind:     by_value
      - .offset:         96
        .size:           4
        .value_kind:     by_value
    .group_segment_fixed_size: 4096
    .kernarg_segment_align: 8
    .kernarg_segment_size: 100
    .language:       OpenCL C
    .language_version:
      - 2
      - 0
    .max_flat_workgroup_size: 256
    .name:           _ZL29rocblas_internal_gemmt_kernelIiLi16ELi32ELi8ELc78ELc84ELc85ELb0ELb0EdPKdS1_PdEviT_T9_T10_S3_lS5_S3_lS4_T11_S3_li
    .private_segment_fixed_size: 0
    .sgpr_count:     30
    .sgpr_spill_count: 0
    .symbol:         _ZL29rocblas_internal_gemmt_kernelIiLi16ELi32ELi8ELc78ELc84ELc85ELb0ELb0EdPKdS1_PdEviT_T9_T10_S3_lS5_S3_lS4_T11_S3_li.kd
    .uniform_work_group_size: 1
    .uses_dynamic_stack: false
    .vgpr_count:     44
    .vgpr_spill_count: 0
    .wavefront_size: 32
    .workgroup_processor_mode: 1
  - .args:
      - .offset:         0
        .size:           4
        .value_kind:     by_value
      - .offset:         4
        .size:           4
        .value_kind:     by_value
      - .address_space:  global
        .offset:         8
        .size:           8
        .value_kind:     global_buffer
      - .address_space:  global
        .offset:         16
        .size:           8
        .value_kind:     global_buffer
      - .offset:         24
        .size:           4
        .value_kind:     by_value
      - .offset:         32
        .size:           8
        .value_kind:     by_value
      - .address_space:  global
        .offset:         40
        .size:           8
        .value_kind:     global_buffer
      - .offset:         48
        .size:           4
        .value_kind:     by_value
      - .offset:         56
        .size:           8
        .value_kind:     by_value
      - .address_space:  global
        .offset:         64
        .size:           8
        .value_kind:     global_buffer
      - .address_space:  global
        .offset:         72
        .size:           8
        .value_kind:     global_buffer
      - .offset:         80
        .size:           4
        .value_kind:     by_value
      - .offset:         88
        .size:           8
        .value_kind:     by_value
      - .offset:         96
        .size:           4
        .value_kind:     by_value
    .group_segment_fixed_size: 4096
    .kernarg_segment_align: 8
    .kernarg_segment_size: 100
    .language:       OpenCL C
    .language_version:
      - 2
      - 0
    .max_flat_workgroup_size: 256
    .name:           _ZL29rocblas_internal_gemmt_kernelIiLi16ELi32ELi8ELc78ELc67ELc85ELb0ELb0EdPKdS1_PdEviT_T9_T10_S3_lS5_S3_lS4_T11_S3_li
    .private_segment_fixed_size: 0
    .sgpr_count:     30
    .sgpr_spill_count: 0
    .symbol:         _ZL29rocblas_internal_gemmt_kernelIiLi16ELi32ELi8ELc78ELc67ELc85ELb0ELb0EdPKdS1_PdEviT_T9_T10_S3_lS5_S3_lS4_T11_S3_li.kd
    .uniform_work_group_size: 1
    .uses_dynamic_stack: false
    .vgpr_count:     44
    .vgpr_spill_count: 0
    .wavefront_size: 32
    .workgroup_processor_mode: 1
  - .args:
      - .offset:         0
        .size:           4
        .value_kind:     by_value
      - .offset:         4
        .size:           4
        .value_kind:     by_value
      - .address_space:  global
        .offset:         8
        .size:           8
        .value_kind:     global_buffer
      - .address_space:  global
        .offset:         16
        .size:           8
        .value_kind:     global_buffer
      - .offset:         24
        .size:           4
        .value_kind:     by_value
      - .offset:         32
        .size:           8
        .value_kind:     by_value
      - .address_space:  global
        .offset:         40
        .size:           8
        .value_kind:     global_buffer
      - .offset:         48
        .size:           4
        .value_kind:     by_value
      - .offset:         56
        .size:           8
        .value_kind:     by_value
      - .address_space:  global
        .offset:         64
        .size:           8
        .value_kind:     global_buffer
      - .address_space:  global
        .offset:         72
        .size:           8
        .value_kind:     global_buffer
      - .offset:         80
        .size:           4
        .value_kind:     by_value
      - .offset:         88
        .size:           8
        .value_kind:     by_value
      - .offset:         96
        .size:           4
        .value_kind:     by_value
    .group_segment_fixed_size: 4096
    .kernarg_segment_align: 8
    .kernarg_segment_size: 100
    .language:       OpenCL C
    .language_version:
      - 2
      - 0
    .max_flat_workgroup_size: 256
    .name:           _ZL29rocblas_internal_gemmt_kernelIiLi16ELi32ELi8ELc84ELc78ELc85ELb0ELb0EdPKdS1_PdEviT_T9_T10_S3_lS5_S3_lS4_T11_S3_li
    .private_segment_fixed_size: 0
    .sgpr_count:     27
    .sgpr_spill_count: 0
    .symbol:         _ZL29rocblas_internal_gemmt_kernelIiLi16ELi32ELi8ELc84ELc78ELc85ELb0ELb0EdPKdS1_PdEviT_T9_T10_S3_lS5_S3_lS4_T11_S3_li.kd
    .uniform_work_group_size: 1
    .uses_dynamic_stack: false
    .vgpr_count:     44
    .vgpr_spill_count: 0
    .wavefront_size: 32
    .workgroup_processor_mode: 1
  - .args:
      - .offset:         0
        .size:           4
        .value_kind:     by_value
      - .offset:         4
        .size:           4
        .value_kind:     by_value
      - .address_space:  global
        .offset:         8
        .size:           8
        .value_kind:     global_buffer
      - .address_space:  global
        .offset:         16
        .size:           8
        .value_kind:     global_buffer
      - .offset:         24
        .size:           4
        .value_kind:     by_value
      - .offset:         32
        .size:           8
        .value_kind:     by_value
      - .address_space:  global
        .offset:         40
        .size:           8
        .value_kind:     global_buffer
      - .offset:         48
        .size:           4
        .value_kind:     by_value
      - .offset:         56
        .size:           8
        .value_kind:     by_value
      - .address_space:  global
        .offset:         64
        .size:           8
        .value_kind:     global_buffer
      - .address_space:  global
        .offset:         72
        .size:           8
        .value_kind:     global_buffer
      - .offset:         80
        .size:           4
        .value_kind:     by_value
      - .offset:         88
        .size:           8
        .value_kind:     by_value
      - .offset:         96
        .size:           4
        .value_kind:     by_value
    .group_segment_fixed_size: 4096
    .kernarg_segment_align: 8
    .kernarg_segment_size: 100
    .language:       OpenCL C
    .language_version:
      - 2
      - 0
    .max_flat_workgroup_size: 256
    .name:           _ZL29rocblas_internal_gemmt_kernelIiLi16ELi32ELi8ELc84ELc84ELc85ELb0ELb0EdPKdS1_PdEviT_T9_T10_S3_lS5_S3_lS4_T11_S3_li
    .private_segment_fixed_size: 0
    .sgpr_count:     28
    .sgpr_spill_count: 0
    .symbol:         _ZL29rocblas_internal_gemmt_kernelIiLi16ELi32ELi8ELc84ELc84ELc85ELb0ELb0EdPKdS1_PdEviT_T9_T10_S3_lS5_S3_lS4_T11_S3_li.kd
    .uniform_work_group_size: 1
    .uses_dynamic_stack: false
    .vgpr_count:     44
    .vgpr_spill_count: 0
    .wavefront_size: 32
    .workgroup_processor_mode: 1
  - .args:
      - .offset:         0
        .size:           4
        .value_kind:     by_value
      - .offset:         4
        .size:           4
        .value_kind:     by_value
      - .address_space:  global
        .offset:         8
        .size:           8
        .value_kind:     global_buffer
      - .address_space:  global
        .offset:         16
        .size:           8
        .value_kind:     global_buffer
      - .offset:         24
        .size:           4
        .value_kind:     by_value
      - .offset:         32
        .size:           8
        .value_kind:     by_value
      - .address_space:  global
        .offset:         40
        .size:           8
        .value_kind:     global_buffer
      - .offset:         48
        .size:           4
        .value_kind:     by_value
      - .offset:         56
        .size:           8
        .value_kind:     by_value
      - .address_space:  global
        .offset:         64
        .size:           8
        .value_kind:     global_buffer
      - .address_space:  global
        .offset:         72
        .size:           8
        .value_kind:     global_buffer
      - .offset:         80
        .size:           4
        .value_kind:     by_value
      - .offset:         88
        .size:           8
        .value_kind:     by_value
      - .offset:         96
        .size:           4
        .value_kind:     by_value
    .group_segment_fixed_size: 4096
    .kernarg_segment_align: 8
    .kernarg_segment_size: 100
    .language:       OpenCL C
    .language_version:
      - 2
      - 0
    .max_flat_workgroup_size: 256
    .name:           _ZL29rocblas_internal_gemmt_kernelIiLi16ELi32ELi8ELc84ELc67ELc85ELb0ELb0EdPKdS1_PdEviT_T9_T10_S3_lS5_S3_lS4_T11_S3_li
    .private_segment_fixed_size: 0
    .sgpr_count:     28
    .sgpr_spill_count: 0
    .symbol:         _ZL29rocblas_internal_gemmt_kernelIiLi16ELi32ELi8ELc84ELc67ELc85ELb0ELb0EdPKdS1_PdEviT_T9_T10_S3_lS5_S3_lS4_T11_S3_li.kd
    .uniform_work_group_size: 1
    .uses_dynamic_stack: false
    .vgpr_count:     44
    .vgpr_spill_count: 0
    .wavefront_size: 32
    .workgroup_processor_mode: 1
  - .args:
      - .offset:         0
        .size:           4
        .value_kind:     by_value
      - .offset:         4
        .size:           4
        .value_kind:     by_value
      - .address_space:  global
        .offset:         8
        .size:           8
        .value_kind:     global_buffer
      - .address_space:  global
        .offset:         16
        .size:           8
        .value_kind:     global_buffer
      - .offset:         24
        .size:           4
        .value_kind:     by_value
      - .offset:         32
        .size:           8
        .value_kind:     by_value
      - .address_space:  global
        .offset:         40
        .size:           8
        .value_kind:     global_buffer
      - .offset:         48
        .size:           4
        .value_kind:     by_value
      - .offset:         56
        .size:           8
        .value_kind:     by_value
      - .address_space:  global
        .offset:         64
        .size:           8
        .value_kind:     global_buffer
      - .address_space:  global
        .offset:         72
        .size:           8
        .value_kind:     global_buffer
      - .offset:         80
        .size:           4
        .value_kind:     by_value
      - .offset:         88
        .size:           8
        .value_kind:     by_value
      - .offset:         96
        .size:           4
        .value_kind:     by_value
    .group_segment_fixed_size: 4096
    .kernarg_segment_align: 8
    .kernarg_segment_size: 100
    .language:       OpenCL C
    .language_version:
      - 2
      - 0
    .max_flat_workgroup_size: 256
    .name:           _ZL29rocblas_internal_gemmt_kernelIiLi16ELi32ELi8ELc67ELc78ELc85ELb0ELb0EdPKdS1_PdEviT_T9_T10_S3_lS5_S3_lS4_T11_S3_li
    .private_segment_fixed_size: 0
    .sgpr_count:     27
    .sgpr_spill_count: 0
    .symbol:         _ZL29rocblas_internal_gemmt_kernelIiLi16ELi32ELi8ELc67ELc78ELc85ELb0ELb0EdPKdS1_PdEviT_T9_T10_S3_lS5_S3_lS4_T11_S3_li.kd
    .uniform_work_group_size: 1
    .uses_dynamic_stack: false
    .vgpr_count:     44
    .vgpr_spill_count: 0
    .wavefront_size: 32
    .workgroup_processor_mode: 1
  - .args:
      - .offset:         0
        .size:           4
        .value_kind:     by_value
      - .offset:         4
        .size:           4
        .value_kind:     by_value
      - .address_space:  global
        .offset:         8
        .size:           8
        .value_kind:     global_buffer
      - .address_space:  global
        .offset:         16
        .size:           8
        .value_kind:     global_buffer
      - .offset:         24
        .size:           4
        .value_kind:     by_value
      - .offset:         32
        .size:           8
        .value_kind:     by_value
      - .address_space:  global
        .offset:         40
        .size:           8
        .value_kind:     global_buffer
      - .offset:         48
        .size:           4
        .value_kind:     by_value
      - .offset:         56
        .size:           8
        .value_kind:     by_value
      - .address_space:  global
        .offset:         64
        .size:           8
        .value_kind:     global_buffer
      - .address_space:  global
        .offset:         72
        .size:           8
        .value_kind:     global_buffer
      - .offset:         80
        .size:           4
        .value_kind:     by_value
      - .offset:         88
        .size:           8
        .value_kind:     by_value
      - .offset:         96
        .size:           4
        .value_kind:     by_value
    .group_segment_fixed_size: 4096
    .kernarg_segment_align: 8
    .kernarg_segment_size: 100
    .language:       OpenCL C
    .language_version:
      - 2
      - 0
    .max_flat_workgroup_size: 256
    .name:           _ZL29rocblas_internal_gemmt_kernelIiLi16ELi32ELi8ELc67ELc84ELc85ELb0ELb0EdPKdS1_PdEviT_T9_T10_S3_lS5_S3_lS4_T11_S3_li
    .private_segment_fixed_size: 0
    .sgpr_count:     28
    .sgpr_spill_count: 0
    .symbol:         _ZL29rocblas_internal_gemmt_kernelIiLi16ELi32ELi8ELc67ELc84ELc85ELb0ELb0EdPKdS1_PdEviT_T9_T10_S3_lS5_S3_lS4_T11_S3_li.kd
    .uniform_work_group_size: 1
    .uses_dynamic_stack: false
    .vgpr_count:     44
    .vgpr_spill_count: 0
    .wavefront_size: 32
    .workgroup_processor_mode: 1
  - .args:
      - .offset:         0
        .size:           4
        .value_kind:     by_value
      - .offset:         4
        .size:           4
        .value_kind:     by_value
      - .address_space:  global
        .offset:         8
        .size:           8
        .value_kind:     global_buffer
      - .address_space:  global
        .offset:         16
        .size:           8
        .value_kind:     global_buffer
      - .offset:         24
        .size:           4
        .value_kind:     by_value
      - .offset:         32
        .size:           8
        .value_kind:     by_value
      - .address_space:  global
        .offset:         40
        .size:           8
        .value_kind:     global_buffer
      - .offset:         48
        .size:           4
        .value_kind:     by_value
      - .offset:         56
        .size:           8
        .value_kind:     by_value
      - .address_space:  global
        .offset:         64
        .size:           8
        .value_kind:     global_buffer
      - .address_space:  global
        .offset:         72
        .size:           8
        .value_kind:     global_buffer
      - .offset:         80
        .size:           4
        .value_kind:     by_value
      - .offset:         88
        .size:           8
        .value_kind:     by_value
      - .offset:         96
        .size:           4
        .value_kind:     by_value
    .group_segment_fixed_size: 4096
    .kernarg_segment_align: 8
    .kernarg_segment_size: 100
    .language:       OpenCL C
    .language_version:
      - 2
      - 0
    .max_flat_workgroup_size: 256
    .name:           _ZL29rocblas_internal_gemmt_kernelIiLi16ELi32ELi8ELc67ELc67ELc85ELb0ELb0EdPKdS1_PdEviT_T9_T10_S3_lS5_S3_lS4_T11_S3_li
    .private_segment_fixed_size: 0
    .sgpr_count:     28
    .sgpr_spill_count: 0
    .symbol:         _ZL29rocblas_internal_gemmt_kernelIiLi16ELi32ELi8ELc67ELc67ELc85ELb0ELb0EdPKdS1_PdEviT_T9_T10_S3_lS5_S3_lS4_T11_S3_li.kd
    .uniform_work_group_size: 1
    .uses_dynamic_stack: false
    .vgpr_count:     44
    .vgpr_spill_count: 0
    .wavefront_size: 32
    .workgroup_processor_mode: 1
  - .args:
      - .offset:         0
        .size:           4
        .value_kind:     by_value
      - .offset:         4
        .size:           4
        .value_kind:     by_value
      - .address_space:  global
        .offset:         8
        .size:           8
        .value_kind:     global_buffer
      - .address_space:  global
        .offset:         16
        .size:           8
        .value_kind:     global_buffer
      - .offset:         24
        .size:           4
        .value_kind:     by_value
      - .offset:         32
        .size:           8
        .value_kind:     by_value
      - .address_space:  global
        .offset:         40
        .size:           8
        .value_kind:     global_buffer
      - .offset:         48
        .size:           4
        .value_kind:     by_value
      - .offset:         56
        .size:           8
        .value_kind:     by_value
      - .address_space:  global
        .offset:         64
        .size:           8
        .value_kind:     global_buffer
      - .address_space:  global
        .offset:         72
        .size:           8
        .value_kind:     global_buffer
      - .offset:         80
        .size:           4
        .value_kind:     by_value
      - .offset:         88
        .size:           8
        .value_kind:     by_value
      - .offset:         96
        .size:           4
        .value_kind:     by_value
    .group_segment_fixed_size: 4096
    .kernarg_segment_align: 8
    .kernarg_segment_size: 100
    .language:       OpenCL C
    .language_version:
      - 2
      - 0
    .max_flat_workgroup_size: 256
    .name:           _ZL29rocblas_internal_gemmt_kernelIiLi16ELi32ELi8ELc78ELc78ELc76ELb0ELb0EdPKdS1_PdEviT_T9_T10_S3_lS5_S3_lS4_T11_S3_li
    .private_segment_fixed_size: 0
    .sgpr_count:     28
    .sgpr_spill_count: 0
    .symbol:         _ZL29rocblas_internal_gemmt_kernelIiLi16ELi32ELi8ELc78ELc78ELc76ELb0ELb0EdPKdS1_PdEviT_T9_T10_S3_lS5_S3_lS4_T11_S3_li.kd
    .uniform_work_group_size: 1
    .uses_dynamic_stack: false
    .vgpr_count:     44
    .vgpr_spill_count: 0
    .wavefront_size: 32
    .workgroup_processor_mode: 1
  - .args:
      - .offset:         0
        .size:           4
        .value_kind:     by_value
      - .offset:         4
        .size:           4
        .value_kind:     by_value
      - .address_space:  global
        .offset:         8
        .size:           8
        .value_kind:     global_buffer
      - .address_space:  global
        .offset:         16
        .size:           8
        .value_kind:     global_buffer
      - .offset:         24
        .size:           4
        .value_kind:     by_value
      - .offset:         32
        .size:           8
        .value_kind:     by_value
      - .address_space:  global
        .offset:         40
        .size:           8
        .value_kind:     global_buffer
      - .offset:         48
        .size:           4
        .value_kind:     by_value
      - .offset:         56
        .size:           8
        .value_kind:     by_value
      - .address_space:  global
        .offset:         64
        .size:           8
        .value_kind:     global_buffer
      - .address_space:  global
        .offset:         72
        .size:           8
        .value_kind:     global_buffer
      - .offset:         80
        .size:           4
        .value_kind:     by_value
      - .offset:         88
        .size:           8
        .value_kind:     by_value
      - .offset:         96
        .size:           4
        .value_kind:     by_value
    .group_segment_fixed_size: 4096
    .kernarg_segment_align: 8
    .kernarg_segment_size: 100
    .language:       OpenCL C
    .language_version:
      - 2
      - 0
    .max_flat_workgroup_size: 256
    .name:           _ZL29rocblas_internal_gemmt_kernelIiLi16ELi32ELi8ELc78ELc84ELc76ELb0ELb0EdPKdS1_PdEviT_T9_T10_S3_lS5_S3_lS4_T11_S3_li
    .private_segment_fixed_size: 0
    .sgpr_count:     30
    .sgpr_spill_count: 0
    .symbol:         _ZL29rocblas_internal_gemmt_kernelIiLi16ELi32ELi8ELc78ELc84ELc76ELb0ELb0EdPKdS1_PdEviT_T9_T10_S3_lS5_S3_lS4_T11_S3_li.kd
    .uniform_work_group_size: 1
    .uses_dynamic_stack: false
    .vgpr_count:     44
    .vgpr_spill_count: 0
    .wavefront_size: 32
    .workgroup_processor_mode: 1
  - .args:
      - .offset:         0
        .size:           4
        .value_kind:     by_value
      - .offset:         4
        .size:           4
        .value_kind:     by_value
      - .address_space:  global
        .offset:         8
        .size:           8
        .value_kind:     global_buffer
      - .address_space:  global
        .offset:         16
        .size:           8
        .value_kind:     global_buffer
      - .offset:         24
        .size:           4
        .value_kind:     by_value
      - .offset:         32
        .size:           8
        .value_kind:     by_value
      - .address_space:  global
        .offset:         40
        .size:           8
        .value_kind:     global_buffer
      - .offset:         48
        .size:           4
        .value_kind:     by_value
      - .offset:         56
        .size:           8
        .value_kind:     by_value
      - .address_space:  global
        .offset:         64
        .size:           8
        .value_kind:     global_buffer
      - .address_space:  global
        .offset:         72
        .size:           8
        .value_kind:     global_buffer
      - .offset:         80
        .size:           4
        .value_kind:     by_value
      - .offset:         88
        .size:           8
        .value_kind:     by_value
      - .offset:         96
        .size:           4
        .value_kind:     by_value
    .group_segment_fixed_size: 4096
    .kernarg_segment_align: 8
    .kernarg_segment_size: 100
    .language:       OpenCL C
    .language_version:
      - 2
      - 0
    .max_flat_workgroup_size: 256
    .name:           _ZL29rocblas_internal_gemmt_kernelIiLi16ELi32ELi8ELc78ELc67ELc76ELb0ELb0EdPKdS1_PdEviT_T9_T10_S3_lS5_S3_lS4_T11_S3_li
    .private_segment_fixed_size: 0
    .sgpr_count:     30
    .sgpr_spill_count: 0
    .symbol:         _ZL29rocblas_internal_gemmt_kernelIiLi16ELi32ELi8ELc78ELc67ELc76ELb0ELb0EdPKdS1_PdEviT_T9_T10_S3_lS5_S3_lS4_T11_S3_li.kd
    .uniform_work_group_size: 1
    .uses_dynamic_stack: false
    .vgpr_count:     44
    .vgpr_spill_count: 0
    .wavefront_size: 32
    .workgroup_processor_mode: 1
  - .args:
      - .offset:         0
        .size:           4
        .value_kind:     by_value
      - .offset:         4
        .size:           4
        .value_kind:     by_value
      - .address_space:  global
        .offset:         8
        .size:           8
        .value_kind:     global_buffer
      - .address_space:  global
        .offset:         16
        .size:           8
        .value_kind:     global_buffer
      - .offset:         24
        .size:           4
        .value_kind:     by_value
      - .offset:         32
        .size:           8
        .value_kind:     by_value
      - .address_space:  global
        .offset:         40
        .size:           8
        .value_kind:     global_buffer
      - .offset:         48
        .size:           4
        .value_kind:     by_value
      - .offset:         56
        .size:           8
        .value_kind:     by_value
      - .address_space:  global
        .offset:         64
        .size:           8
        .value_kind:     global_buffer
      - .address_space:  global
        .offset:         72
        .size:           8
        .value_kind:     global_buffer
      - .offset:         80
        .size:           4
        .value_kind:     by_value
      - .offset:         88
        .size:           8
        .value_kind:     by_value
      - .offset:         96
        .size:           4
        .value_kind:     by_value
    .group_segment_fixed_size: 4096
    .kernarg_segment_align: 8
    .kernarg_segment_size: 100
    .language:       OpenCL C
    .language_version:
      - 2
      - 0
    .max_flat_workgroup_size: 256
    .name:           _ZL29rocblas_internal_gemmt_kernelIiLi16ELi32ELi8ELc84ELc78ELc76ELb0ELb0EdPKdS1_PdEviT_T9_T10_S3_lS5_S3_lS4_T11_S3_li
    .private_segment_fixed_size: 0
    .sgpr_count:     27
    .sgpr_spill_count: 0
    .symbol:         _ZL29rocblas_internal_gemmt_kernelIiLi16ELi32ELi8ELc84ELc78ELc76ELb0ELb0EdPKdS1_PdEviT_T9_T10_S3_lS5_S3_lS4_T11_S3_li.kd
    .uniform_work_group_size: 1
    .uses_dynamic_stack: false
    .vgpr_count:     44
    .vgpr_spill_count: 0
    .wavefront_size: 32
    .workgroup_processor_mode: 1
  - .args:
      - .offset:         0
        .size:           4
        .value_kind:     by_value
      - .offset:         4
        .size:           4
        .value_kind:     by_value
      - .address_space:  global
        .offset:         8
        .size:           8
        .value_kind:     global_buffer
      - .address_space:  global
        .offset:         16
        .size:           8
        .value_kind:     global_buffer
      - .offset:         24
        .size:           4
        .value_kind:     by_value
      - .offset:         32
        .size:           8
        .value_kind:     by_value
      - .address_space:  global
        .offset:         40
        .size:           8
        .value_kind:     global_buffer
      - .offset:         48
        .size:           4
        .value_kind:     by_value
      - .offset:         56
        .size:           8
        .value_kind:     by_value
      - .address_space:  global
        .offset:         64
        .size:           8
        .value_kind:     global_buffer
      - .address_space:  global
        .offset:         72
        .size:           8
        .value_kind:     global_buffer
      - .offset:         80
        .size:           4
        .value_kind:     by_value
      - .offset:         88
        .size:           8
        .value_kind:     by_value
      - .offset:         96
        .size:           4
        .value_kind:     by_value
    .group_segment_fixed_size: 4096
    .kernarg_segment_align: 8
    .kernarg_segment_size: 100
    .language:       OpenCL C
    .language_version:
      - 2
      - 0
    .max_flat_workgroup_size: 256
    .name:           _ZL29rocblas_internal_gemmt_kernelIiLi16ELi32ELi8ELc84ELc84ELc76ELb0ELb0EdPKdS1_PdEviT_T9_T10_S3_lS5_S3_lS4_T11_S3_li
    .private_segment_fixed_size: 0
    .sgpr_count:     28
    .sgpr_spill_count: 0
    .symbol:         _ZL29rocblas_internal_gemmt_kernelIiLi16ELi32ELi8ELc84ELc84ELc76ELb0ELb0EdPKdS1_PdEviT_T9_T10_S3_lS5_S3_lS4_T11_S3_li.kd
    .uniform_work_group_size: 1
    .uses_dynamic_stack: false
    .vgpr_count:     44
    .vgpr_spill_count: 0
    .wavefront_size: 32
    .workgroup_processor_mode: 1
  - .args:
      - .offset:         0
        .size:           4
        .value_kind:     by_value
      - .offset:         4
        .size:           4
        .value_kind:     by_value
      - .address_space:  global
        .offset:         8
        .size:           8
        .value_kind:     global_buffer
      - .address_space:  global
        .offset:         16
        .size:           8
        .value_kind:     global_buffer
      - .offset:         24
        .size:           4
        .value_kind:     by_value
      - .offset:         32
        .size:           8
        .value_kind:     by_value
      - .address_space:  global
        .offset:         40
        .size:           8
        .value_kind:     global_buffer
      - .offset:         48
        .size:           4
        .value_kind:     by_value
      - .offset:         56
        .size:           8
        .value_kind:     by_value
      - .address_space:  global
        .offset:         64
        .size:           8
        .value_kind:     global_buffer
      - .address_space:  global
        .offset:         72
        .size:           8
        .value_kind:     global_buffer
      - .offset:         80
        .size:           4
        .value_kind:     by_value
      - .offset:         88
        .size:           8
        .value_kind:     by_value
      - .offset:         96
        .size:           4
        .value_kind:     by_value
    .group_segment_fixed_size: 4096
    .kernarg_segment_align: 8
    .kernarg_segment_size: 100
    .language:       OpenCL C
    .language_version:
      - 2
      - 0
    .max_flat_workgroup_size: 256
    .name:           _ZL29rocblas_internal_gemmt_kernelIiLi16ELi32ELi8ELc84ELc67ELc76ELb0ELb0EdPKdS1_PdEviT_T9_T10_S3_lS5_S3_lS4_T11_S3_li
    .private_segment_fixed_size: 0
    .sgpr_count:     28
    .sgpr_spill_count: 0
    .symbol:         _ZL29rocblas_internal_gemmt_kernelIiLi16ELi32ELi8ELc84ELc67ELc76ELb0ELb0EdPKdS1_PdEviT_T9_T10_S3_lS5_S3_lS4_T11_S3_li.kd
    .uniform_work_group_size: 1
    .uses_dynamic_stack: false
    .vgpr_count:     44
    .vgpr_spill_count: 0
    .wavefront_size: 32
    .workgroup_processor_mode: 1
  - .args:
      - .offset:         0
        .size:           4
        .value_kind:     by_value
      - .offset:         4
        .size:           4
        .value_kind:     by_value
      - .address_space:  global
        .offset:         8
        .size:           8
        .value_kind:     global_buffer
      - .address_space:  global
        .offset:         16
        .size:           8
        .value_kind:     global_buffer
      - .offset:         24
        .size:           4
        .value_kind:     by_value
      - .offset:         32
        .size:           8
        .value_kind:     by_value
      - .address_space:  global
        .offset:         40
        .size:           8
        .value_kind:     global_buffer
      - .offset:         48
        .size:           4
        .value_kind:     by_value
      - .offset:         56
        .size:           8
        .value_kind:     by_value
      - .address_space:  global
        .offset:         64
        .size:           8
        .value_kind:     global_buffer
      - .address_space:  global
        .offset:         72
        .size:           8
        .value_kind:     global_buffer
      - .offset:         80
        .size:           4
        .value_kind:     by_value
      - .offset:         88
        .size:           8
        .value_kind:     by_value
      - .offset:         96
        .size:           4
        .value_kind:     by_value
    .group_segment_fixed_size: 4096
    .kernarg_segment_align: 8
    .kernarg_segment_size: 100
    .language:       OpenCL C
    .language_version:
      - 2
      - 0
    .max_flat_workgroup_size: 256
    .name:           _ZL29rocblas_internal_gemmt_kernelIiLi16ELi32ELi8ELc67ELc78ELc76ELb0ELb0EdPKdS1_PdEviT_T9_T10_S3_lS5_S3_lS4_T11_S3_li
    .private_segment_fixed_size: 0
    .sgpr_count:     27
    .sgpr_spill_count: 0
    .symbol:         _ZL29rocblas_internal_gemmt_kernelIiLi16ELi32ELi8ELc67ELc78ELc76ELb0ELb0EdPKdS1_PdEviT_T9_T10_S3_lS5_S3_lS4_T11_S3_li.kd
    .uniform_work_group_size: 1
    .uses_dynamic_stack: false
    .vgpr_count:     44
    .vgpr_spill_count: 0
    .wavefront_size: 32
    .workgroup_processor_mode: 1
  - .args:
      - .offset:         0
        .size:           4
        .value_kind:     by_value
      - .offset:         4
        .size:           4
        .value_kind:     by_value
      - .address_space:  global
        .offset:         8
        .size:           8
        .value_kind:     global_buffer
      - .address_space:  global
        .offset:         16
        .size:           8
        .value_kind:     global_buffer
      - .offset:         24
        .size:           4
        .value_kind:     by_value
      - .offset:         32
        .size:           8
        .value_kind:     by_value
      - .address_space:  global
        .offset:         40
        .size:           8
        .value_kind:     global_buffer
      - .offset:         48
        .size:           4
        .value_kind:     by_value
      - .offset:         56
        .size:           8
        .value_kind:     by_value
      - .address_space:  global
        .offset:         64
        .size:           8
        .value_kind:     global_buffer
      - .address_space:  global
        .offset:         72
        .size:           8
        .value_kind:     global_buffer
      - .offset:         80
        .size:           4
        .value_kind:     by_value
      - .offset:         88
        .size:           8
        .value_kind:     by_value
      - .offset:         96
        .size:           4
        .value_kind:     by_value
    .group_segment_fixed_size: 4096
    .kernarg_segment_align: 8
    .kernarg_segment_size: 100
    .language:       OpenCL C
    .language_version:
      - 2
      - 0
    .max_flat_workgroup_size: 256
    .name:           _ZL29rocblas_internal_gemmt_kernelIiLi16ELi32ELi8ELc67ELc84ELc76ELb0ELb0EdPKdS1_PdEviT_T9_T10_S3_lS5_S3_lS4_T11_S3_li
    .private_segment_fixed_size: 0
    .sgpr_count:     28
    .sgpr_spill_count: 0
    .symbol:         _ZL29rocblas_internal_gemmt_kernelIiLi16ELi32ELi8ELc67ELc84ELc76ELb0ELb0EdPKdS1_PdEviT_T9_T10_S3_lS5_S3_lS4_T11_S3_li.kd
    .uniform_work_group_size: 1
    .uses_dynamic_stack: false
    .vgpr_count:     44
    .vgpr_spill_count: 0
    .wavefront_size: 32
    .workgroup_processor_mode: 1
  - .args:
      - .offset:         0
        .size:           4
        .value_kind:     by_value
      - .offset:         4
        .size:           4
        .value_kind:     by_value
      - .address_space:  global
        .offset:         8
        .size:           8
        .value_kind:     global_buffer
      - .address_space:  global
        .offset:         16
        .size:           8
        .value_kind:     global_buffer
      - .offset:         24
        .size:           4
        .value_kind:     by_value
      - .offset:         32
        .size:           8
        .value_kind:     by_value
      - .address_space:  global
        .offset:         40
        .size:           8
        .value_kind:     global_buffer
      - .offset:         48
        .size:           4
        .value_kind:     by_value
      - .offset:         56
        .size:           8
        .value_kind:     by_value
      - .address_space:  global
        .offset:         64
        .size:           8
        .value_kind:     global_buffer
      - .address_space:  global
        .offset:         72
        .size:           8
        .value_kind:     global_buffer
      - .offset:         80
        .size:           4
        .value_kind:     by_value
      - .offset:         88
        .size:           8
        .value_kind:     by_value
      - .offset:         96
        .size:           4
        .value_kind:     by_value
    .group_segment_fixed_size: 4096
    .kernarg_segment_align: 8
    .kernarg_segment_size: 100
    .language:       OpenCL C
    .language_version:
      - 2
      - 0
    .max_flat_workgroup_size: 256
    .name:           _ZL29rocblas_internal_gemmt_kernelIiLi16ELi32ELi8ELc67ELc67ELc76ELb0ELb0EdPKdS1_PdEviT_T9_T10_S3_lS5_S3_lS4_T11_S3_li
    .private_segment_fixed_size: 0
    .sgpr_count:     28
    .sgpr_spill_count: 0
    .symbol:         _ZL29rocblas_internal_gemmt_kernelIiLi16ELi32ELi8ELc67ELc67ELc76ELb0ELb0EdPKdS1_PdEviT_T9_T10_S3_lS5_S3_lS4_T11_S3_li.kd
    .uniform_work_group_size: 1
    .uses_dynamic_stack: false
    .vgpr_count:     44
    .vgpr_spill_count: 0
    .wavefront_size: 32
    .workgroup_processor_mode: 1
  - .args:
      - .offset:         0
        .size:           4
        .value_kind:     by_value
      - .offset:         4
        .size:           4
        .value_kind:     by_value
      - .offset:         8
        .size:           8
        .value_kind:     by_value
      - .address_space:  global
        .offset:         16
        .size:           8
        .value_kind:     global_buffer
      - .offset:         24
        .size:           4
        .value_kind:     by_value
      - .offset:         32
        .size:           8
        .value_kind:     by_value
      - .address_space:  global
        .offset:         40
        .size:           8
        .value_kind:     global_buffer
      - .offset:         48
        .size:           4
        .value_kind:     by_value
      - .offset:         56
        .size:           8
        .value_kind:     by_value
      - .offset:         64
        .size:           8
        .value_kind:     by_value
      - .address_space:  global
        .offset:         72
        .size:           8
        .value_kind:     global_buffer
      - .offset:         80
        .size:           4
        .value_kind:     by_value
      - .offset:         88
        .size:           8
        .value_kind:     by_value
      - .offset:         96
        .size:           4
        .value_kind:     by_value
    .group_segment_fixed_size: 4096
    .kernarg_segment_align: 8
    .kernarg_segment_size: 100
    .language:       OpenCL C
    .language_version:
      - 2
      - 0
    .max_flat_workgroup_size: 256
    .name:           _ZL29rocblas_internal_gemmt_kernelIiLi16ELi32ELi8ELc78ELc78ELc85ELb0ELb0EddPKdPdEviT_T9_T10_S3_lS5_S3_lS4_T11_S3_li
    .private_segment_fixed_size: 0
    .sgpr_count:     28
    .sgpr_spill_count: 0
    .symbol:         _ZL29rocblas_internal_gemmt_kernelIiLi16ELi32ELi8ELc78ELc78ELc85ELb0ELb0EddPKdPdEviT_T9_T10_S3_lS5_S3_lS4_T11_S3_li.kd
    .uniform_work_group_size: 1
    .uses_dynamic_stack: false
    .vgpr_count:     44
    .vgpr_spill_count: 0
    .wavefront_size: 32
    .workgroup_processor_mode: 1
  - .args:
      - .offset:         0
        .size:           4
        .value_kind:     by_value
      - .offset:         4
        .size:           4
        .value_kind:     by_value
      - .offset:         8
        .size:           8
        .value_kind:     by_value
      - .address_space:  global
        .offset:         16
        .size:           8
        .value_kind:     global_buffer
      - .offset:         24
        .size:           4
        .value_kind:     by_value
      - .offset:         32
        .size:           8
        .value_kind:     by_value
      - .address_space:  global
        .offset:         40
        .size:           8
        .value_kind:     global_buffer
      - .offset:         48
        .size:           4
        .value_kind:     by_value
      - .offset:         56
        .size:           8
        .value_kind:     by_value
      - .offset:         64
        .size:           8
        .value_kind:     by_value
      - .address_space:  global
        .offset:         72
        .size:           8
        .value_kind:     global_buffer
      - .offset:         80
        .size:           4
        .value_kind:     by_value
      - .offset:         88
        .size:           8
        .value_kind:     by_value
      - .offset:         96
        .size:           4
        .value_kind:     by_value
    .group_segment_fixed_size: 4096
    .kernarg_segment_align: 8
    .kernarg_segment_size: 100
    .language:       OpenCL C
    .language_version:
      - 2
      - 0
    .max_flat_workgroup_size: 256
    .name:           _ZL29rocblas_internal_gemmt_kernelIiLi16ELi32ELi8ELc78ELc84ELc85ELb0ELb0EddPKdPdEviT_T9_T10_S3_lS5_S3_lS4_T11_S3_li
    .private_segment_fixed_size: 0
    .sgpr_count:     30
    .sgpr_spill_count: 0
    .symbol:         _ZL29rocblas_internal_gemmt_kernelIiLi16ELi32ELi8ELc78ELc84ELc85ELb0ELb0EddPKdPdEviT_T9_T10_S3_lS5_S3_lS4_T11_S3_li.kd
    .uniform_work_group_size: 1
    .uses_dynamic_stack: false
    .vgpr_count:     44
    .vgpr_spill_count: 0
    .wavefront_size: 32
    .workgroup_processor_mode: 1
  - .args:
      - .offset:         0
        .size:           4
        .value_kind:     by_value
      - .offset:         4
        .size:           4
        .value_kind:     by_value
      - .offset:         8
        .size:           8
        .value_kind:     by_value
      - .address_space:  global
        .offset:         16
        .size:           8
        .value_kind:     global_buffer
      - .offset:         24
        .size:           4
        .value_kind:     by_value
      - .offset:         32
        .size:           8
        .value_kind:     by_value
      - .address_space:  global
        .offset:         40
        .size:           8
        .value_kind:     global_buffer
      - .offset:         48
        .size:           4
        .value_kind:     by_value
      - .offset:         56
        .size:           8
        .value_kind:     by_value
      - .offset:         64
        .size:           8
        .value_kind:     by_value
      - .address_space:  global
        .offset:         72
        .size:           8
        .value_kind:     global_buffer
      - .offset:         80
        .size:           4
        .value_kind:     by_value
      - .offset:         88
        .size:           8
        .value_kind:     by_value
      - .offset:         96
        .size:           4
        .value_kind:     by_value
    .group_segment_fixed_size: 4096
    .kernarg_segment_align: 8
    .kernarg_segment_size: 100
    .language:       OpenCL C
    .language_version:
      - 2
      - 0
    .max_flat_workgroup_size: 256
    .name:           _ZL29rocblas_internal_gemmt_kernelIiLi16ELi32ELi8ELc78ELc67ELc85ELb0ELb0EddPKdPdEviT_T9_T10_S3_lS5_S3_lS4_T11_S3_li
    .private_segment_fixed_size: 0
    .sgpr_count:     30
    .sgpr_spill_count: 0
    .symbol:         _ZL29rocblas_internal_gemmt_kernelIiLi16ELi32ELi8ELc78ELc67ELc85ELb0ELb0EddPKdPdEviT_T9_T10_S3_lS5_S3_lS4_T11_S3_li.kd
    .uniform_work_group_size: 1
    .uses_dynamic_stack: false
    .vgpr_count:     44
    .vgpr_spill_count: 0
    .wavefront_size: 32
    .workgroup_processor_mode: 1
  - .args:
      - .offset:         0
        .size:           4
        .value_kind:     by_value
      - .offset:         4
        .size:           4
        .value_kind:     by_value
      - .offset:         8
        .size:           8
        .value_kind:     by_value
      - .address_space:  global
        .offset:         16
        .size:           8
        .value_kind:     global_buffer
      - .offset:         24
        .size:           4
        .value_kind:     by_value
      - .offset:         32
        .size:           8
        .value_kind:     by_value
      - .address_space:  global
        .offset:         40
        .size:           8
        .value_kind:     global_buffer
      - .offset:         48
        .size:           4
        .value_kind:     by_value
      - .offset:         56
        .size:           8
        .value_kind:     by_value
      - .offset:         64
        .size:           8
        .value_kind:     by_value
      - .address_space:  global
        .offset:         72
        .size:           8
        .value_kind:     global_buffer
      - .offset:         80
        .size:           4
        .value_kind:     by_value
      - .offset:         88
        .size:           8
        .value_kind:     by_value
      - .offset:         96
        .size:           4
        .value_kind:     by_value
    .group_segment_fixed_size: 4096
    .kernarg_segment_align: 8
    .kernarg_segment_size: 100
    .language:       OpenCL C
    .language_version:
      - 2
      - 0
    .max_flat_workgroup_size: 256
    .name:           _ZL29rocblas_internal_gemmt_kernelIiLi16ELi32ELi8ELc84ELc78ELc85ELb0ELb0EddPKdPdEviT_T9_T10_S3_lS5_S3_lS4_T11_S3_li
    .private_segment_fixed_size: 0
    .sgpr_count:     27
    .sgpr_spill_count: 0
    .symbol:         _ZL29rocblas_internal_gemmt_kernelIiLi16ELi32ELi8ELc84ELc78ELc85ELb0ELb0EddPKdPdEviT_T9_T10_S3_lS5_S3_lS4_T11_S3_li.kd
    .uniform_work_group_size: 1
    .uses_dynamic_stack: false
    .vgpr_count:     44
    .vgpr_spill_count: 0
    .wavefront_size: 32
    .workgroup_processor_mode: 1
  - .args:
      - .offset:         0
        .size:           4
        .value_kind:     by_value
      - .offset:         4
        .size:           4
        .value_kind:     by_value
      - .offset:         8
        .size:           8
        .value_kind:     by_value
      - .address_space:  global
        .offset:         16
        .size:           8
        .value_kind:     global_buffer
      - .offset:         24
        .size:           4
        .value_kind:     by_value
      - .offset:         32
        .size:           8
        .value_kind:     by_value
      - .address_space:  global
        .offset:         40
        .size:           8
        .value_kind:     global_buffer
      - .offset:         48
        .size:           4
        .value_kind:     by_value
      - .offset:         56
        .size:           8
        .value_kind:     by_value
      - .offset:         64
        .size:           8
        .value_kind:     by_value
      - .address_space:  global
        .offset:         72
        .size:           8
        .value_kind:     global_buffer
      - .offset:         80
        .size:           4
        .value_kind:     by_value
      - .offset:         88
        .size:           8
        .value_kind:     by_value
      - .offset:         96
        .size:           4
        .value_kind:     by_value
    .group_segment_fixed_size: 4096
    .kernarg_segment_align: 8
    .kernarg_segment_size: 100
    .language:       OpenCL C
    .language_version:
      - 2
      - 0
    .max_flat_workgroup_size: 256
    .name:           _ZL29rocblas_internal_gemmt_kernelIiLi16ELi32ELi8ELc84ELc84ELc85ELb0ELb0EddPKdPdEviT_T9_T10_S3_lS5_S3_lS4_T11_S3_li
    .private_segment_fixed_size: 0
    .sgpr_count:     28
    .sgpr_spill_count: 0
    .symbol:         _ZL29rocblas_internal_gemmt_kernelIiLi16ELi32ELi8ELc84ELc84ELc85ELb0ELb0EddPKdPdEviT_T9_T10_S3_lS5_S3_lS4_T11_S3_li.kd
    .uniform_work_group_size: 1
    .uses_dynamic_stack: false
    .vgpr_count:     44
    .vgpr_spill_count: 0
    .wavefront_size: 32
    .workgroup_processor_mode: 1
  - .args:
      - .offset:         0
        .size:           4
        .value_kind:     by_value
      - .offset:         4
        .size:           4
        .value_kind:     by_value
      - .offset:         8
        .size:           8
        .value_kind:     by_value
      - .address_space:  global
        .offset:         16
        .size:           8
        .value_kind:     global_buffer
      - .offset:         24
        .size:           4
        .value_kind:     by_value
      - .offset:         32
        .size:           8
        .value_kind:     by_value
      - .address_space:  global
        .offset:         40
        .size:           8
        .value_kind:     global_buffer
      - .offset:         48
        .size:           4
        .value_kind:     by_value
      - .offset:         56
        .size:           8
        .value_kind:     by_value
      - .offset:         64
        .size:           8
        .value_kind:     by_value
      - .address_space:  global
        .offset:         72
        .size:           8
        .value_kind:     global_buffer
      - .offset:         80
        .size:           4
        .value_kind:     by_value
      - .offset:         88
        .size:           8
        .value_kind:     by_value
      - .offset:         96
        .size:           4
        .value_kind:     by_value
    .group_segment_fixed_size: 4096
    .kernarg_segment_align: 8
    .kernarg_segment_size: 100
    .language:       OpenCL C
    .language_version:
      - 2
      - 0
    .max_flat_workgroup_size: 256
    .name:           _ZL29rocblas_internal_gemmt_kernelIiLi16ELi32ELi8ELc84ELc67ELc85ELb0ELb0EddPKdPdEviT_T9_T10_S3_lS5_S3_lS4_T11_S3_li
    .private_segment_fixed_size: 0
    .sgpr_count:     28
    .sgpr_spill_count: 0
    .symbol:         _ZL29rocblas_internal_gemmt_kernelIiLi16ELi32ELi8ELc84ELc67ELc85ELb0ELb0EddPKdPdEviT_T9_T10_S3_lS5_S3_lS4_T11_S3_li.kd
    .uniform_work_group_size: 1
    .uses_dynamic_stack: false
    .vgpr_count:     44
    .vgpr_spill_count: 0
    .wavefront_size: 32
    .workgroup_processor_mode: 1
  - .args:
      - .offset:         0
        .size:           4
        .value_kind:     by_value
      - .offset:         4
        .size:           4
        .value_kind:     by_value
      - .offset:         8
        .size:           8
        .value_kind:     by_value
      - .address_space:  global
        .offset:         16
        .size:           8
        .value_kind:     global_buffer
      - .offset:         24
        .size:           4
        .value_kind:     by_value
      - .offset:         32
        .size:           8
        .value_kind:     by_value
      - .address_space:  global
        .offset:         40
        .size:           8
        .value_kind:     global_buffer
      - .offset:         48
        .size:           4
        .value_kind:     by_value
      - .offset:         56
        .size:           8
        .value_kind:     by_value
      - .offset:         64
        .size:           8
        .value_kind:     by_value
      - .address_space:  global
        .offset:         72
        .size:           8
        .value_kind:     global_buffer
      - .offset:         80
        .size:           4
        .value_kind:     by_value
      - .offset:         88
        .size:           8
        .value_kind:     by_value
      - .offset:         96
        .size:           4
        .value_kind:     by_value
    .group_segment_fixed_size: 4096
    .kernarg_segment_align: 8
    .kernarg_segment_size: 100
    .language:       OpenCL C
    .language_version:
      - 2
      - 0
    .max_flat_workgroup_size: 256
    .name:           _ZL29rocblas_internal_gemmt_kernelIiLi16ELi32ELi8ELc67ELc78ELc85ELb0ELb0EddPKdPdEviT_T9_T10_S3_lS5_S3_lS4_T11_S3_li
    .private_segment_fixed_size: 0
    .sgpr_count:     27
    .sgpr_spill_count: 0
    .symbol:         _ZL29rocblas_internal_gemmt_kernelIiLi16ELi32ELi8ELc67ELc78ELc85ELb0ELb0EddPKdPdEviT_T9_T10_S3_lS5_S3_lS4_T11_S3_li.kd
    .uniform_work_group_size: 1
    .uses_dynamic_stack: false
    .vgpr_count:     44
    .vgpr_spill_count: 0
    .wavefront_size: 32
    .workgroup_processor_mode: 1
  - .args:
      - .offset:         0
        .size:           4
        .value_kind:     by_value
      - .offset:         4
        .size:           4
        .value_kind:     by_value
      - .offset:         8
        .size:           8
        .value_kind:     by_value
      - .address_space:  global
        .offset:         16
        .size:           8
        .value_kind:     global_buffer
      - .offset:         24
        .size:           4
        .value_kind:     by_value
      - .offset:         32
        .size:           8
        .value_kind:     by_value
      - .address_space:  global
        .offset:         40
        .size:           8
        .value_kind:     global_buffer
      - .offset:         48
        .size:           4
        .value_kind:     by_value
      - .offset:         56
        .size:           8
        .value_kind:     by_value
      - .offset:         64
        .size:           8
        .value_kind:     by_value
      - .address_space:  global
        .offset:         72
        .size:           8
        .value_kind:     global_buffer
      - .offset:         80
        .size:           4
        .value_kind:     by_value
      - .offset:         88
        .size:           8
        .value_kind:     by_value
      - .offset:         96
        .size:           4
        .value_kind:     by_value
    .group_segment_fixed_size: 4096
    .kernarg_segment_align: 8
    .kernarg_segment_size: 100
    .language:       OpenCL C
    .language_version:
      - 2
      - 0
    .max_flat_workgroup_size: 256
    .name:           _ZL29rocblas_internal_gemmt_kernelIiLi16ELi32ELi8ELc67ELc84ELc85ELb0ELb0EddPKdPdEviT_T9_T10_S3_lS5_S3_lS4_T11_S3_li
    .private_segment_fixed_size: 0
    .sgpr_count:     28
    .sgpr_spill_count: 0
    .symbol:         _ZL29rocblas_internal_gemmt_kernelIiLi16ELi32ELi8ELc67ELc84ELc85ELb0ELb0EddPKdPdEviT_T9_T10_S3_lS5_S3_lS4_T11_S3_li.kd
    .uniform_work_group_size: 1
    .uses_dynamic_stack: false
    .vgpr_count:     44
    .vgpr_spill_count: 0
    .wavefront_size: 32
    .workgroup_processor_mode: 1
  - .args:
      - .offset:         0
        .size:           4
        .value_kind:     by_value
      - .offset:         4
        .size:           4
        .value_kind:     by_value
      - .offset:         8
        .size:           8
        .value_kind:     by_value
      - .address_space:  global
        .offset:         16
        .size:           8
        .value_kind:     global_buffer
      - .offset:         24
        .size:           4
        .value_kind:     by_value
      - .offset:         32
        .size:           8
        .value_kind:     by_value
      - .address_space:  global
        .offset:         40
        .size:           8
        .value_kind:     global_buffer
      - .offset:         48
        .size:           4
        .value_kind:     by_value
      - .offset:         56
        .size:           8
        .value_kind:     by_value
      - .offset:         64
        .size:           8
        .value_kind:     by_value
      - .address_space:  global
        .offset:         72
        .size:           8
        .value_kind:     global_buffer
      - .offset:         80
        .size:           4
        .value_kind:     by_value
      - .offset:         88
        .size:           8
        .value_kind:     by_value
      - .offset:         96
        .size:           4
        .value_kind:     by_value
    .group_segment_fixed_size: 4096
    .kernarg_segment_align: 8
    .kernarg_segment_size: 100
    .language:       OpenCL C
    .language_version:
      - 2
      - 0
    .max_flat_workgroup_size: 256
    .name:           _ZL29rocblas_internal_gemmt_kernelIiLi16ELi32ELi8ELc67ELc67ELc85ELb0ELb0EddPKdPdEviT_T9_T10_S3_lS5_S3_lS4_T11_S3_li
    .private_segment_fixed_size: 0
    .sgpr_count:     28
    .sgpr_spill_count: 0
    .symbol:         _ZL29rocblas_internal_gemmt_kernelIiLi16ELi32ELi8ELc67ELc67ELc85ELb0ELb0EddPKdPdEviT_T9_T10_S3_lS5_S3_lS4_T11_S3_li.kd
    .uniform_work_group_size: 1
    .uses_dynamic_stack: false
    .vgpr_count:     44
    .vgpr_spill_count: 0
    .wavefront_size: 32
    .workgroup_processor_mode: 1
  - .args:
      - .offset:         0
        .size:           4
        .value_kind:     by_value
      - .offset:         4
        .size:           4
        .value_kind:     by_value
      - .offset:         8
        .size:           8
        .value_kind:     by_value
      - .address_space:  global
        .offset:         16
        .size:           8
        .value_kind:     global_buffer
      - .offset:         24
        .size:           4
        .value_kind:     by_value
      - .offset:         32
        .size:           8
        .value_kind:     by_value
      - .address_space:  global
        .offset:         40
        .size:           8
        .value_kind:     global_buffer
      - .offset:         48
        .size:           4
        .value_kind:     by_value
      - .offset:         56
        .size:           8
        .value_kind:     by_value
      - .offset:         64
        .size:           8
        .value_kind:     by_value
      - .address_space:  global
        .offset:         72
        .size:           8
        .value_kind:     global_buffer
      - .offset:         80
        .size:           4
        .value_kind:     by_value
      - .offset:         88
        .size:           8
        .value_kind:     by_value
      - .offset:         96
        .size:           4
        .value_kind:     by_value
    .group_segment_fixed_size: 4096
    .kernarg_segment_align: 8
    .kernarg_segment_size: 100
    .language:       OpenCL C
    .language_version:
      - 2
      - 0
    .max_flat_workgroup_size: 256
    .name:           _ZL29rocblas_internal_gemmt_kernelIiLi16ELi32ELi8ELc78ELc78ELc76ELb0ELb0EddPKdPdEviT_T9_T10_S3_lS5_S3_lS4_T11_S3_li
    .private_segment_fixed_size: 0
    .sgpr_count:     28
    .sgpr_spill_count: 0
    .symbol:         _ZL29rocblas_internal_gemmt_kernelIiLi16ELi32ELi8ELc78ELc78ELc76ELb0ELb0EddPKdPdEviT_T9_T10_S3_lS5_S3_lS4_T11_S3_li.kd
    .uniform_work_group_size: 1
    .uses_dynamic_stack: false
    .vgpr_count:     44
    .vgpr_spill_count: 0
    .wavefront_size: 32
    .workgroup_processor_mode: 1
  - .args:
      - .offset:         0
        .size:           4
        .value_kind:     by_value
      - .offset:         4
        .size:           4
        .value_kind:     by_value
      - .offset:         8
        .size:           8
        .value_kind:     by_value
      - .address_space:  global
        .offset:         16
        .size:           8
        .value_kind:     global_buffer
      - .offset:         24
        .size:           4
        .value_kind:     by_value
      - .offset:         32
        .size:           8
        .value_kind:     by_value
      - .address_space:  global
        .offset:         40
        .size:           8
        .value_kind:     global_buffer
      - .offset:         48
        .size:           4
        .value_kind:     by_value
      - .offset:         56
        .size:           8
        .value_kind:     by_value
      - .offset:         64
        .size:           8
        .value_kind:     by_value
      - .address_space:  global
        .offset:         72
        .size:           8
        .value_kind:     global_buffer
      - .offset:         80
        .size:           4
        .value_kind:     by_value
      - .offset:         88
        .size:           8
        .value_kind:     by_value
      - .offset:         96
        .size:           4
        .value_kind:     by_value
    .group_segment_fixed_size: 4096
    .kernarg_segment_align: 8
    .kernarg_segment_size: 100
    .language:       OpenCL C
    .language_version:
      - 2
      - 0
    .max_flat_workgroup_size: 256
    .name:           _ZL29rocblas_internal_gemmt_kernelIiLi16ELi32ELi8ELc78ELc84ELc76ELb0ELb0EddPKdPdEviT_T9_T10_S3_lS5_S3_lS4_T11_S3_li
    .private_segment_fixed_size: 0
    .sgpr_count:     30
    .sgpr_spill_count: 0
    .symbol:         _ZL29rocblas_internal_gemmt_kernelIiLi16ELi32ELi8ELc78ELc84ELc76ELb0ELb0EddPKdPdEviT_T9_T10_S3_lS5_S3_lS4_T11_S3_li.kd
    .uniform_work_group_size: 1
    .uses_dynamic_stack: false
    .vgpr_count:     44
    .vgpr_spill_count: 0
    .wavefront_size: 32
    .workgroup_processor_mode: 1
  - .args:
      - .offset:         0
        .size:           4
        .value_kind:     by_value
      - .offset:         4
        .size:           4
        .value_kind:     by_value
      - .offset:         8
        .size:           8
        .value_kind:     by_value
      - .address_space:  global
        .offset:         16
        .size:           8
        .value_kind:     global_buffer
      - .offset:         24
        .size:           4
        .value_kind:     by_value
      - .offset:         32
        .size:           8
        .value_kind:     by_value
      - .address_space:  global
        .offset:         40
        .size:           8
        .value_kind:     global_buffer
      - .offset:         48
        .size:           4
        .value_kind:     by_value
      - .offset:         56
        .size:           8
        .value_kind:     by_value
      - .offset:         64
        .size:           8
        .value_kind:     by_value
      - .address_space:  global
        .offset:         72
        .size:           8
        .value_kind:     global_buffer
      - .offset:         80
        .size:           4
        .value_kind:     by_value
      - .offset:         88
        .size:           8
        .value_kind:     by_value
      - .offset:         96
        .size:           4
        .value_kind:     by_value
    .group_segment_fixed_size: 4096
    .kernarg_segment_align: 8
    .kernarg_segment_size: 100
    .language:       OpenCL C
    .language_version:
      - 2
      - 0
    .max_flat_workgroup_size: 256
    .name:           _ZL29rocblas_internal_gemmt_kernelIiLi16ELi32ELi8ELc78ELc67ELc76ELb0ELb0EddPKdPdEviT_T9_T10_S3_lS5_S3_lS4_T11_S3_li
    .private_segment_fixed_size: 0
    .sgpr_count:     30
    .sgpr_spill_count: 0
    .symbol:         _ZL29rocblas_internal_gemmt_kernelIiLi16ELi32ELi8ELc78ELc67ELc76ELb0ELb0EddPKdPdEviT_T9_T10_S3_lS5_S3_lS4_T11_S3_li.kd
    .uniform_work_group_size: 1
    .uses_dynamic_stack: false
    .vgpr_count:     44
    .vgpr_spill_count: 0
    .wavefront_size: 32
    .workgroup_processor_mode: 1
  - .args:
      - .offset:         0
        .size:           4
        .value_kind:     by_value
      - .offset:         4
        .size:           4
        .value_kind:     by_value
      - .offset:         8
        .size:           8
        .value_kind:     by_value
      - .address_space:  global
        .offset:         16
        .size:           8
        .value_kind:     global_buffer
      - .offset:         24
        .size:           4
        .value_kind:     by_value
      - .offset:         32
        .size:           8
        .value_kind:     by_value
      - .address_space:  global
        .offset:         40
        .size:           8
        .value_kind:     global_buffer
      - .offset:         48
        .size:           4
        .value_kind:     by_value
      - .offset:         56
        .size:           8
        .value_kind:     by_value
      - .offset:         64
        .size:           8
        .value_kind:     by_value
      - .address_space:  global
        .offset:         72
        .size:           8
        .value_kind:     global_buffer
      - .offset:         80
        .size:           4
        .value_kind:     by_value
      - .offset:         88
        .size:           8
        .value_kind:     by_value
      - .offset:         96
        .size:           4
        .value_kind:     by_value
    .group_segment_fixed_size: 4096
    .kernarg_segment_align: 8
    .kernarg_segment_size: 100
    .language:       OpenCL C
    .language_version:
      - 2
      - 0
    .max_flat_workgroup_size: 256
    .name:           _ZL29rocblas_internal_gemmt_kernelIiLi16ELi32ELi8ELc84ELc78ELc76ELb0ELb0EddPKdPdEviT_T9_T10_S3_lS5_S3_lS4_T11_S3_li
    .private_segment_fixed_size: 0
    .sgpr_count:     27
    .sgpr_spill_count: 0
    .symbol:         _ZL29rocblas_internal_gemmt_kernelIiLi16ELi32ELi8ELc84ELc78ELc76ELb0ELb0EddPKdPdEviT_T9_T10_S3_lS5_S3_lS4_T11_S3_li.kd
    .uniform_work_group_size: 1
    .uses_dynamic_stack: false
    .vgpr_count:     44
    .vgpr_spill_count: 0
    .wavefront_size: 32
    .workgroup_processor_mode: 1
  - .args:
      - .offset:         0
        .size:           4
        .value_kind:     by_value
      - .offset:         4
        .size:           4
        .value_kind:     by_value
      - .offset:         8
        .size:           8
        .value_kind:     by_value
      - .address_space:  global
        .offset:         16
        .size:           8
        .value_kind:     global_buffer
      - .offset:         24
        .size:           4
        .value_kind:     by_value
      - .offset:         32
        .size:           8
        .value_kind:     by_value
      - .address_space:  global
        .offset:         40
        .size:           8
        .value_kind:     global_buffer
      - .offset:         48
        .size:           4
        .value_kind:     by_value
      - .offset:         56
        .size:           8
        .value_kind:     by_value
      - .offset:         64
        .size:           8
        .value_kind:     by_value
      - .address_space:  global
        .offset:         72
        .size:           8
        .value_kind:     global_buffer
      - .offset:         80
        .size:           4
        .value_kind:     by_value
      - .offset:         88
        .size:           8
        .value_kind:     by_value
      - .offset:         96
        .size:           4
        .value_kind:     by_value
    .group_segment_fixed_size: 4096
    .kernarg_segment_align: 8
    .kernarg_segment_size: 100
    .language:       OpenCL C
    .language_version:
      - 2
      - 0
    .max_flat_workgroup_size: 256
    .name:           _ZL29rocblas_internal_gemmt_kernelIiLi16ELi32ELi8ELc84ELc84ELc76ELb0ELb0EddPKdPdEviT_T9_T10_S3_lS5_S3_lS4_T11_S3_li
    .private_segment_fixed_size: 0
    .sgpr_count:     28
    .sgpr_spill_count: 0
    .symbol:         _ZL29rocblas_internal_gemmt_kernelIiLi16ELi32ELi8ELc84ELc84ELc76ELb0ELb0EddPKdPdEviT_T9_T10_S3_lS5_S3_lS4_T11_S3_li.kd
    .uniform_work_group_size: 1
    .uses_dynamic_stack: false
    .vgpr_count:     44
    .vgpr_spill_count: 0
    .wavefront_size: 32
    .workgroup_processor_mode: 1
  - .args:
      - .offset:         0
        .size:           4
        .value_kind:     by_value
      - .offset:         4
        .size:           4
        .value_kind:     by_value
      - .offset:         8
        .size:           8
        .value_kind:     by_value
      - .address_space:  global
        .offset:         16
        .size:           8
        .value_kind:     global_buffer
      - .offset:         24
        .size:           4
        .value_kind:     by_value
      - .offset:         32
        .size:           8
        .value_kind:     by_value
      - .address_space:  global
        .offset:         40
        .size:           8
        .value_kind:     global_buffer
      - .offset:         48
        .size:           4
        .value_kind:     by_value
      - .offset:         56
        .size:           8
        .value_kind:     by_value
      - .offset:         64
        .size:           8
        .value_kind:     by_value
      - .address_space:  global
        .offset:         72
        .size:           8
        .value_kind:     global_buffer
      - .offset:         80
        .size:           4
        .value_kind:     by_value
      - .offset:         88
        .size:           8
        .value_kind:     by_value
      - .offset:         96
        .size:           4
        .value_kind:     by_value
    .group_segment_fixed_size: 4096
    .kernarg_segment_align: 8
    .kernarg_segment_size: 100
    .language:       OpenCL C
    .language_version:
      - 2
      - 0
    .max_flat_workgroup_size: 256
    .name:           _ZL29rocblas_internal_gemmt_kernelIiLi16ELi32ELi8ELc84ELc67ELc76ELb0ELb0EddPKdPdEviT_T9_T10_S3_lS5_S3_lS4_T11_S3_li
    .private_segment_fixed_size: 0
    .sgpr_count:     28
    .sgpr_spill_count: 0
    .symbol:         _ZL29rocblas_internal_gemmt_kernelIiLi16ELi32ELi8ELc84ELc67ELc76ELb0ELb0EddPKdPdEviT_T9_T10_S3_lS5_S3_lS4_T11_S3_li.kd
    .uniform_work_group_size: 1
    .uses_dynamic_stack: false
    .vgpr_count:     44
    .vgpr_spill_count: 0
    .wavefront_size: 32
    .workgroup_processor_mode: 1
  - .args:
      - .offset:         0
        .size:           4
        .value_kind:     by_value
      - .offset:         4
        .size:           4
        .value_kind:     by_value
      - .offset:         8
        .size:           8
        .value_kind:     by_value
      - .address_space:  global
        .offset:         16
        .size:           8
        .value_kind:     global_buffer
      - .offset:         24
        .size:           4
        .value_kind:     by_value
      - .offset:         32
        .size:           8
        .value_kind:     by_value
      - .address_space:  global
        .offset:         40
        .size:           8
        .value_kind:     global_buffer
      - .offset:         48
        .size:           4
        .value_kind:     by_value
      - .offset:         56
        .size:           8
        .value_kind:     by_value
      - .offset:         64
        .size:           8
        .value_kind:     by_value
      - .address_space:  global
        .offset:         72
        .size:           8
        .value_kind:     global_buffer
      - .offset:         80
        .size:           4
        .value_kind:     by_value
      - .offset:         88
        .size:           8
        .value_kind:     by_value
      - .offset:         96
        .size:           4
        .value_kind:     by_value
    .group_segment_fixed_size: 4096
    .kernarg_segment_align: 8
    .kernarg_segment_size: 100
    .language:       OpenCL C
    .language_version:
      - 2
      - 0
    .max_flat_workgroup_size: 256
    .name:           _ZL29rocblas_internal_gemmt_kernelIiLi16ELi32ELi8ELc67ELc78ELc76ELb0ELb0EddPKdPdEviT_T9_T10_S3_lS5_S3_lS4_T11_S3_li
    .private_segment_fixed_size: 0
    .sgpr_count:     27
    .sgpr_spill_count: 0
    .symbol:         _ZL29rocblas_internal_gemmt_kernelIiLi16ELi32ELi8ELc67ELc78ELc76ELb0ELb0EddPKdPdEviT_T9_T10_S3_lS5_S3_lS4_T11_S3_li.kd
    .uniform_work_group_size: 1
    .uses_dynamic_stack: false
    .vgpr_count:     44
    .vgpr_spill_count: 0
    .wavefront_size: 32
    .workgroup_processor_mode: 1
  - .args:
      - .offset:         0
        .size:           4
        .value_kind:     by_value
      - .offset:         4
        .size:           4
        .value_kind:     by_value
      - .offset:         8
        .size:           8
        .value_kind:     by_value
      - .address_space:  global
        .offset:         16
        .size:           8
        .value_kind:     global_buffer
      - .offset:         24
        .size:           4
        .value_kind:     by_value
      - .offset:         32
        .size:           8
        .value_kind:     by_value
      - .address_space:  global
        .offset:         40
        .size:           8
        .value_kind:     global_buffer
      - .offset:         48
        .size:           4
        .value_kind:     by_value
      - .offset:         56
        .size:           8
        .value_kind:     by_value
      - .offset:         64
        .size:           8
        .value_kind:     by_value
      - .address_space:  global
        .offset:         72
        .size:           8
        .value_kind:     global_buffer
      - .offset:         80
        .size:           4
        .value_kind:     by_value
      - .offset:         88
        .size:           8
        .value_kind:     by_value
      - .offset:         96
        .size:           4
        .value_kind:     by_value
    .group_segment_fixed_size: 4096
    .kernarg_segment_align: 8
    .kernarg_segment_size: 100
    .language:       OpenCL C
    .language_version:
      - 2
      - 0
    .max_flat_workgroup_size: 256
    .name:           _ZL29rocblas_internal_gemmt_kernelIiLi16ELi32ELi8ELc67ELc84ELc76ELb0ELb0EddPKdPdEviT_T9_T10_S3_lS5_S3_lS4_T11_S3_li
    .private_segment_fixed_size: 0
    .sgpr_count:     28
    .sgpr_spill_count: 0
    .symbol:         _ZL29rocblas_internal_gemmt_kernelIiLi16ELi32ELi8ELc67ELc84ELc76ELb0ELb0EddPKdPdEviT_T9_T10_S3_lS5_S3_lS4_T11_S3_li.kd
    .uniform_work_group_size: 1
    .uses_dynamic_stack: false
    .vgpr_count:     44
    .vgpr_spill_count: 0
    .wavefront_size: 32
    .workgroup_processor_mode: 1
  - .args:
      - .offset:         0
        .size:           4
        .value_kind:     by_value
      - .offset:         4
        .size:           4
        .value_kind:     by_value
      - .offset:         8
        .size:           8
        .value_kind:     by_value
      - .address_space:  global
        .offset:         16
        .size:           8
        .value_kind:     global_buffer
      - .offset:         24
        .size:           4
        .value_kind:     by_value
      - .offset:         32
        .size:           8
        .value_kind:     by_value
      - .address_space:  global
        .offset:         40
        .size:           8
        .value_kind:     global_buffer
      - .offset:         48
        .size:           4
        .value_kind:     by_value
      - .offset:         56
        .size:           8
        .value_kind:     by_value
      - .offset:         64
        .size:           8
        .value_kind:     by_value
      - .address_space:  global
        .offset:         72
        .size:           8
        .value_kind:     global_buffer
      - .offset:         80
        .size:           4
        .value_kind:     by_value
      - .offset:         88
        .size:           8
        .value_kind:     by_value
      - .offset:         96
        .size:           4
        .value_kind:     by_value
    .group_segment_fixed_size: 4096
    .kernarg_segment_align: 8
    .kernarg_segment_size: 100
    .language:       OpenCL C
    .language_version:
      - 2
      - 0
    .max_flat_workgroup_size: 256
    .name:           _ZL29rocblas_internal_gemmt_kernelIiLi16ELi32ELi8ELc67ELc67ELc76ELb0ELb0EddPKdPdEviT_T9_T10_S3_lS5_S3_lS4_T11_S3_li
    .private_segment_fixed_size: 0
    .sgpr_count:     28
    .sgpr_spill_count: 0
    .symbol:         _ZL29rocblas_internal_gemmt_kernelIiLi16ELi32ELi8ELc67ELc67ELc76ELb0ELb0EddPKdPdEviT_T9_T10_S3_lS5_S3_lS4_T11_S3_li.kd
    .uniform_work_group_size: 1
    .uses_dynamic_stack: false
    .vgpr_count:     44
    .vgpr_spill_count: 0
    .wavefront_size: 32
    .workgroup_processor_mode: 1
  - .args:
      - .offset:         0
        .size:           4
        .value_kind:     by_value
      - .offset:         4
        .size:           4
        .value_kind:     by_value
      - .address_space:  global
        .offset:         8
        .size:           8
        .value_kind:     global_buffer
      - .address_space:  global
        .offset:         16
        .size:           8
        .value_kind:     global_buffer
      - .offset:         24
        .size:           4
        .value_kind:     by_value
      - .offset:         32
        .size:           8
        .value_kind:     by_value
      - .address_space:  global
        .offset:         40
        .size:           8
        .value_kind:     global_buffer
      - .offset:         48
        .size:           4
        .value_kind:     by_value
      - .offset:         56
        .size:           8
        .value_kind:     by_value
      - .address_space:  global
        .offset:         64
        .size:           8
        .value_kind:     global_buffer
      - .address_space:  global
        .offset:         72
        .size:           8
        .value_kind:     global_buffer
      - .offset:         80
        .size:           4
        .value_kind:     by_value
      - .offset:         88
        .size:           8
        .value_kind:     by_value
      - .offset:         96
        .size:           4
        .value_kind:     by_value
    .group_segment_fixed_size: 4096
    .kernarg_segment_align: 8
    .kernarg_segment_size: 100
    .language:       OpenCL C
    .language_version:
      - 2
      - 0
    .max_flat_workgroup_size: 256
    .name:           _ZL29rocblas_internal_gemmt_kernelIiLi16ELi32ELi8ELc78ELc78ELc85ELb0ELb0E19rocblas_complex_numIfEPKS1_S3_PS1_EviT_T9_T10_S5_lS7_S5_lS6_T11_S5_li
    .private_segment_fixed_size: 0
    .sgpr_count:     30
    .sgpr_spill_count: 0
    .symbol:         _ZL29rocblas_internal_gemmt_kernelIiLi16ELi32ELi8ELc78ELc78ELc85ELb0ELb0E19rocblas_complex_numIfEPKS1_S3_PS1_EviT_T9_T10_S5_lS7_S5_lS6_T11_S5_li.kd
    .uniform_work_group_size: 1
    .uses_dynamic_stack: false
    .vgpr_count:     59
    .vgpr_spill_count: 0
    .wavefront_size: 32
    .workgroup_processor_mode: 1
  - .args:
      - .offset:         0
        .size:           4
        .value_kind:     by_value
      - .offset:         4
        .size:           4
        .value_kind:     by_value
      - .address_space:  global
        .offset:         8
        .size:           8
        .value_kind:     global_buffer
      - .address_space:  global
        .offset:         16
        .size:           8
        .value_kind:     global_buffer
      - .offset:         24
        .size:           4
        .value_kind:     by_value
      - .offset:         32
        .size:           8
        .value_kind:     by_value
      - .address_space:  global
        .offset:         40
        .size:           8
        .value_kind:     global_buffer
      - .offset:         48
        .size:           4
        .value_kind:     by_value
      - .offset:         56
        .size:           8
        .value_kind:     by_value
      - .address_space:  global
        .offset:         64
        .size:           8
        .value_kind:     global_buffer
      - .address_space:  global
        .offset:         72
        .size:           8
        .value_kind:     global_buffer
      - .offset:         80
        .size:           4
        .value_kind:     by_value
      - .offset:         88
        .size:           8
        .value_kind:     by_value
      - .offset:         96
        .size:           4
        .value_kind:     by_value
    .group_segment_fixed_size: 4096
    .kernarg_segment_align: 8
    .kernarg_segment_size: 100
    .language:       OpenCL C
    .language_version:
      - 2
      - 0
    .max_flat_workgroup_size: 256
    .name:           _ZL29rocblas_internal_gemmt_kernelIiLi16ELi32ELi8ELc78ELc84ELc85ELb0ELb0E19rocblas_complex_numIfEPKS1_S3_PS1_EviT_T9_T10_S5_lS7_S5_lS6_T11_S5_li
    .private_segment_fixed_size: 0
    .sgpr_count:     32
    .sgpr_spill_count: 0
    .symbol:         _ZL29rocblas_internal_gemmt_kernelIiLi16ELi32ELi8ELc78ELc84ELc85ELb0ELb0E19rocblas_complex_numIfEPKS1_S3_PS1_EviT_T9_T10_S5_lS7_S5_lS6_T11_S5_li.kd
    .uniform_work_group_size: 1
    .uses_dynamic_stack: false
    .vgpr_count:     59
    .vgpr_spill_count: 0
    .wavefront_size: 32
    .workgroup_processor_mode: 1
  - .args:
      - .offset:         0
        .size:           4
        .value_kind:     by_value
      - .offset:         4
        .size:           4
        .value_kind:     by_value
      - .address_space:  global
        .offset:         8
        .size:           8
        .value_kind:     global_buffer
      - .address_space:  global
        .offset:         16
        .size:           8
        .value_kind:     global_buffer
      - .offset:         24
        .size:           4
        .value_kind:     by_value
      - .offset:         32
        .size:           8
        .value_kind:     by_value
      - .address_space:  global
        .offset:         40
        .size:           8
        .value_kind:     global_buffer
      - .offset:         48
        .size:           4
        .value_kind:     by_value
      - .offset:         56
        .size:           8
        .value_kind:     by_value
      - .address_space:  global
        .offset:         64
        .size:           8
        .value_kind:     global_buffer
      - .address_space:  global
        .offset:         72
        .size:           8
        .value_kind:     global_buffer
      - .offset:         80
        .size:           4
        .value_kind:     by_value
      - .offset:         88
        .size:           8
        .value_kind:     by_value
      - .offset:         96
        .size:           4
        .value_kind:     by_value
    .group_segment_fixed_size: 4096
    .kernarg_segment_align: 8
    .kernarg_segment_size: 100
    .language:       OpenCL C
    .language_version:
      - 2
      - 0
    .max_flat_workgroup_size: 256
    .name:           _ZL29rocblas_internal_gemmt_kernelIiLi16ELi32ELi8ELc78ELc67ELc85ELb0ELb1E19rocblas_complex_numIfEPKS1_S3_PS1_EviT_T9_T10_S5_lS7_S5_lS6_T11_S5_li
    .private_segment_fixed_size: 0
    .sgpr_count:     31
    .sgpr_spill_count: 0
    .symbol:         _ZL29rocblas_internal_gemmt_kernelIiLi16ELi32ELi8ELc78ELc67ELc85ELb0ELb1E19rocblas_complex_numIfEPKS1_S3_PS1_EviT_T9_T10_S5_lS7_S5_lS6_T11_S5_li.kd
    .uniform_work_group_size: 1
    .uses_dynamic_stack: false
    .vgpr_count:     59
    .vgpr_spill_count: 0
    .wavefront_size: 32
    .workgroup_processor_mode: 1
  - .args:
      - .offset:         0
        .size:           4
        .value_kind:     by_value
      - .offset:         4
        .size:           4
        .value_kind:     by_value
      - .address_space:  global
        .offset:         8
        .size:           8
        .value_kind:     global_buffer
      - .address_space:  global
        .offset:         16
        .size:           8
        .value_kind:     global_buffer
      - .offset:         24
        .size:           4
        .value_kind:     by_value
      - .offset:         32
        .size:           8
        .value_kind:     by_value
      - .address_space:  global
        .offset:         40
        .size:           8
        .value_kind:     global_buffer
      - .offset:         48
        .size:           4
        .value_kind:     by_value
      - .offset:         56
        .size:           8
        .value_kind:     by_value
      - .address_space:  global
        .offset:         64
        .size:           8
        .value_kind:     global_buffer
      - .address_space:  global
        .offset:         72
        .size:           8
        .value_kind:     global_buffer
      - .offset:         80
        .size:           4
        .value_kind:     by_value
      - .offset:         88
        .size:           8
        .value_kind:     by_value
      - .offset:         96
        .size:           4
        .value_kind:     by_value
    .group_segment_fixed_size: 4096
    .kernarg_segment_align: 8
    .kernarg_segment_size: 100
    .language:       OpenCL C
    .language_version:
      - 2
      - 0
    .max_flat_workgroup_size: 256
    .name:           _ZL29rocblas_internal_gemmt_kernelIiLi16ELi32ELi8ELc84ELc78ELc85ELb0ELb0E19rocblas_complex_numIfEPKS1_S3_PS1_EviT_T9_T10_S5_lS7_S5_lS6_T11_S5_li
    .private_segment_fixed_size: 0
    .sgpr_count:     28
    .sgpr_spill_count: 0
    .symbol:         _ZL29rocblas_internal_gemmt_kernelIiLi16ELi32ELi8ELc84ELc78ELc85ELb0ELb0E19rocblas_complex_numIfEPKS1_S3_PS1_EviT_T9_T10_S5_lS7_S5_lS6_T11_S5_li.kd
    .uniform_work_group_size: 1
    .uses_dynamic_stack: false
    .vgpr_count:     59
    .vgpr_spill_count: 0
    .wavefront_size: 32
    .workgroup_processor_mode: 1
  - .args:
      - .offset:         0
        .size:           4
        .value_kind:     by_value
      - .offset:         4
        .size:           4
        .value_kind:     by_value
      - .address_space:  global
        .offset:         8
        .size:           8
        .value_kind:     global_buffer
      - .address_space:  global
        .offset:         16
        .size:           8
        .value_kind:     global_buffer
      - .offset:         24
        .size:           4
        .value_kind:     by_value
      - .offset:         32
        .size:           8
        .value_kind:     by_value
      - .address_space:  global
        .offset:         40
        .size:           8
        .value_kind:     global_buffer
      - .offset:         48
        .size:           4
        .value_kind:     by_value
      - .offset:         56
        .size:           8
        .value_kind:     by_value
      - .address_space:  global
        .offset:         64
        .size:           8
        .value_kind:     global_buffer
      - .address_space:  global
        .offset:         72
        .size:           8
        .value_kind:     global_buffer
      - .offset:         80
        .size:           4
        .value_kind:     by_value
      - .offset:         88
        .size:           8
        .value_kind:     by_value
      - .offset:         96
        .size:           4
        .value_kind:     by_value
    .group_segment_fixed_size: 4096
    .kernarg_segment_align: 8
    .kernarg_segment_size: 100
    .language:       OpenCL C
    .language_version:
      - 2
      - 0
    .max_flat_workgroup_size: 256
    .name:           _ZL29rocblas_internal_gemmt_kernelIiLi16ELi32ELi8ELc84ELc84ELc85ELb0ELb0E19rocblas_complex_numIfEPKS1_S3_PS1_EviT_T9_T10_S5_lS7_S5_lS6_T11_S5_li
    .private_segment_fixed_size: 0
    .sgpr_count:     29
    .sgpr_spill_count: 0
    .symbol:         _ZL29rocblas_internal_gemmt_kernelIiLi16ELi32ELi8ELc84ELc84ELc85ELb0ELb0E19rocblas_complex_numIfEPKS1_S3_PS1_EviT_T9_T10_S5_lS7_S5_lS6_T11_S5_li.kd
    .uniform_work_group_size: 1
    .uses_dynamic_stack: false
    .vgpr_count:     59
    .vgpr_spill_count: 0
    .wavefront_size: 32
    .workgroup_processor_mode: 1
  - .args:
      - .offset:         0
        .size:           4
        .value_kind:     by_value
      - .offset:         4
        .size:           4
        .value_kind:     by_value
      - .address_space:  global
        .offset:         8
        .size:           8
        .value_kind:     global_buffer
      - .address_space:  global
        .offset:         16
        .size:           8
        .value_kind:     global_buffer
      - .offset:         24
        .size:           4
        .value_kind:     by_value
      - .offset:         32
        .size:           8
        .value_kind:     by_value
      - .address_space:  global
        .offset:         40
        .size:           8
        .value_kind:     global_buffer
      - .offset:         48
        .size:           4
        .value_kind:     by_value
      - .offset:         56
        .size:           8
        .value_kind:     by_value
      - .address_space:  global
        .offset:         64
        .size:           8
        .value_kind:     global_buffer
      - .address_space:  global
        .offset:         72
        .size:           8
        .value_kind:     global_buffer
      - .offset:         80
        .size:           4
        .value_kind:     by_value
      - .offset:         88
        .size:           8
        .value_kind:     by_value
      - .offset:         96
        .size:           4
        .value_kind:     by_value
    .group_segment_fixed_size: 4096
    .kernarg_segment_align: 8
    .kernarg_segment_size: 100
    .language:       OpenCL C
    .language_version:
      - 2
      - 0
    .max_flat_workgroup_size: 256
    .name:           _ZL29rocblas_internal_gemmt_kernelIiLi16ELi32ELi8ELc84ELc67ELc85ELb0ELb1E19rocblas_complex_numIfEPKS1_S3_PS1_EviT_T9_T10_S5_lS7_S5_lS6_T11_S5_li
    .private_segment_fixed_size: 0
    .sgpr_count:     30
    .sgpr_spill_count: 0
    .symbol:         _ZL29rocblas_internal_gemmt_kernelIiLi16ELi32ELi8ELc84ELc67ELc85ELb0ELb1E19rocblas_complex_numIfEPKS1_S3_PS1_EviT_T9_T10_S5_lS7_S5_lS6_T11_S5_li.kd
    .uniform_work_group_size: 1
    .uses_dynamic_stack: false
    .vgpr_count:     59
    .vgpr_spill_count: 0
    .wavefront_size: 32
    .workgroup_processor_mode: 1
  - .args:
      - .offset:         0
        .size:           4
        .value_kind:     by_value
      - .offset:         4
        .size:           4
        .value_kind:     by_value
      - .address_space:  global
        .offset:         8
        .size:           8
        .value_kind:     global_buffer
      - .address_space:  global
        .offset:         16
        .size:           8
        .value_kind:     global_buffer
      - .offset:         24
        .size:           4
        .value_kind:     by_value
      - .offset:         32
        .size:           8
        .value_kind:     by_value
      - .address_space:  global
        .offset:         40
        .size:           8
        .value_kind:     global_buffer
      - .offset:         48
        .size:           4
        .value_kind:     by_value
      - .offset:         56
        .size:           8
        .value_kind:     by_value
      - .address_space:  global
        .offset:         64
        .size:           8
        .value_kind:     global_buffer
      - .address_space:  global
        .offset:         72
        .size:           8
        .value_kind:     global_buffer
      - .offset:         80
        .size:           4
        .value_kind:     by_value
      - .offset:         88
        .size:           8
        .value_kind:     by_value
      - .offset:         96
        .size:           4
        .value_kind:     by_value
    .group_segment_fixed_size: 4096
    .kernarg_segment_align: 8
    .kernarg_segment_size: 100
    .language:       OpenCL C
    .language_version:
      - 2
      - 0
    .max_flat_workgroup_size: 256
    .name:           _ZL29rocblas_internal_gemmt_kernelIiLi16ELi32ELi8ELc67ELc78ELc85ELb1ELb0E19rocblas_complex_numIfEPKS1_S3_PS1_EviT_T9_T10_S5_lS7_S5_lS6_T11_S5_li
    .private_segment_fixed_size: 0
    .sgpr_count:     28
    .sgpr_spill_count: 0
    .symbol:         _ZL29rocblas_internal_gemmt_kernelIiLi16ELi32ELi8ELc67ELc78ELc85ELb1ELb0E19rocblas_complex_numIfEPKS1_S3_PS1_EviT_T9_T10_S5_lS7_S5_lS6_T11_S5_li.kd
    .uniform_work_group_size: 1
    .uses_dynamic_stack: false
    .vgpr_count:     59
    .vgpr_spill_count: 0
    .wavefront_size: 32
    .workgroup_processor_mode: 1
  - .args:
      - .offset:         0
        .size:           4
        .value_kind:     by_value
      - .offset:         4
        .size:           4
        .value_kind:     by_value
      - .address_space:  global
        .offset:         8
        .size:           8
        .value_kind:     global_buffer
      - .address_space:  global
        .offset:         16
        .size:           8
        .value_kind:     global_buffer
      - .offset:         24
        .size:           4
        .value_kind:     by_value
      - .offset:         32
        .size:           8
        .value_kind:     by_value
      - .address_space:  global
        .offset:         40
        .size:           8
        .value_kind:     global_buffer
      - .offset:         48
        .size:           4
        .value_kind:     by_value
      - .offset:         56
        .size:           8
        .value_kind:     by_value
      - .address_space:  global
        .offset:         64
        .size:           8
        .value_kind:     global_buffer
      - .address_space:  global
        .offset:         72
        .size:           8
        .value_kind:     global_buffer
      - .offset:         80
        .size:           4
        .value_kind:     by_value
      - .offset:         88
        .size:           8
        .value_kind:     by_value
      - .offset:         96
        .size:           4
        .value_kind:     by_value
    .group_segment_fixed_size: 4096
    .kernarg_segment_align: 8
    .kernarg_segment_size: 100
    .language:       OpenCL C
    .language_version:
      - 2
      - 0
    .max_flat_workgroup_size: 256
    .name:           _ZL29rocblas_internal_gemmt_kernelIiLi16ELi32ELi8ELc67ELc84ELc85ELb1ELb0E19rocblas_complex_numIfEPKS1_S3_PS1_EviT_T9_T10_S5_lS7_S5_lS6_T11_S5_li
    .private_segment_fixed_size: 0
    .sgpr_count:     29
    .sgpr_spill_count: 0
    .symbol:         _ZL29rocblas_internal_gemmt_kernelIiLi16ELi32ELi8ELc67ELc84ELc85ELb1ELb0E19rocblas_complex_numIfEPKS1_S3_PS1_EviT_T9_T10_S5_lS7_S5_lS6_T11_S5_li.kd
    .uniform_work_group_size: 1
    .uses_dynamic_stack: false
    .vgpr_count:     59
    .vgpr_spill_count: 0
    .wavefront_size: 32
    .workgroup_processor_mode: 1
  - .args:
      - .offset:         0
        .size:           4
        .value_kind:     by_value
      - .offset:         4
        .size:           4
        .value_kind:     by_value
      - .address_space:  global
        .offset:         8
        .size:           8
        .value_kind:     global_buffer
      - .address_space:  global
        .offset:         16
        .size:           8
        .value_kind:     global_buffer
      - .offset:         24
        .size:           4
        .value_kind:     by_value
      - .offset:         32
        .size:           8
        .value_kind:     by_value
      - .address_space:  global
        .offset:         40
        .size:           8
        .value_kind:     global_buffer
      - .offset:         48
        .size:           4
        .value_kind:     by_value
      - .offset:         56
        .size:           8
        .value_kind:     by_value
      - .address_space:  global
        .offset:         64
        .size:           8
        .value_kind:     global_buffer
      - .address_space:  global
        .offset:         72
        .size:           8
        .value_kind:     global_buffer
      - .offset:         80
        .size:           4
        .value_kind:     by_value
      - .offset:         88
        .size:           8
        .value_kind:     by_value
      - .offset:         96
        .size:           4
        .value_kind:     by_value
    .group_segment_fixed_size: 4096
    .kernarg_segment_align: 8
    .kernarg_segment_size: 100
    .language:       OpenCL C
    .language_version:
      - 2
      - 0
    .max_flat_workgroup_size: 256
    .name:           _ZL29rocblas_internal_gemmt_kernelIiLi16ELi32ELi8ELc67ELc67ELc85ELb1ELb1E19rocblas_complex_numIfEPKS1_S3_PS1_EviT_T9_T10_S5_lS7_S5_lS6_T11_S5_li
    .private_segment_fixed_size: 0
    .sgpr_count:     30
    .sgpr_spill_count: 0
    .symbol:         _ZL29rocblas_internal_gemmt_kernelIiLi16ELi32ELi8ELc67ELc67ELc85ELb1ELb1E19rocblas_complex_numIfEPKS1_S3_PS1_EviT_T9_T10_S5_lS7_S5_lS6_T11_S5_li.kd
    .uniform_work_group_size: 1
    .uses_dynamic_stack: false
    .vgpr_count:     59
    .vgpr_spill_count: 0
    .wavefront_size: 32
    .workgroup_processor_mode: 1
  - .args:
      - .offset:         0
        .size:           4
        .value_kind:     by_value
      - .offset:         4
        .size:           4
        .value_kind:     by_value
      - .address_space:  global
        .offset:         8
        .size:           8
        .value_kind:     global_buffer
      - .address_space:  global
        .offset:         16
        .size:           8
        .value_kind:     global_buffer
      - .offset:         24
        .size:           4
        .value_kind:     by_value
      - .offset:         32
        .size:           8
        .value_kind:     by_value
      - .address_space:  global
        .offset:         40
        .size:           8
        .value_kind:     global_buffer
      - .offset:         48
        .size:           4
        .value_kind:     by_value
      - .offset:         56
        .size:           8
        .value_kind:     by_value
      - .address_space:  global
        .offset:         64
        .size:           8
        .value_kind:     global_buffer
      - .address_space:  global
        .offset:         72
        .size:           8
        .value_kind:     global_buffer
      - .offset:         80
        .size:           4
        .value_kind:     by_value
      - .offset:         88
        .size:           8
        .value_kind:     by_value
      - .offset:         96
        .size:           4
        .value_kind:     by_value
    .group_segment_fixed_size: 4096
    .kernarg_segment_align: 8
    .kernarg_segment_size: 100
    .language:       OpenCL C
    .language_version:
      - 2
      - 0
    .max_flat_workgroup_size: 256
    .name:           _ZL29rocblas_internal_gemmt_kernelIiLi16ELi32ELi8ELc78ELc78ELc76ELb0ELb0E19rocblas_complex_numIfEPKS1_S3_PS1_EviT_T9_T10_S5_lS7_S5_lS6_T11_S5_li
    .private_segment_fixed_size: 0
    .sgpr_count:     30
    .sgpr_spill_count: 0
    .symbol:         _ZL29rocblas_internal_gemmt_kernelIiLi16ELi32ELi8ELc78ELc78ELc76ELb0ELb0E19rocblas_complex_numIfEPKS1_S3_PS1_EviT_T9_T10_S5_lS7_S5_lS6_T11_S5_li.kd
    .uniform_work_group_size: 1
    .uses_dynamic_stack: false
    .vgpr_count:     59
    .vgpr_spill_count: 0
    .wavefront_size: 32
    .workgroup_processor_mode: 1
  - .args:
      - .offset:         0
        .size:           4
        .value_kind:     by_value
      - .offset:         4
        .size:           4
        .value_kind:     by_value
      - .address_space:  global
        .offset:         8
        .size:           8
        .value_kind:     global_buffer
      - .address_space:  global
        .offset:         16
        .size:           8
        .value_kind:     global_buffer
      - .offset:         24
        .size:           4
        .value_kind:     by_value
      - .offset:         32
        .size:           8
        .value_kind:     by_value
      - .address_space:  global
        .offset:         40
        .size:           8
        .value_kind:     global_buffer
      - .offset:         48
        .size:           4
        .value_kind:     by_value
      - .offset:         56
        .size:           8
        .value_kind:     by_value
      - .address_space:  global
        .offset:         64
        .size:           8
        .value_kind:     global_buffer
      - .address_space:  global
        .offset:         72
        .size:           8
        .value_kind:     global_buffer
      - .offset:         80
        .size:           4
        .value_kind:     by_value
      - .offset:         88
        .size:           8
        .value_kind:     by_value
      - .offset:         96
        .size:           4
        .value_kind:     by_value
    .group_segment_fixed_size: 4096
    .kernarg_segment_align: 8
    .kernarg_segment_size: 100
    .language:       OpenCL C
    .language_version:
      - 2
      - 0
    .max_flat_workgroup_size: 256
    .name:           _ZL29rocblas_internal_gemmt_kernelIiLi16ELi32ELi8ELc78ELc84ELc76ELb0ELb0E19rocblas_complex_numIfEPKS1_S3_PS1_EviT_T9_T10_S5_lS7_S5_lS6_T11_S5_li
    .private_segment_fixed_size: 0
    .sgpr_count:     32
    .sgpr_spill_count: 0
    .symbol:         _ZL29rocblas_internal_gemmt_kernelIiLi16ELi32ELi8ELc78ELc84ELc76ELb0ELb0E19rocblas_complex_numIfEPKS1_S3_PS1_EviT_T9_T10_S5_lS7_S5_lS6_T11_S5_li.kd
    .uniform_work_group_size: 1
    .uses_dynamic_stack: false
    .vgpr_count:     59
    .vgpr_spill_count: 0
    .wavefront_size: 32
    .workgroup_processor_mode: 1
  - .args:
      - .offset:         0
        .size:           4
        .value_kind:     by_value
      - .offset:         4
        .size:           4
        .value_kind:     by_value
      - .address_space:  global
        .offset:         8
        .size:           8
        .value_kind:     global_buffer
      - .address_space:  global
        .offset:         16
        .size:           8
        .value_kind:     global_buffer
      - .offset:         24
        .size:           4
        .value_kind:     by_value
      - .offset:         32
        .size:           8
        .value_kind:     by_value
      - .address_space:  global
        .offset:         40
        .size:           8
        .value_kind:     global_buffer
      - .offset:         48
        .size:           4
        .value_kind:     by_value
      - .offset:         56
        .size:           8
        .value_kind:     by_value
      - .address_space:  global
        .offset:         64
        .size:           8
        .value_kind:     global_buffer
      - .address_space:  global
        .offset:         72
        .size:           8
        .value_kind:     global_buffer
      - .offset:         80
        .size:           4
        .value_kind:     by_value
      - .offset:         88
        .size:           8
        .value_kind:     by_value
      - .offset:         96
        .size:           4
        .value_kind:     by_value
    .group_segment_fixed_size: 4096
    .kernarg_segment_align: 8
    .kernarg_segment_size: 100
    .language:       OpenCL C
    .language_version:
      - 2
      - 0
    .max_flat_workgroup_size: 256
    .name:           _ZL29rocblas_internal_gemmt_kernelIiLi16ELi32ELi8ELc78ELc67ELc76ELb0ELb1E19rocblas_complex_numIfEPKS1_S3_PS1_EviT_T9_T10_S5_lS7_S5_lS6_T11_S5_li
    .private_segment_fixed_size: 0
    .sgpr_count:     31
    .sgpr_spill_count: 0
    .symbol:         _ZL29rocblas_internal_gemmt_kernelIiLi16ELi32ELi8ELc78ELc67ELc76ELb0ELb1E19rocblas_complex_numIfEPKS1_S3_PS1_EviT_T9_T10_S5_lS7_S5_lS6_T11_S5_li.kd
    .uniform_work_group_size: 1
    .uses_dynamic_stack: false
    .vgpr_count:     59
    .vgpr_spill_count: 0
    .wavefront_size: 32
    .workgroup_processor_mode: 1
  - .args:
      - .offset:         0
        .size:           4
        .value_kind:     by_value
      - .offset:         4
        .size:           4
        .value_kind:     by_value
      - .address_space:  global
        .offset:         8
        .size:           8
        .value_kind:     global_buffer
      - .address_space:  global
        .offset:         16
        .size:           8
        .value_kind:     global_buffer
      - .offset:         24
        .size:           4
        .value_kind:     by_value
      - .offset:         32
        .size:           8
        .value_kind:     by_value
      - .address_space:  global
        .offset:         40
        .size:           8
        .value_kind:     global_buffer
      - .offset:         48
        .size:           4
        .value_kind:     by_value
      - .offset:         56
        .size:           8
        .value_kind:     by_value
      - .address_space:  global
        .offset:         64
        .size:           8
        .value_kind:     global_buffer
      - .address_space:  global
        .offset:         72
        .size:           8
        .value_kind:     global_buffer
      - .offset:         80
        .size:           4
        .value_kind:     by_value
      - .offset:         88
        .size:           8
        .value_kind:     by_value
      - .offset:         96
        .size:           4
        .value_kind:     by_value
    .group_segment_fixed_size: 4096
    .kernarg_segment_align: 8
    .kernarg_segment_size: 100
    .language:       OpenCL C
    .language_version:
      - 2
      - 0
    .max_flat_workgroup_size: 256
    .name:           _ZL29rocblas_internal_gemmt_kernelIiLi16ELi32ELi8ELc84ELc78ELc76ELb0ELb0E19rocblas_complex_numIfEPKS1_S3_PS1_EviT_T9_T10_S5_lS7_S5_lS6_T11_S5_li
    .private_segment_fixed_size: 0
    .sgpr_count:     28
    .sgpr_spill_count: 0
    .symbol:         _ZL29rocblas_internal_gemmt_kernelIiLi16ELi32ELi8ELc84ELc78ELc76ELb0ELb0E19rocblas_complex_numIfEPKS1_S3_PS1_EviT_T9_T10_S5_lS7_S5_lS6_T11_S5_li.kd
    .uniform_work_group_size: 1
    .uses_dynamic_stack: false
    .vgpr_count:     59
    .vgpr_spill_count: 0
    .wavefront_size: 32
    .workgroup_processor_mode: 1
  - .args:
      - .offset:         0
        .size:           4
        .value_kind:     by_value
      - .offset:         4
        .size:           4
        .value_kind:     by_value
      - .address_space:  global
        .offset:         8
        .size:           8
        .value_kind:     global_buffer
      - .address_space:  global
        .offset:         16
        .size:           8
        .value_kind:     global_buffer
      - .offset:         24
        .size:           4
        .value_kind:     by_value
      - .offset:         32
        .size:           8
        .value_kind:     by_value
      - .address_space:  global
        .offset:         40
        .size:           8
        .value_kind:     global_buffer
      - .offset:         48
        .size:           4
        .value_kind:     by_value
      - .offset:         56
        .size:           8
        .value_kind:     by_value
      - .address_space:  global
        .offset:         64
        .size:           8
        .value_kind:     global_buffer
      - .address_space:  global
        .offset:         72
        .size:           8
        .value_kind:     global_buffer
      - .offset:         80
        .size:           4
        .value_kind:     by_value
      - .offset:         88
        .size:           8
        .value_kind:     by_value
      - .offset:         96
        .size:           4
        .value_kind:     by_value
    .group_segment_fixed_size: 4096
    .kernarg_segment_align: 8
    .kernarg_segment_size: 100
    .language:       OpenCL C
    .language_version:
      - 2
      - 0
    .max_flat_workgroup_size: 256
    .name:           _ZL29rocblas_internal_gemmt_kernelIiLi16ELi32ELi8ELc84ELc84ELc76ELb0ELb0E19rocblas_complex_numIfEPKS1_S3_PS1_EviT_T9_T10_S5_lS7_S5_lS6_T11_S5_li
    .private_segment_fixed_size: 0
    .sgpr_count:     29
    .sgpr_spill_count: 0
    .symbol:         _ZL29rocblas_internal_gemmt_kernelIiLi16ELi32ELi8ELc84ELc84ELc76ELb0ELb0E19rocblas_complex_numIfEPKS1_S3_PS1_EviT_T9_T10_S5_lS7_S5_lS6_T11_S5_li.kd
    .uniform_work_group_size: 1
    .uses_dynamic_stack: false
    .vgpr_count:     59
    .vgpr_spill_count: 0
    .wavefront_size: 32
    .workgroup_processor_mode: 1
  - .args:
      - .offset:         0
        .size:           4
        .value_kind:     by_value
      - .offset:         4
        .size:           4
        .value_kind:     by_value
      - .address_space:  global
        .offset:         8
        .size:           8
        .value_kind:     global_buffer
      - .address_space:  global
        .offset:         16
        .size:           8
        .value_kind:     global_buffer
      - .offset:         24
        .size:           4
        .value_kind:     by_value
      - .offset:         32
        .size:           8
        .value_kind:     by_value
      - .address_space:  global
        .offset:         40
        .size:           8
        .value_kind:     global_buffer
      - .offset:         48
        .size:           4
        .value_kind:     by_value
      - .offset:         56
        .size:           8
        .value_kind:     by_value
      - .address_space:  global
        .offset:         64
        .size:           8
        .value_kind:     global_buffer
      - .address_space:  global
        .offset:         72
        .size:           8
        .value_kind:     global_buffer
      - .offset:         80
        .size:           4
        .value_kind:     by_value
      - .offset:         88
        .size:           8
        .value_kind:     by_value
      - .offset:         96
        .size:           4
        .value_kind:     by_value
    .group_segment_fixed_size: 4096
    .kernarg_segment_align: 8
    .kernarg_segment_size: 100
    .language:       OpenCL C
    .language_version:
      - 2
      - 0
    .max_flat_workgroup_size: 256
    .name:           _ZL29rocblas_internal_gemmt_kernelIiLi16ELi32ELi8ELc84ELc67ELc76ELb0ELb1E19rocblas_complex_numIfEPKS1_S3_PS1_EviT_T9_T10_S5_lS7_S5_lS6_T11_S5_li
    .private_segment_fixed_size: 0
    .sgpr_count:     30
    .sgpr_spill_count: 0
    .symbol:         _ZL29rocblas_internal_gemmt_kernelIiLi16ELi32ELi8ELc84ELc67ELc76ELb0ELb1E19rocblas_complex_numIfEPKS1_S3_PS1_EviT_T9_T10_S5_lS7_S5_lS6_T11_S5_li.kd
    .uniform_work_group_size: 1
    .uses_dynamic_stack: false
    .vgpr_count:     59
    .vgpr_spill_count: 0
    .wavefront_size: 32
    .workgroup_processor_mode: 1
  - .args:
      - .offset:         0
        .size:           4
        .value_kind:     by_value
      - .offset:         4
        .size:           4
        .value_kind:     by_value
      - .address_space:  global
        .offset:         8
        .size:           8
        .value_kind:     global_buffer
      - .address_space:  global
        .offset:         16
        .size:           8
        .value_kind:     global_buffer
      - .offset:         24
        .size:           4
        .value_kind:     by_value
      - .offset:         32
        .size:           8
        .value_kind:     by_value
      - .address_space:  global
        .offset:         40
        .size:           8
        .value_kind:     global_buffer
      - .offset:         48
        .size:           4
        .value_kind:     by_value
      - .offset:         56
        .size:           8
        .value_kind:     by_value
      - .address_space:  global
        .offset:         64
        .size:           8
        .value_kind:     global_buffer
      - .address_space:  global
        .offset:         72
        .size:           8
        .value_kind:     global_buffer
      - .offset:         80
        .size:           4
        .value_kind:     by_value
      - .offset:         88
        .size:           8
        .value_kind:     by_value
      - .offset:         96
        .size:           4
        .value_kind:     by_value
    .group_segment_fixed_size: 4096
    .kernarg_segment_align: 8
    .kernarg_segment_size: 100
    .language:       OpenCL C
    .language_version:
      - 2
      - 0
    .max_flat_workgroup_size: 256
    .name:           _ZL29rocblas_internal_gemmt_kernelIiLi16ELi32ELi8ELc67ELc78ELc76ELb1ELb0E19rocblas_complex_numIfEPKS1_S3_PS1_EviT_T9_T10_S5_lS7_S5_lS6_T11_S5_li
    .private_segment_fixed_size: 0
    .sgpr_count:     28
    .sgpr_spill_count: 0
    .symbol:         _ZL29rocblas_internal_gemmt_kernelIiLi16ELi32ELi8ELc67ELc78ELc76ELb1ELb0E19rocblas_complex_numIfEPKS1_S3_PS1_EviT_T9_T10_S5_lS7_S5_lS6_T11_S5_li.kd
    .uniform_work_group_size: 1
    .uses_dynamic_stack: false
    .vgpr_count:     59
    .vgpr_spill_count: 0
    .wavefront_size: 32
    .workgroup_processor_mode: 1
  - .args:
      - .offset:         0
        .size:           4
        .value_kind:     by_value
      - .offset:         4
        .size:           4
        .value_kind:     by_value
      - .address_space:  global
        .offset:         8
        .size:           8
        .value_kind:     global_buffer
      - .address_space:  global
        .offset:         16
        .size:           8
        .value_kind:     global_buffer
      - .offset:         24
        .size:           4
        .value_kind:     by_value
      - .offset:         32
        .size:           8
        .value_kind:     by_value
      - .address_space:  global
        .offset:         40
        .size:           8
        .value_kind:     global_buffer
      - .offset:         48
        .size:           4
        .value_kind:     by_value
      - .offset:         56
        .size:           8
        .value_kind:     by_value
      - .address_space:  global
        .offset:         64
        .size:           8
        .value_kind:     global_buffer
      - .address_space:  global
        .offset:         72
        .size:           8
        .value_kind:     global_buffer
      - .offset:         80
        .size:           4
        .value_kind:     by_value
      - .offset:         88
        .size:           8
        .value_kind:     by_value
      - .offset:         96
        .size:           4
        .value_kind:     by_value
    .group_segment_fixed_size: 4096
    .kernarg_segment_align: 8
    .kernarg_segment_size: 100
    .language:       OpenCL C
    .language_version:
      - 2
      - 0
    .max_flat_workgroup_size: 256
    .name:           _ZL29rocblas_internal_gemmt_kernelIiLi16ELi32ELi8ELc67ELc84ELc76ELb1ELb0E19rocblas_complex_numIfEPKS1_S3_PS1_EviT_T9_T10_S5_lS7_S5_lS6_T11_S5_li
    .private_segment_fixed_size: 0
    .sgpr_count:     29
    .sgpr_spill_count: 0
    .symbol:         _ZL29rocblas_internal_gemmt_kernelIiLi16ELi32ELi8ELc67ELc84ELc76ELb1ELb0E19rocblas_complex_numIfEPKS1_S3_PS1_EviT_T9_T10_S5_lS7_S5_lS6_T11_S5_li.kd
    .uniform_work_group_size: 1
    .uses_dynamic_stack: false
    .vgpr_count:     59
    .vgpr_spill_count: 0
    .wavefront_size: 32
    .workgroup_processor_mode: 1
  - .args:
      - .offset:         0
        .size:           4
        .value_kind:     by_value
      - .offset:         4
        .size:           4
        .value_kind:     by_value
      - .address_space:  global
        .offset:         8
        .size:           8
        .value_kind:     global_buffer
      - .address_space:  global
        .offset:         16
        .size:           8
        .value_kind:     global_buffer
      - .offset:         24
        .size:           4
        .value_kind:     by_value
      - .offset:         32
        .size:           8
        .value_kind:     by_value
      - .address_space:  global
        .offset:         40
        .size:           8
        .value_kind:     global_buffer
      - .offset:         48
        .size:           4
        .value_kind:     by_value
      - .offset:         56
        .size:           8
        .value_kind:     by_value
      - .address_space:  global
        .offset:         64
        .size:           8
        .value_kind:     global_buffer
      - .address_space:  global
        .offset:         72
        .size:           8
        .value_kind:     global_buffer
      - .offset:         80
        .size:           4
        .value_kind:     by_value
      - .offset:         88
        .size:           8
        .value_kind:     by_value
      - .offset:         96
        .size:           4
        .value_kind:     by_value
    .group_segment_fixed_size: 4096
    .kernarg_segment_align: 8
    .kernarg_segment_size: 100
    .language:       OpenCL C
    .language_version:
      - 2
      - 0
    .max_flat_workgroup_size: 256
    .name:           _ZL29rocblas_internal_gemmt_kernelIiLi16ELi32ELi8ELc67ELc67ELc76ELb1ELb1E19rocblas_complex_numIfEPKS1_S3_PS1_EviT_T9_T10_S5_lS7_S5_lS6_T11_S5_li
    .private_segment_fixed_size: 0
    .sgpr_count:     30
    .sgpr_spill_count: 0
    .symbol:         _ZL29rocblas_internal_gemmt_kernelIiLi16ELi32ELi8ELc67ELc67ELc76ELb1ELb1E19rocblas_complex_numIfEPKS1_S3_PS1_EviT_T9_T10_S5_lS7_S5_lS6_T11_S5_li.kd
    .uniform_work_group_size: 1
    .uses_dynamic_stack: false
    .vgpr_count:     59
    .vgpr_spill_count: 0
    .wavefront_size: 32
    .workgroup_processor_mode: 1
  - .args:
      - .offset:         0
        .size:           4
        .value_kind:     by_value
      - .offset:         4
        .size:           4
        .value_kind:     by_value
      - .offset:         8
        .size:           8
        .value_kind:     by_value
      - .address_space:  global
        .offset:         16
        .size:           8
        .value_kind:     global_buffer
      - .offset:         24
        .size:           4
        .value_kind:     by_value
      - .offset:         32
        .size:           8
        .value_kind:     by_value
      - .address_space:  global
        .offset:         40
        .size:           8
        .value_kind:     global_buffer
      - .offset:         48
        .size:           4
        .value_kind:     by_value
      - .offset:         56
        .size:           8
        .value_kind:     by_value
      - .offset:         64
        .size:           8
        .value_kind:     by_value
      - .address_space:  global
        .offset:         72
        .size:           8
        .value_kind:     global_buffer
      - .offset:         80
        .size:           4
        .value_kind:     by_value
      - .offset:         88
        .size:           8
        .value_kind:     by_value
      - .offset:         96
        .size:           4
        .value_kind:     by_value
    .group_segment_fixed_size: 4096
    .kernarg_segment_align: 8
    .kernarg_segment_size: 100
    .language:       OpenCL C
    .language_version:
      - 2
      - 0
    .max_flat_workgroup_size: 256
    .name:           _ZL29rocblas_internal_gemmt_kernelIiLi16ELi32ELi8ELc78ELc78ELc85ELb0ELb0E19rocblas_complex_numIfES1_PKS1_PS1_EviT_T9_T10_S5_lS7_S5_lS6_T11_S5_li
    .private_segment_fixed_size: 0
    .sgpr_count:     28
    .sgpr_spill_count: 0
    .symbol:         _ZL29rocblas_internal_gemmt_kernelIiLi16ELi32ELi8ELc78ELc78ELc85ELb0ELb0E19rocblas_complex_numIfES1_PKS1_PS1_EviT_T9_T10_S5_lS7_S5_lS6_T11_S5_li.kd
    .uniform_work_group_size: 1
    .uses_dynamic_stack: false
    .vgpr_count:     59
    .vgpr_spill_count: 0
    .wavefront_size: 32
    .workgroup_processor_mode: 1
  - .args:
      - .offset:         0
        .size:           4
        .value_kind:     by_value
      - .offset:         4
        .size:           4
        .value_kind:     by_value
      - .offset:         8
        .size:           8
        .value_kind:     by_value
      - .address_space:  global
        .offset:         16
        .size:           8
        .value_kind:     global_buffer
      - .offset:         24
        .size:           4
        .value_kind:     by_value
      - .offset:         32
        .size:           8
        .value_kind:     by_value
      - .address_space:  global
        .offset:         40
        .size:           8
        .value_kind:     global_buffer
      - .offset:         48
        .size:           4
        .value_kind:     by_value
      - .offset:         56
        .size:           8
        .value_kind:     by_value
      - .offset:         64
        .size:           8
        .value_kind:     by_value
      - .address_space:  global
        .offset:         72
        .size:           8
        .value_kind:     global_buffer
      - .offset:         80
        .size:           4
        .value_kind:     by_value
      - .offset:         88
        .size:           8
        .value_kind:     by_value
      - .offset:         96
        .size:           4
        .value_kind:     by_value
    .group_segment_fixed_size: 4096
    .kernarg_segment_align: 8
    .kernarg_segment_size: 100
    .language:       OpenCL C
    .language_version:
      - 2
      - 0
    .max_flat_workgroup_size: 256
    .name:           _ZL29rocblas_internal_gemmt_kernelIiLi16ELi32ELi8ELc78ELc84ELc85ELb0ELb0E19rocblas_complex_numIfES1_PKS1_PS1_EviT_T9_T10_S5_lS7_S5_lS6_T11_S5_li
    .private_segment_fixed_size: 0
    .sgpr_count:     30
    .sgpr_spill_count: 0
    .symbol:         _ZL29rocblas_internal_gemmt_kernelIiLi16ELi32ELi8ELc78ELc84ELc85ELb0ELb0E19rocblas_complex_numIfES1_PKS1_PS1_EviT_T9_T10_S5_lS7_S5_lS6_T11_S5_li.kd
    .uniform_work_group_size: 1
    .uses_dynamic_stack: false
    .vgpr_count:     59
    .vgpr_spill_count: 0
    .wavefront_size: 32
    .workgroup_processor_mode: 1
  - .args:
      - .offset:         0
        .size:           4
        .value_kind:     by_value
      - .offset:         4
        .size:           4
        .value_kind:     by_value
      - .offset:         8
        .size:           8
        .value_kind:     by_value
      - .address_space:  global
        .offset:         16
        .size:           8
        .value_kind:     global_buffer
      - .offset:         24
        .size:           4
        .value_kind:     by_value
      - .offset:         32
        .size:           8
        .value_kind:     by_value
      - .address_space:  global
        .offset:         40
        .size:           8
        .value_kind:     global_buffer
      - .offset:         48
        .size:           4
        .value_kind:     by_value
      - .offset:         56
        .size:           8
        .value_kind:     by_value
      - .offset:         64
        .size:           8
        .value_kind:     by_value
      - .address_space:  global
        .offset:         72
        .size:           8
        .value_kind:     global_buffer
      - .offset:         80
        .size:           4
        .value_kind:     by_value
      - .offset:         88
        .size:           8
        .value_kind:     by_value
      - .offset:         96
        .size:           4
        .value_kind:     by_value
    .group_segment_fixed_size: 4096
    .kernarg_segment_align: 8
    .kernarg_segment_size: 100
    .language:       OpenCL C
    .language_version:
      - 2
      - 0
    .max_flat_workgroup_size: 256
    .name:           _ZL29rocblas_internal_gemmt_kernelIiLi16ELi32ELi8ELc78ELc67ELc85ELb0ELb1E19rocblas_complex_numIfES1_PKS1_PS1_EviT_T9_T10_S5_lS7_S5_lS6_T11_S5_li
    .private_segment_fixed_size: 0
    .sgpr_count:     30
    .sgpr_spill_count: 0
    .symbol:         _ZL29rocblas_internal_gemmt_kernelIiLi16ELi32ELi8ELc78ELc67ELc85ELb0ELb1E19rocblas_complex_numIfES1_PKS1_PS1_EviT_T9_T10_S5_lS7_S5_lS6_T11_S5_li.kd
    .uniform_work_group_size: 1
    .uses_dynamic_stack: false
    .vgpr_count:     59
    .vgpr_spill_count: 0
    .wavefront_size: 32
    .workgroup_processor_mode: 1
  - .args:
      - .offset:         0
        .size:           4
        .value_kind:     by_value
      - .offset:         4
        .size:           4
        .value_kind:     by_value
      - .offset:         8
        .size:           8
        .value_kind:     by_value
      - .address_space:  global
        .offset:         16
        .size:           8
        .value_kind:     global_buffer
      - .offset:         24
        .size:           4
        .value_kind:     by_value
      - .offset:         32
        .size:           8
        .value_kind:     by_value
      - .address_space:  global
        .offset:         40
        .size:           8
        .value_kind:     global_buffer
      - .offset:         48
        .size:           4
        .value_kind:     by_value
      - .offset:         56
        .size:           8
        .value_kind:     by_value
      - .offset:         64
        .size:           8
        .value_kind:     by_value
      - .address_space:  global
        .offset:         72
        .size:           8
        .value_kind:     global_buffer
      - .offset:         80
        .size:           4
        .value_kind:     by_value
      - .offset:         88
        .size:           8
        .value_kind:     by_value
      - .offset:         96
        .size:           4
        .value_kind:     by_value
    .group_segment_fixed_size: 4096
    .kernarg_segment_align: 8
    .kernarg_segment_size: 100
    .language:       OpenCL C
    .language_version:
      - 2
      - 0
    .max_flat_workgroup_size: 256
    .name:           _ZL29rocblas_internal_gemmt_kernelIiLi16ELi32ELi8ELc84ELc78ELc85ELb0ELb0E19rocblas_complex_numIfES1_PKS1_PS1_EviT_T9_T10_S5_lS7_S5_lS6_T11_S5_li
    .private_segment_fixed_size: 0
    .sgpr_count:     26
    .sgpr_spill_count: 0
    .symbol:         _ZL29rocblas_internal_gemmt_kernelIiLi16ELi32ELi8ELc84ELc78ELc85ELb0ELb0E19rocblas_complex_numIfES1_PKS1_PS1_EviT_T9_T10_S5_lS7_S5_lS6_T11_S5_li.kd
    .uniform_work_group_size: 1
    .uses_dynamic_stack: false
    .vgpr_count:     59
    .vgpr_spill_count: 0
    .wavefront_size: 32
    .workgroup_processor_mode: 1
  - .args:
      - .offset:         0
        .size:           4
        .value_kind:     by_value
      - .offset:         4
        .size:           4
        .value_kind:     by_value
      - .offset:         8
        .size:           8
        .value_kind:     by_value
      - .address_space:  global
        .offset:         16
        .size:           8
        .value_kind:     global_buffer
      - .offset:         24
        .size:           4
        .value_kind:     by_value
      - .offset:         32
        .size:           8
        .value_kind:     by_value
      - .address_space:  global
        .offset:         40
        .size:           8
        .value_kind:     global_buffer
      - .offset:         48
        .size:           4
        .value_kind:     by_value
      - .offset:         56
        .size:           8
        .value_kind:     by_value
      - .offset:         64
        .size:           8
        .value_kind:     by_value
      - .address_space:  global
        .offset:         72
        .size:           8
        .value_kind:     global_buffer
      - .offset:         80
        .size:           4
        .value_kind:     by_value
      - .offset:         88
        .size:           8
        .value_kind:     by_value
      - .offset:         96
        .size:           4
        .value_kind:     by_value
    .group_segment_fixed_size: 4096
    .kernarg_segment_align: 8
    .kernarg_segment_size: 100
    .language:       OpenCL C
    .language_version:
      - 2
      - 0
    .max_flat_workgroup_size: 256
    .name:           _ZL29rocblas_internal_gemmt_kernelIiLi16ELi32ELi8ELc84ELc84ELc85ELb0ELb0E19rocblas_complex_numIfES1_PKS1_PS1_EviT_T9_T10_S5_lS7_S5_lS6_T11_S5_li
    .private_segment_fixed_size: 0
    .sgpr_count:     28
    .sgpr_spill_count: 0
    .symbol:         _ZL29rocblas_internal_gemmt_kernelIiLi16ELi32ELi8ELc84ELc84ELc85ELb0ELb0E19rocblas_complex_numIfES1_PKS1_PS1_EviT_T9_T10_S5_lS7_S5_lS6_T11_S5_li.kd
    .uniform_work_group_size: 1
    .uses_dynamic_stack: false
    .vgpr_count:     59
    .vgpr_spill_count: 0
    .wavefront_size: 32
    .workgroup_processor_mode: 1
  - .args:
      - .offset:         0
        .size:           4
        .value_kind:     by_value
      - .offset:         4
        .size:           4
        .value_kind:     by_value
      - .offset:         8
        .size:           8
        .value_kind:     by_value
      - .address_space:  global
        .offset:         16
        .size:           8
        .value_kind:     global_buffer
      - .offset:         24
        .size:           4
        .value_kind:     by_value
      - .offset:         32
        .size:           8
        .value_kind:     by_value
      - .address_space:  global
        .offset:         40
        .size:           8
        .value_kind:     global_buffer
      - .offset:         48
        .size:           4
        .value_kind:     by_value
      - .offset:         56
        .size:           8
        .value_kind:     by_value
      - .offset:         64
        .size:           8
        .value_kind:     by_value
      - .address_space:  global
        .offset:         72
        .size:           8
        .value_kind:     global_buffer
      - .offset:         80
        .size:           4
        .value_kind:     by_value
      - .offset:         88
        .size:           8
        .value_kind:     by_value
      - .offset:         96
        .size:           4
        .value_kind:     by_value
    .group_segment_fixed_size: 4096
    .kernarg_segment_align: 8
    .kernarg_segment_size: 100
    .language:       OpenCL C
    .language_version:
      - 2
      - 0
    .max_flat_workgroup_size: 256
    .name:           _ZL29rocblas_internal_gemmt_kernelIiLi16ELi32ELi8ELc84ELc67ELc85ELb0ELb1E19rocblas_complex_numIfES1_PKS1_PS1_EviT_T9_T10_S5_lS7_S5_lS6_T11_S5_li
    .private_segment_fixed_size: 0
    .sgpr_count:     28
    .sgpr_spill_count: 0
    .symbol:         _ZL29rocblas_internal_gemmt_kernelIiLi16ELi32ELi8ELc84ELc67ELc85ELb0ELb1E19rocblas_complex_numIfES1_PKS1_PS1_EviT_T9_T10_S5_lS7_S5_lS6_T11_S5_li.kd
    .uniform_work_group_size: 1
    .uses_dynamic_stack: false
    .vgpr_count:     59
    .vgpr_spill_count: 0
    .wavefront_size: 32
    .workgroup_processor_mode: 1
  - .args:
      - .offset:         0
        .size:           4
        .value_kind:     by_value
      - .offset:         4
        .size:           4
        .value_kind:     by_value
      - .offset:         8
        .size:           8
        .value_kind:     by_value
      - .address_space:  global
        .offset:         16
        .size:           8
        .value_kind:     global_buffer
      - .offset:         24
        .size:           4
        .value_kind:     by_value
      - .offset:         32
        .size:           8
        .value_kind:     by_value
      - .address_space:  global
        .offset:         40
        .size:           8
        .value_kind:     global_buffer
      - .offset:         48
        .size:           4
        .value_kind:     by_value
      - .offset:         56
        .size:           8
        .value_kind:     by_value
      - .offset:         64
        .size:           8
        .value_kind:     by_value
      - .address_space:  global
        .offset:         72
        .size:           8
        .value_kind:     global_buffer
      - .offset:         80
        .size:           4
        .value_kind:     by_value
      - .offset:         88
        .size:           8
        .value_kind:     by_value
      - .offset:         96
        .size:           4
        .value_kind:     by_value
    .group_segment_fixed_size: 4096
    .kernarg_segment_align: 8
    .kernarg_segment_size: 100
    .language:       OpenCL C
    .language_version:
      - 2
      - 0
    .max_flat_workgroup_size: 256
    .name:           _ZL29rocblas_internal_gemmt_kernelIiLi16ELi32ELi8ELc67ELc78ELc85ELb1ELb0E19rocblas_complex_numIfES1_PKS1_PS1_EviT_T9_T10_S5_lS7_S5_lS6_T11_S5_li
    .private_segment_fixed_size: 0
    .sgpr_count:     26
    .sgpr_spill_count: 0
    .symbol:         _ZL29rocblas_internal_gemmt_kernelIiLi16ELi32ELi8ELc67ELc78ELc85ELb1ELb0E19rocblas_complex_numIfES1_PKS1_PS1_EviT_T9_T10_S5_lS7_S5_lS6_T11_S5_li.kd
    .uniform_work_group_size: 1
    .uses_dynamic_stack: false
    .vgpr_count:     59
    .vgpr_spill_count: 0
    .wavefront_size: 32
    .workgroup_processor_mode: 1
  - .args:
      - .offset:         0
        .size:           4
        .value_kind:     by_value
      - .offset:         4
        .size:           4
        .value_kind:     by_value
      - .offset:         8
        .size:           8
        .value_kind:     by_value
      - .address_space:  global
        .offset:         16
        .size:           8
        .value_kind:     global_buffer
      - .offset:         24
        .size:           4
        .value_kind:     by_value
      - .offset:         32
        .size:           8
        .value_kind:     by_value
      - .address_space:  global
        .offset:         40
        .size:           8
        .value_kind:     global_buffer
      - .offset:         48
        .size:           4
        .value_kind:     by_value
      - .offset:         56
        .size:           8
        .value_kind:     by_value
      - .offset:         64
        .size:           8
        .value_kind:     by_value
      - .address_space:  global
        .offset:         72
        .size:           8
        .value_kind:     global_buffer
      - .offset:         80
        .size:           4
        .value_kind:     by_value
      - .offset:         88
        .size:           8
        .value_kind:     by_value
      - .offset:         96
        .size:           4
        .value_kind:     by_value
    .group_segment_fixed_size: 4096
    .kernarg_segment_align: 8
    .kernarg_segment_size: 100
    .language:       OpenCL C
    .language_version:
      - 2
      - 0
    .max_flat_workgroup_size: 256
    .name:           _ZL29rocblas_internal_gemmt_kernelIiLi16ELi32ELi8ELc67ELc84ELc85ELb1ELb0E19rocblas_complex_numIfES1_PKS1_PS1_EviT_T9_T10_S5_lS7_S5_lS6_T11_S5_li
    .private_segment_fixed_size: 0
    .sgpr_count:     28
    .sgpr_spill_count: 0
    .symbol:         _ZL29rocblas_internal_gemmt_kernelIiLi16ELi32ELi8ELc67ELc84ELc85ELb1ELb0E19rocblas_complex_numIfES1_PKS1_PS1_EviT_T9_T10_S5_lS7_S5_lS6_T11_S5_li.kd
    .uniform_work_group_size: 1
    .uses_dynamic_stack: false
    .vgpr_count:     59
    .vgpr_spill_count: 0
    .wavefront_size: 32
    .workgroup_processor_mode: 1
  - .args:
      - .offset:         0
        .size:           4
        .value_kind:     by_value
      - .offset:         4
        .size:           4
        .value_kind:     by_value
      - .offset:         8
        .size:           8
        .value_kind:     by_value
      - .address_space:  global
        .offset:         16
        .size:           8
        .value_kind:     global_buffer
      - .offset:         24
        .size:           4
        .value_kind:     by_value
      - .offset:         32
        .size:           8
        .value_kind:     by_value
      - .address_space:  global
        .offset:         40
        .size:           8
        .value_kind:     global_buffer
      - .offset:         48
        .size:           4
        .value_kind:     by_value
      - .offset:         56
        .size:           8
        .value_kind:     by_value
      - .offset:         64
        .size:           8
        .value_kind:     by_value
      - .address_space:  global
        .offset:         72
        .size:           8
        .value_kind:     global_buffer
      - .offset:         80
        .size:           4
        .value_kind:     by_value
      - .offset:         88
        .size:           8
        .value_kind:     by_value
      - .offset:         96
        .size:           4
        .value_kind:     by_value
    .group_segment_fixed_size: 4096
    .kernarg_segment_align: 8
    .kernarg_segment_size: 100
    .language:       OpenCL C
    .language_version:
      - 2
      - 0
    .max_flat_workgroup_size: 256
    .name:           _ZL29rocblas_internal_gemmt_kernelIiLi16ELi32ELi8ELc67ELc67ELc85ELb1ELb1E19rocblas_complex_numIfES1_PKS1_PS1_EviT_T9_T10_S5_lS7_S5_lS6_T11_S5_li
    .private_segment_fixed_size: 0
    .sgpr_count:     28
    .sgpr_spill_count: 0
    .symbol:         _ZL29rocblas_internal_gemmt_kernelIiLi16ELi32ELi8ELc67ELc67ELc85ELb1ELb1E19rocblas_complex_numIfES1_PKS1_PS1_EviT_T9_T10_S5_lS7_S5_lS6_T11_S5_li.kd
    .uniform_work_group_size: 1
    .uses_dynamic_stack: false
    .vgpr_count:     59
    .vgpr_spill_count: 0
    .wavefront_size: 32
    .workgroup_processor_mode: 1
  - .args:
      - .offset:         0
        .size:           4
        .value_kind:     by_value
      - .offset:         4
        .size:           4
        .value_kind:     by_value
      - .offset:         8
        .size:           8
        .value_kind:     by_value
      - .address_space:  global
        .offset:         16
        .size:           8
        .value_kind:     global_buffer
      - .offset:         24
        .size:           4
        .value_kind:     by_value
      - .offset:         32
        .size:           8
        .value_kind:     by_value
      - .address_space:  global
        .offset:         40
        .size:           8
        .value_kind:     global_buffer
      - .offset:         48
        .size:           4
        .value_kind:     by_value
      - .offset:         56
        .size:           8
        .value_kind:     by_value
      - .offset:         64
        .size:           8
        .value_kind:     by_value
      - .address_space:  global
        .offset:         72
        .size:           8
        .value_kind:     global_buffer
      - .offset:         80
        .size:           4
        .value_kind:     by_value
      - .offset:         88
        .size:           8
        .value_kind:     by_value
      - .offset:         96
        .size:           4
        .value_kind:     by_value
    .group_segment_fixed_size: 4096
    .kernarg_segment_align: 8
    .kernarg_segment_size: 100
    .language:       OpenCL C
    .language_version:
      - 2
      - 0
    .max_flat_workgroup_size: 256
    .name:           _ZL29rocblas_internal_gemmt_kernelIiLi16ELi32ELi8ELc78ELc78ELc76ELb0ELb0E19rocblas_complex_numIfES1_PKS1_PS1_EviT_T9_T10_S5_lS7_S5_lS6_T11_S5_li
    .private_segment_fixed_size: 0
    .sgpr_count:     28
    .sgpr_spill_count: 0
    .symbol:         _ZL29rocblas_internal_gemmt_kernelIiLi16ELi32ELi8ELc78ELc78ELc76ELb0ELb0E19rocblas_complex_numIfES1_PKS1_PS1_EviT_T9_T10_S5_lS7_S5_lS6_T11_S5_li.kd
    .uniform_work_group_size: 1
    .uses_dynamic_stack: false
    .vgpr_count:     59
    .vgpr_spill_count: 0
    .wavefront_size: 32
    .workgroup_processor_mode: 1
  - .args:
      - .offset:         0
        .size:           4
        .value_kind:     by_value
      - .offset:         4
        .size:           4
        .value_kind:     by_value
      - .offset:         8
        .size:           8
        .value_kind:     by_value
      - .address_space:  global
        .offset:         16
        .size:           8
        .value_kind:     global_buffer
      - .offset:         24
        .size:           4
        .value_kind:     by_value
      - .offset:         32
        .size:           8
        .value_kind:     by_value
      - .address_space:  global
        .offset:         40
        .size:           8
        .value_kind:     global_buffer
      - .offset:         48
        .size:           4
        .value_kind:     by_value
      - .offset:         56
        .size:           8
        .value_kind:     by_value
      - .offset:         64
        .size:           8
        .value_kind:     by_value
      - .address_space:  global
        .offset:         72
        .size:           8
        .value_kind:     global_buffer
      - .offset:         80
        .size:           4
        .value_kind:     by_value
      - .offset:         88
        .size:           8
        .value_kind:     by_value
      - .offset:         96
        .size:           4
        .value_kind:     by_value
    .group_segment_fixed_size: 4096
    .kernarg_segment_align: 8
    .kernarg_segment_size: 100
    .language:       OpenCL C
    .language_version:
      - 2
      - 0
    .max_flat_workgroup_size: 256
    .name:           _ZL29rocblas_internal_gemmt_kernelIiLi16ELi32ELi8ELc78ELc84ELc76ELb0ELb0E19rocblas_complex_numIfES1_PKS1_PS1_EviT_T9_T10_S5_lS7_S5_lS6_T11_S5_li
    .private_segment_fixed_size: 0
    .sgpr_count:     30
    .sgpr_spill_count: 0
    .symbol:         _ZL29rocblas_internal_gemmt_kernelIiLi16ELi32ELi8ELc78ELc84ELc76ELb0ELb0E19rocblas_complex_numIfES1_PKS1_PS1_EviT_T9_T10_S5_lS7_S5_lS6_T11_S5_li.kd
    .uniform_work_group_size: 1
    .uses_dynamic_stack: false
    .vgpr_count:     59
    .vgpr_spill_count: 0
    .wavefront_size: 32
    .workgroup_processor_mode: 1
  - .args:
      - .offset:         0
        .size:           4
        .value_kind:     by_value
      - .offset:         4
        .size:           4
        .value_kind:     by_value
      - .offset:         8
        .size:           8
        .value_kind:     by_value
      - .address_space:  global
        .offset:         16
        .size:           8
        .value_kind:     global_buffer
      - .offset:         24
        .size:           4
        .value_kind:     by_value
      - .offset:         32
        .size:           8
        .value_kind:     by_value
      - .address_space:  global
        .offset:         40
        .size:           8
        .value_kind:     global_buffer
      - .offset:         48
        .size:           4
        .value_kind:     by_value
      - .offset:         56
        .size:           8
        .value_kind:     by_value
      - .offset:         64
        .size:           8
        .value_kind:     by_value
      - .address_space:  global
        .offset:         72
        .size:           8
        .value_kind:     global_buffer
      - .offset:         80
        .size:           4
        .value_kind:     by_value
      - .offset:         88
        .size:           8
        .value_kind:     by_value
      - .offset:         96
        .size:           4
        .value_kind:     by_value
    .group_segment_fixed_size: 4096
    .kernarg_segment_align: 8
    .kernarg_segment_size: 100
    .language:       OpenCL C
    .language_version:
      - 2
      - 0
    .max_flat_workgroup_size: 256
    .name:           _ZL29rocblas_internal_gemmt_kernelIiLi16ELi32ELi8ELc78ELc67ELc76ELb0ELb1E19rocblas_complex_numIfES1_PKS1_PS1_EviT_T9_T10_S5_lS7_S5_lS6_T11_S5_li
    .private_segment_fixed_size: 0
    .sgpr_count:     30
    .sgpr_spill_count: 0
    .symbol:         _ZL29rocblas_internal_gemmt_kernelIiLi16ELi32ELi8ELc78ELc67ELc76ELb0ELb1E19rocblas_complex_numIfES1_PKS1_PS1_EviT_T9_T10_S5_lS7_S5_lS6_T11_S5_li.kd
    .uniform_work_group_size: 1
    .uses_dynamic_stack: false
    .vgpr_count:     59
    .vgpr_spill_count: 0
    .wavefront_size: 32
    .workgroup_processor_mode: 1
  - .args:
      - .offset:         0
        .size:           4
        .value_kind:     by_value
      - .offset:         4
        .size:           4
        .value_kind:     by_value
      - .offset:         8
        .size:           8
        .value_kind:     by_value
      - .address_space:  global
        .offset:         16
        .size:           8
        .value_kind:     global_buffer
      - .offset:         24
        .size:           4
        .value_kind:     by_value
      - .offset:         32
        .size:           8
        .value_kind:     by_value
      - .address_space:  global
        .offset:         40
        .size:           8
        .value_kind:     global_buffer
      - .offset:         48
        .size:           4
        .value_kind:     by_value
      - .offset:         56
        .size:           8
        .value_kind:     by_value
      - .offset:         64
        .size:           8
        .value_kind:     by_value
      - .address_space:  global
        .offset:         72
        .size:           8
        .value_kind:     global_buffer
      - .offset:         80
        .size:           4
        .value_kind:     by_value
      - .offset:         88
        .size:           8
        .value_kind:     by_value
      - .offset:         96
        .size:           4
        .value_kind:     by_value
    .group_segment_fixed_size: 4096
    .kernarg_segment_align: 8
    .kernarg_segment_size: 100
    .language:       OpenCL C
    .language_version:
      - 2
      - 0
    .max_flat_workgroup_size: 256
    .name:           _ZL29rocblas_internal_gemmt_kernelIiLi16ELi32ELi8ELc84ELc78ELc76ELb0ELb0E19rocblas_complex_numIfES1_PKS1_PS1_EviT_T9_T10_S5_lS7_S5_lS6_T11_S5_li
    .private_segment_fixed_size: 0
    .sgpr_count:     26
    .sgpr_spill_count: 0
    .symbol:         _ZL29rocblas_internal_gemmt_kernelIiLi16ELi32ELi8ELc84ELc78ELc76ELb0ELb0E19rocblas_complex_numIfES1_PKS1_PS1_EviT_T9_T10_S5_lS7_S5_lS6_T11_S5_li.kd
    .uniform_work_group_size: 1
    .uses_dynamic_stack: false
    .vgpr_count:     59
    .vgpr_spill_count: 0
    .wavefront_size: 32
    .workgroup_processor_mode: 1
  - .args:
      - .offset:         0
        .size:           4
        .value_kind:     by_value
      - .offset:         4
        .size:           4
        .value_kind:     by_value
      - .offset:         8
        .size:           8
        .value_kind:     by_value
      - .address_space:  global
        .offset:         16
        .size:           8
        .value_kind:     global_buffer
      - .offset:         24
        .size:           4
        .value_kind:     by_value
      - .offset:         32
        .size:           8
        .value_kind:     by_value
      - .address_space:  global
        .offset:         40
        .size:           8
        .value_kind:     global_buffer
      - .offset:         48
        .size:           4
        .value_kind:     by_value
      - .offset:         56
        .size:           8
        .value_kind:     by_value
      - .offset:         64
        .size:           8
        .value_kind:     by_value
      - .address_space:  global
        .offset:         72
        .size:           8
        .value_kind:     global_buffer
      - .offset:         80
        .size:           4
        .value_kind:     by_value
      - .offset:         88
        .size:           8
        .value_kind:     by_value
      - .offset:         96
        .size:           4
        .value_kind:     by_value
    .group_segment_fixed_size: 4096
    .kernarg_segment_align: 8
    .kernarg_segment_size: 100
    .language:       OpenCL C
    .language_version:
      - 2
      - 0
    .max_flat_workgroup_size: 256
    .name:           _ZL29rocblas_internal_gemmt_kernelIiLi16ELi32ELi8ELc84ELc84ELc76ELb0ELb0E19rocblas_complex_numIfES1_PKS1_PS1_EviT_T9_T10_S5_lS7_S5_lS6_T11_S5_li
    .private_segment_fixed_size: 0
    .sgpr_count:     28
    .sgpr_spill_count: 0
    .symbol:         _ZL29rocblas_internal_gemmt_kernelIiLi16ELi32ELi8ELc84ELc84ELc76ELb0ELb0E19rocblas_complex_numIfES1_PKS1_PS1_EviT_T9_T10_S5_lS7_S5_lS6_T11_S5_li.kd
    .uniform_work_group_size: 1
    .uses_dynamic_stack: false
    .vgpr_count:     59
    .vgpr_spill_count: 0
    .wavefront_size: 32
    .workgroup_processor_mode: 1
  - .args:
      - .offset:         0
        .size:           4
        .value_kind:     by_value
      - .offset:         4
        .size:           4
        .value_kind:     by_value
      - .offset:         8
        .size:           8
        .value_kind:     by_value
      - .address_space:  global
        .offset:         16
        .size:           8
        .value_kind:     global_buffer
      - .offset:         24
        .size:           4
        .value_kind:     by_value
      - .offset:         32
        .size:           8
        .value_kind:     by_value
      - .address_space:  global
        .offset:         40
        .size:           8
        .value_kind:     global_buffer
      - .offset:         48
        .size:           4
        .value_kind:     by_value
      - .offset:         56
        .size:           8
        .value_kind:     by_value
      - .offset:         64
        .size:           8
        .value_kind:     by_value
      - .address_space:  global
        .offset:         72
        .size:           8
        .value_kind:     global_buffer
      - .offset:         80
        .size:           4
        .value_kind:     by_value
      - .offset:         88
        .size:           8
        .value_kind:     by_value
      - .offset:         96
        .size:           4
        .value_kind:     by_value
    .group_segment_fixed_size: 4096
    .kernarg_segment_align: 8
    .kernarg_segment_size: 100
    .language:       OpenCL C
    .language_version:
      - 2
      - 0
    .max_flat_workgroup_size: 256
    .name:           _ZL29rocblas_internal_gemmt_kernelIiLi16ELi32ELi8ELc84ELc67ELc76ELb0ELb1E19rocblas_complex_numIfES1_PKS1_PS1_EviT_T9_T10_S5_lS7_S5_lS6_T11_S5_li
    .private_segment_fixed_size: 0
    .sgpr_count:     28
    .sgpr_spill_count: 0
    .symbol:         _ZL29rocblas_internal_gemmt_kernelIiLi16ELi32ELi8ELc84ELc67ELc76ELb0ELb1E19rocblas_complex_numIfES1_PKS1_PS1_EviT_T9_T10_S5_lS7_S5_lS6_T11_S5_li.kd
    .uniform_work_group_size: 1
    .uses_dynamic_stack: false
    .vgpr_count:     59
    .vgpr_spill_count: 0
    .wavefront_size: 32
    .workgroup_processor_mode: 1
  - .args:
      - .offset:         0
        .size:           4
        .value_kind:     by_value
      - .offset:         4
        .size:           4
        .value_kind:     by_value
      - .offset:         8
        .size:           8
        .value_kind:     by_value
      - .address_space:  global
        .offset:         16
        .size:           8
        .value_kind:     global_buffer
      - .offset:         24
        .size:           4
        .value_kind:     by_value
      - .offset:         32
        .size:           8
        .value_kind:     by_value
      - .address_space:  global
        .offset:         40
        .size:           8
        .value_kind:     global_buffer
      - .offset:         48
        .size:           4
        .value_kind:     by_value
      - .offset:         56
        .size:           8
        .value_kind:     by_value
      - .offset:         64
        .size:           8
        .value_kind:     by_value
      - .address_space:  global
        .offset:         72
        .size:           8
        .value_kind:     global_buffer
      - .offset:         80
        .size:           4
        .value_kind:     by_value
      - .offset:         88
        .size:           8
        .value_kind:     by_value
      - .offset:         96
        .size:           4
        .value_kind:     by_value
    .group_segment_fixed_size: 4096
    .kernarg_segment_align: 8
    .kernarg_segment_size: 100
    .language:       OpenCL C
    .language_version:
      - 2
      - 0
    .max_flat_workgroup_size: 256
    .name:           _ZL29rocblas_internal_gemmt_kernelIiLi16ELi32ELi8ELc67ELc78ELc76ELb1ELb0E19rocblas_complex_numIfES1_PKS1_PS1_EviT_T9_T10_S5_lS7_S5_lS6_T11_S5_li
    .private_segment_fixed_size: 0
    .sgpr_count:     26
    .sgpr_spill_count: 0
    .symbol:         _ZL29rocblas_internal_gemmt_kernelIiLi16ELi32ELi8ELc67ELc78ELc76ELb1ELb0E19rocblas_complex_numIfES1_PKS1_PS1_EviT_T9_T10_S5_lS7_S5_lS6_T11_S5_li.kd
    .uniform_work_group_size: 1
    .uses_dynamic_stack: false
    .vgpr_count:     59
    .vgpr_spill_count: 0
    .wavefront_size: 32
    .workgroup_processor_mode: 1
  - .args:
      - .offset:         0
        .size:           4
        .value_kind:     by_value
      - .offset:         4
        .size:           4
        .value_kind:     by_value
      - .offset:         8
        .size:           8
        .value_kind:     by_value
      - .address_space:  global
        .offset:         16
        .size:           8
        .value_kind:     global_buffer
      - .offset:         24
        .size:           4
        .value_kind:     by_value
      - .offset:         32
        .size:           8
        .value_kind:     by_value
      - .address_space:  global
        .offset:         40
        .size:           8
        .value_kind:     global_buffer
      - .offset:         48
        .size:           4
        .value_kind:     by_value
      - .offset:         56
        .size:           8
        .value_kind:     by_value
      - .offset:         64
        .size:           8
        .value_kind:     by_value
      - .address_space:  global
        .offset:         72
        .size:           8
        .value_kind:     global_buffer
      - .offset:         80
        .size:           4
        .value_kind:     by_value
      - .offset:         88
        .size:           8
        .value_kind:     by_value
      - .offset:         96
        .size:           4
        .value_kind:     by_value
    .group_segment_fixed_size: 4096
    .kernarg_segment_align: 8
    .kernarg_segment_size: 100
    .language:       OpenCL C
    .language_version:
      - 2
      - 0
    .max_flat_workgroup_size: 256
    .name:           _ZL29rocblas_internal_gemmt_kernelIiLi16ELi32ELi8ELc67ELc84ELc76ELb1ELb0E19rocblas_complex_numIfES1_PKS1_PS1_EviT_T9_T10_S5_lS7_S5_lS6_T11_S5_li
    .private_segment_fixed_size: 0
    .sgpr_count:     28
    .sgpr_spill_count: 0
    .symbol:         _ZL29rocblas_internal_gemmt_kernelIiLi16ELi32ELi8ELc67ELc84ELc76ELb1ELb0E19rocblas_complex_numIfES1_PKS1_PS1_EviT_T9_T10_S5_lS7_S5_lS6_T11_S5_li.kd
    .uniform_work_group_size: 1
    .uses_dynamic_stack: false
    .vgpr_count:     59
    .vgpr_spill_count: 0
    .wavefront_size: 32
    .workgroup_processor_mode: 1
  - .args:
      - .offset:         0
        .size:           4
        .value_kind:     by_value
      - .offset:         4
        .size:           4
        .value_kind:     by_value
      - .offset:         8
        .size:           8
        .value_kind:     by_value
      - .address_space:  global
        .offset:         16
        .size:           8
        .value_kind:     global_buffer
      - .offset:         24
        .size:           4
        .value_kind:     by_value
      - .offset:         32
        .size:           8
        .value_kind:     by_value
      - .address_space:  global
        .offset:         40
        .size:           8
        .value_kind:     global_buffer
      - .offset:         48
        .size:           4
        .value_kind:     by_value
      - .offset:         56
        .size:           8
        .value_kind:     by_value
      - .offset:         64
        .size:           8
        .value_kind:     by_value
      - .address_space:  global
        .offset:         72
        .size:           8
        .value_kind:     global_buffer
      - .offset:         80
        .size:           4
        .value_kind:     by_value
      - .offset:         88
        .size:           8
        .value_kind:     by_value
      - .offset:         96
        .size:           4
        .value_kind:     by_value
    .group_segment_fixed_size: 4096
    .kernarg_segment_align: 8
    .kernarg_segment_size: 100
    .language:       OpenCL C
    .language_version:
      - 2
      - 0
    .max_flat_workgroup_size: 256
    .name:           _ZL29rocblas_internal_gemmt_kernelIiLi16ELi32ELi8ELc67ELc67ELc76ELb1ELb1E19rocblas_complex_numIfES1_PKS1_PS1_EviT_T9_T10_S5_lS7_S5_lS6_T11_S5_li
    .private_segment_fixed_size: 0
    .sgpr_count:     28
    .sgpr_spill_count: 0
    .symbol:         _ZL29rocblas_internal_gemmt_kernelIiLi16ELi32ELi8ELc67ELc67ELc76ELb1ELb1E19rocblas_complex_numIfES1_PKS1_PS1_EviT_T9_T10_S5_lS7_S5_lS6_T11_S5_li.kd
    .uniform_work_group_size: 1
    .uses_dynamic_stack: false
    .vgpr_count:     59
    .vgpr_spill_count: 0
    .wavefront_size: 32
    .workgroup_processor_mode: 1
  - .args:
      - .offset:         0
        .size:           4
        .value_kind:     by_value
      - .offset:         4
        .size:           4
        .value_kind:     by_value
      - .address_space:  global
        .offset:         8
        .size:           8
        .value_kind:     global_buffer
      - .address_space:  global
        .offset:         16
        .size:           8
        .value_kind:     global_buffer
      - .offset:         24
        .size:           4
        .value_kind:     by_value
      - .offset:         32
        .size:           8
        .value_kind:     by_value
      - .address_space:  global
        .offset:         40
        .size:           8
        .value_kind:     global_buffer
      - .offset:         48
        .size:           4
        .value_kind:     by_value
      - .offset:         56
        .size:           8
        .value_kind:     by_value
      - .address_space:  global
        .offset:         64
        .size:           8
        .value_kind:     global_buffer
      - .address_space:  global
        .offset:         72
        .size:           8
        .value_kind:     global_buffer
      - .offset:         80
        .size:           4
        .value_kind:     by_value
      - .offset:         88
        .size:           8
        .value_kind:     by_value
      - .offset:         96
        .size:           4
        .value_kind:     by_value
    .group_segment_fixed_size: 8192
    .kernarg_segment_align: 8
    .kernarg_segment_size: 100
    .language:       OpenCL C
    .language_version:
      - 2
      - 0
    .max_flat_workgroup_size: 256
    .name:           _ZL29rocblas_internal_gemmt_kernelIiLi16ELi32ELi8ELc78ELc78ELc85ELb0ELb0E19rocblas_complex_numIdEPKS1_S3_PS1_EviT_T9_T10_S5_lS7_S5_lS6_T11_S5_li
    .private_segment_fixed_size: 0
    .sgpr_count:     34
    .sgpr_spill_count: 0
    .symbol:         _ZL29rocblas_internal_gemmt_kernelIiLi16ELi32ELi8ELc78ELc78ELc85ELb0ELb0E19rocblas_complex_numIdEPKS1_S3_PS1_EviT_T9_T10_S5_lS7_S5_lS6_T11_S5_li.kd
    .uniform_work_group_size: 1
    .uses_dynamic_stack: false
    .vgpr_count:     56
    .vgpr_spill_count: 0
    .wavefront_size: 32
    .workgroup_processor_mode: 1
  - .args:
      - .offset:         0
        .size:           4
        .value_kind:     by_value
      - .offset:         4
        .size:           4
        .value_kind:     by_value
      - .address_space:  global
        .offset:         8
        .size:           8
        .value_kind:     global_buffer
      - .address_space:  global
        .offset:         16
        .size:           8
        .value_kind:     global_buffer
      - .offset:         24
        .size:           4
        .value_kind:     by_value
      - .offset:         32
        .size:           8
        .value_kind:     by_value
      - .address_space:  global
        .offset:         40
        .size:           8
        .value_kind:     global_buffer
      - .offset:         48
        .size:           4
        .value_kind:     by_value
      - .offset:         56
        .size:           8
        .value_kind:     by_value
      - .address_space:  global
        .offset:         64
        .size:           8
        .value_kind:     global_buffer
      - .address_space:  global
        .offset:         72
        .size:           8
        .value_kind:     global_buffer
      - .offset:         80
        .size:           4
        .value_kind:     by_value
      - .offset:         88
        .size:           8
        .value_kind:     by_value
      - .offset:         96
        .size:           4
        .value_kind:     by_value
    .group_segment_fixed_size: 8192
    .kernarg_segment_align: 8
    .kernarg_segment_size: 100
    .language:       OpenCL C
    .language_version:
      - 2
      - 0
    .max_flat_workgroup_size: 256
    .name:           _ZL29rocblas_internal_gemmt_kernelIiLi16ELi32ELi8ELc78ELc84ELc85ELb0ELb0E19rocblas_complex_numIdEPKS1_S3_PS1_EviT_T9_T10_S5_lS7_S5_lS6_T11_S5_li
    .private_segment_fixed_size: 0
    .sgpr_count:     38
    .sgpr_spill_count: 0
    .symbol:         _ZL29rocblas_internal_gemmt_kernelIiLi16ELi32ELi8ELc78ELc84ELc85ELb0ELb0E19rocblas_complex_numIdEPKS1_S3_PS1_EviT_T9_T10_S5_lS7_S5_lS6_T11_S5_li.kd
    .uniform_work_group_size: 1
    .uses_dynamic_stack: false
    .vgpr_count:     56
    .vgpr_spill_count: 0
    .wavefront_size: 32
    .workgroup_processor_mode: 1
  - .args:
      - .offset:         0
        .size:           4
        .value_kind:     by_value
      - .offset:         4
        .size:           4
        .value_kind:     by_value
      - .address_space:  global
        .offset:         8
        .size:           8
        .value_kind:     global_buffer
      - .address_space:  global
        .offset:         16
        .size:           8
        .value_kind:     global_buffer
      - .offset:         24
        .size:           4
        .value_kind:     by_value
      - .offset:         32
        .size:           8
        .value_kind:     by_value
      - .address_space:  global
        .offset:         40
        .size:           8
        .value_kind:     global_buffer
      - .offset:         48
        .size:           4
        .value_kind:     by_value
      - .offset:         56
        .size:           8
        .value_kind:     by_value
      - .address_space:  global
        .offset:         64
        .size:           8
        .value_kind:     global_buffer
      - .address_space:  global
        .offset:         72
        .size:           8
        .value_kind:     global_buffer
      - .offset:         80
        .size:           4
        .value_kind:     by_value
      - .offset:         88
        .size:           8
        .value_kind:     by_value
      - .offset:         96
        .size:           4
        .value_kind:     by_value
    .group_segment_fixed_size: 8192
    .kernarg_segment_align: 8
    .kernarg_segment_size: 100
    .language:       OpenCL C
    .language_version:
      - 2
      - 0
    .max_flat_workgroup_size: 256
    .name:           _ZL29rocblas_internal_gemmt_kernelIiLi16ELi32ELi8ELc78ELc67ELc85ELb0ELb1E19rocblas_complex_numIdEPKS1_S3_PS1_EviT_T9_T10_S5_lS7_S5_lS6_T11_S5_li
    .private_segment_fixed_size: 0
    .sgpr_count:     37
    .sgpr_spill_count: 0
    .symbol:         _ZL29rocblas_internal_gemmt_kernelIiLi16ELi32ELi8ELc78ELc67ELc85ELb0ELb1E19rocblas_complex_numIdEPKS1_S3_PS1_EviT_T9_T10_S5_lS7_S5_lS6_T11_S5_li.kd
    .uniform_work_group_size: 1
    .uses_dynamic_stack: false
    .vgpr_count:     127
    .vgpr_spill_count: 0
    .wavefront_size: 32
    .workgroup_processor_mode: 1
  - .args:
      - .offset:         0
        .size:           4
        .value_kind:     by_value
      - .offset:         4
        .size:           4
        .value_kind:     by_value
      - .address_space:  global
        .offset:         8
        .size:           8
        .value_kind:     global_buffer
      - .address_space:  global
        .offset:         16
        .size:           8
        .value_kind:     global_buffer
      - .offset:         24
        .size:           4
        .value_kind:     by_value
      - .offset:         32
        .size:           8
        .value_kind:     by_value
      - .address_space:  global
        .offset:         40
        .size:           8
        .value_kind:     global_buffer
      - .offset:         48
        .size:           4
        .value_kind:     by_value
      - .offset:         56
        .size:           8
        .value_kind:     by_value
      - .address_space:  global
        .offset:         64
        .size:           8
        .value_kind:     global_buffer
      - .address_space:  global
        .offset:         72
        .size:           8
        .value_kind:     global_buffer
      - .offset:         80
        .size:           4
        .value_kind:     by_value
      - .offset:         88
        .size:           8
        .value_kind:     by_value
      - .offset:         96
        .size:           4
        .value_kind:     by_value
    .group_segment_fixed_size: 8192
    .kernarg_segment_align: 8
    .kernarg_segment_size: 100
    .language:       OpenCL C
    .language_version:
      - 2
      - 0
    .max_flat_workgroup_size: 256
    .name:           _ZL29rocblas_internal_gemmt_kernelIiLi16ELi32ELi8ELc84ELc78ELc85ELb0ELb0E19rocblas_complex_numIdEPKS1_S3_PS1_EviT_T9_T10_S5_lS7_S5_lS6_T11_S5_li
    .private_segment_fixed_size: 0
    .sgpr_count:     32
    .sgpr_spill_count: 0
    .symbol:         _ZL29rocblas_internal_gemmt_kernelIiLi16ELi32ELi8ELc84ELc78ELc85ELb0ELb0E19rocblas_complex_numIdEPKS1_S3_PS1_EviT_T9_T10_S5_lS7_S5_lS6_T11_S5_li.kd
    .uniform_work_group_size: 1
    .uses_dynamic_stack: false
    .vgpr_count:     56
    .vgpr_spill_count: 0
    .wavefront_size: 32
    .workgroup_processor_mode: 1
  - .args:
      - .offset:         0
        .size:           4
        .value_kind:     by_value
      - .offset:         4
        .size:           4
        .value_kind:     by_value
      - .address_space:  global
        .offset:         8
        .size:           8
        .value_kind:     global_buffer
      - .address_space:  global
        .offset:         16
        .size:           8
        .value_kind:     global_buffer
      - .offset:         24
        .size:           4
        .value_kind:     by_value
      - .offset:         32
        .size:           8
        .value_kind:     by_value
      - .address_space:  global
        .offset:         40
        .size:           8
        .value_kind:     global_buffer
      - .offset:         48
        .size:           4
        .value_kind:     by_value
      - .offset:         56
        .size:           8
        .value_kind:     by_value
      - .address_space:  global
        .offset:         64
        .size:           8
        .value_kind:     global_buffer
      - .address_space:  global
        .offset:         72
        .size:           8
        .value_kind:     global_buffer
      - .offset:         80
        .size:           4
        .value_kind:     by_value
      - .offset:         88
        .size:           8
        .value_kind:     by_value
      - .offset:         96
        .size:           4
        .value_kind:     by_value
    .group_segment_fixed_size: 8192
    .kernarg_segment_align: 8
    .kernarg_segment_size: 100
    .language:       OpenCL C
    .language_version:
      - 2
      - 0
    .max_flat_workgroup_size: 256
    .name:           _ZL29rocblas_internal_gemmt_kernelIiLi16ELi32ELi8ELc84ELc84ELc85ELb0ELb0E19rocblas_complex_numIdEPKS1_S3_PS1_EviT_T9_T10_S5_lS7_S5_lS6_T11_S5_li
    .private_segment_fixed_size: 0
    .sgpr_count:     33
    .sgpr_spill_count: 0
    .symbol:         _ZL29rocblas_internal_gemmt_kernelIiLi16ELi32ELi8ELc84ELc84ELc85ELb0ELb0E19rocblas_complex_numIdEPKS1_S3_PS1_EviT_T9_T10_S5_lS7_S5_lS6_T11_S5_li.kd
    .uniform_work_group_size: 1
    .uses_dynamic_stack: false
    .vgpr_count:     56
    .vgpr_spill_count: 0
    .wavefront_size: 32
    .workgroup_processor_mode: 1
  - .args:
      - .offset:         0
        .size:           4
        .value_kind:     by_value
      - .offset:         4
        .size:           4
        .value_kind:     by_value
      - .address_space:  global
        .offset:         8
        .size:           8
        .value_kind:     global_buffer
      - .address_space:  global
        .offset:         16
        .size:           8
        .value_kind:     global_buffer
      - .offset:         24
        .size:           4
        .value_kind:     by_value
      - .offset:         32
        .size:           8
        .value_kind:     by_value
      - .address_space:  global
        .offset:         40
        .size:           8
        .value_kind:     global_buffer
      - .offset:         48
        .size:           4
        .value_kind:     by_value
      - .offset:         56
        .size:           8
        .value_kind:     by_value
      - .address_space:  global
        .offset:         64
        .size:           8
        .value_kind:     global_buffer
      - .address_space:  global
        .offset:         72
        .size:           8
        .value_kind:     global_buffer
      - .offset:         80
        .size:           4
        .value_kind:     by_value
      - .offset:         88
        .size:           8
        .value_kind:     by_value
      - .offset:         96
        .size:           4
        .value_kind:     by_value
    .group_segment_fixed_size: 8192
    .kernarg_segment_align: 8
    .kernarg_segment_size: 100
    .language:       OpenCL C
    .language_version:
      - 2
      - 0
    .max_flat_workgroup_size: 256
    .name:           _ZL29rocblas_internal_gemmt_kernelIiLi16ELi32ELi8ELc84ELc67ELc85ELb0ELb1E19rocblas_complex_numIdEPKS1_S3_PS1_EviT_T9_T10_S5_lS7_S5_lS6_T11_S5_li
    .private_segment_fixed_size: 0
    .sgpr_count:     33
    .sgpr_spill_count: 0
    .symbol:         _ZL29rocblas_internal_gemmt_kernelIiLi16ELi32ELi8ELc84ELc67ELc85ELb0ELb1E19rocblas_complex_numIdEPKS1_S3_PS1_EviT_T9_T10_S5_lS7_S5_lS6_T11_S5_li.kd
    .uniform_work_group_size: 1
    .uses_dynamic_stack: false
    .vgpr_count:     127
    .vgpr_spill_count: 0
    .wavefront_size: 32
    .workgroup_processor_mode: 1
  - .args:
      - .offset:         0
        .size:           4
        .value_kind:     by_value
      - .offset:         4
        .size:           4
        .value_kind:     by_value
      - .address_space:  global
        .offset:         8
        .size:           8
        .value_kind:     global_buffer
      - .address_space:  global
        .offset:         16
        .size:           8
        .value_kind:     global_buffer
      - .offset:         24
        .size:           4
        .value_kind:     by_value
      - .offset:         32
        .size:           8
        .value_kind:     by_value
      - .address_space:  global
        .offset:         40
        .size:           8
        .value_kind:     global_buffer
      - .offset:         48
        .size:           4
        .value_kind:     by_value
      - .offset:         56
        .size:           8
        .value_kind:     by_value
      - .address_space:  global
        .offset:         64
        .size:           8
        .value_kind:     global_buffer
      - .address_space:  global
        .offset:         72
        .size:           8
        .value_kind:     global_buffer
      - .offset:         80
        .size:           4
        .value_kind:     by_value
      - .offset:         88
        .size:           8
        .value_kind:     by_value
      - .offset:         96
        .size:           4
        .value_kind:     by_value
    .group_segment_fixed_size: 8192
    .kernarg_segment_align: 8
    .kernarg_segment_size: 100
    .language:       OpenCL C
    .language_version:
      - 2
      - 0
    .max_flat_workgroup_size: 256
    .name:           _ZL29rocblas_internal_gemmt_kernelIiLi16ELi32ELi8ELc67ELc78ELc85ELb1ELb0E19rocblas_complex_numIdEPKS1_S3_PS1_EviT_T9_T10_S5_lS7_S5_lS6_T11_S5_li
    .private_segment_fixed_size: 0
    .sgpr_count:     32
    .sgpr_spill_count: 0
    .symbol:         _ZL29rocblas_internal_gemmt_kernelIiLi16ELi32ELi8ELc67ELc78ELc85ELb1ELb0E19rocblas_complex_numIdEPKS1_S3_PS1_EviT_T9_T10_S5_lS7_S5_lS6_T11_S5_li.kd
    .uniform_work_group_size: 1
    .uses_dynamic_stack: false
    .vgpr_count:     127
    .vgpr_spill_count: 0
    .wavefront_size: 32
    .workgroup_processor_mode: 1
  - .args:
      - .offset:         0
        .size:           4
        .value_kind:     by_value
      - .offset:         4
        .size:           4
        .value_kind:     by_value
      - .address_space:  global
        .offset:         8
        .size:           8
        .value_kind:     global_buffer
      - .address_space:  global
        .offset:         16
        .size:           8
        .value_kind:     global_buffer
      - .offset:         24
        .size:           4
        .value_kind:     by_value
      - .offset:         32
        .size:           8
        .value_kind:     by_value
      - .address_space:  global
        .offset:         40
        .size:           8
        .value_kind:     global_buffer
      - .offset:         48
        .size:           4
        .value_kind:     by_value
      - .offset:         56
        .size:           8
        .value_kind:     by_value
      - .address_space:  global
        .offset:         64
        .size:           8
        .value_kind:     global_buffer
      - .address_space:  global
        .offset:         72
        .size:           8
        .value_kind:     global_buffer
      - .offset:         80
        .size:           4
        .value_kind:     by_value
      - .offset:         88
        .size:           8
        .value_kind:     by_value
      - .offset:         96
        .size:           4
        .value_kind:     by_value
    .group_segment_fixed_size: 8192
    .kernarg_segment_align: 8
    .kernarg_segment_size: 100
    .language:       OpenCL C
    .language_version:
      - 2
      - 0
    .max_flat_workgroup_size: 256
    .name:           _ZL29rocblas_internal_gemmt_kernelIiLi16ELi32ELi8ELc67ELc84ELc85ELb1ELb0E19rocblas_complex_numIdEPKS1_S3_PS1_EviT_T9_T10_S5_lS7_S5_lS6_T11_S5_li
    .private_segment_fixed_size: 0
    .sgpr_count:     33
    .sgpr_spill_count: 0
    .symbol:         _ZL29rocblas_internal_gemmt_kernelIiLi16ELi32ELi8ELc67ELc84ELc85ELb1ELb0E19rocblas_complex_numIdEPKS1_S3_PS1_EviT_T9_T10_S5_lS7_S5_lS6_T11_S5_li.kd
    .uniform_work_group_size: 1
    .uses_dynamic_stack: false
    .vgpr_count:     127
    .vgpr_spill_count: 0
    .wavefront_size: 32
    .workgroup_processor_mode: 1
  - .args:
      - .offset:         0
        .size:           4
        .value_kind:     by_value
      - .offset:         4
        .size:           4
        .value_kind:     by_value
      - .address_space:  global
        .offset:         8
        .size:           8
        .value_kind:     global_buffer
      - .address_space:  global
        .offset:         16
        .size:           8
        .value_kind:     global_buffer
      - .offset:         24
        .size:           4
        .value_kind:     by_value
      - .offset:         32
        .size:           8
        .value_kind:     by_value
      - .address_space:  global
        .offset:         40
        .size:           8
        .value_kind:     global_buffer
      - .offset:         48
        .size:           4
        .value_kind:     by_value
      - .offset:         56
        .size:           8
        .value_kind:     by_value
      - .address_space:  global
        .offset:         64
        .size:           8
        .value_kind:     global_buffer
      - .address_space:  global
        .offset:         72
        .size:           8
        .value_kind:     global_buffer
      - .offset:         80
        .size:           4
        .value_kind:     by_value
      - .offset:         88
        .size:           8
        .value_kind:     by_value
      - .offset:         96
        .size:           4
        .value_kind:     by_value
    .group_segment_fixed_size: 8192
    .kernarg_segment_align: 8
    .kernarg_segment_size: 100
    .language:       OpenCL C
    .language_version:
      - 2
      - 0
    .max_flat_workgroup_size: 256
    .name:           _ZL29rocblas_internal_gemmt_kernelIiLi16ELi32ELi8ELc67ELc67ELc85ELb1ELb1E19rocblas_complex_numIdEPKS1_S3_PS1_EviT_T9_T10_S5_lS7_S5_lS6_T11_S5_li
    .private_segment_fixed_size: 0
    .sgpr_count:     33
    .sgpr_spill_count: 0
    .symbol:         _ZL29rocblas_internal_gemmt_kernelIiLi16ELi32ELi8ELc67ELc67ELc85ELb1ELb1E19rocblas_complex_numIdEPKS1_S3_PS1_EviT_T9_T10_S5_lS7_S5_lS6_T11_S5_li.kd
    .uniform_work_group_size: 1
    .uses_dynamic_stack: false
    .vgpr_count:     126
    .vgpr_spill_count: 0
    .wavefront_size: 32
    .workgroup_processor_mode: 1
  - .args:
      - .offset:         0
        .size:           4
        .value_kind:     by_value
      - .offset:         4
        .size:           4
        .value_kind:     by_value
      - .address_space:  global
        .offset:         8
        .size:           8
        .value_kind:     global_buffer
      - .address_space:  global
        .offset:         16
        .size:           8
        .value_kind:     global_buffer
      - .offset:         24
        .size:           4
        .value_kind:     by_value
      - .offset:         32
        .size:           8
        .value_kind:     by_value
      - .address_space:  global
        .offset:         40
        .size:           8
        .value_kind:     global_buffer
      - .offset:         48
        .size:           4
        .value_kind:     by_value
      - .offset:         56
        .size:           8
        .value_kind:     by_value
      - .address_space:  global
        .offset:         64
        .size:           8
        .value_kind:     global_buffer
      - .address_space:  global
        .offset:         72
        .size:           8
        .value_kind:     global_buffer
      - .offset:         80
        .size:           4
        .value_kind:     by_value
      - .offset:         88
        .size:           8
        .value_kind:     by_value
      - .offset:         96
        .size:           4
        .value_kind:     by_value
    .group_segment_fixed_size: 8192
    .kernarg_segment_align: 8
    .kernarg_segment_size: 100
    .language:       OpenCL C
    .language_version:
      - 2
      - 0
    .max_flat_workgroup_size: 256
    .name:           _ZL29rocblas_internal_gemmt_kernelIiLi16ELi32ELi8ELc78ELc78ELc76ELb0ELb0E19rocblas_complex_numIdEPKS1_S3_PS1_EviT_T9_T10_S5_lS7_S5_lS6_T11_S5_li
    .private_segment_fixed_size: 0
    .sgpr_count:     34
    .sgpr_spill_count: 0
    .symbol:         _ZL29rocblas_internal_gemmt_kernelIiLi16ELi32ELi8ELc78ELc78ELc76ELb0ELb0E19rocblas_complex_numIdEPKS1_S3_PS1_EviT_T9_T10_S5_lS7_S5_lS6_T11_S5_li.kd
    .uniform_work_group_size: 1
    .uses_dynamic_stack: false
    .vgpr_count:     56
    .vgpr_spill_count: 0
    .wavefront_size: 32
    .workgroup_processor_mode: 1
  - .args:
      - .offset:         0
        .size:           4
        .value_kind:     by_value
      - .offset:         4
        .size:           4
        .value_kind:     by_value
      - .address_space:  global
        .offset:         8
        .size:           8
        .value_kind:     global_buffer
      - .address_space:  global
        .offset:         16
        .size:           8
        .value_kind:     global_buffer
      - .offset:         24
        .size:           4
        .value_kind:     by_value
      - .offset:         32
        .size:           8
        .value_kind:     by_value
      - .address_space:  global
        .offset:         40
        .size:           8
        .value_kind:     global_buffer
      - .offset:         48
        .size:           4
        .value_kind:     by_value
      - .offset:         56
        .size:           8
        .value_kind:     by_value
      - .address_space:  global
        .offset:         64
        .size:           8
        .value_kind:     global_buffer
      - .address_space:  global
        .offset:         72
        .size:           8
        .value_kind:     global_buffer
      - .offset:         80
        .size:           4
        .value_kind:     by_value
      - .offset:         88
        .size:           8
        .value_kind:     by_value
      - .offset:         96
        .size:           4
        .value_kind:     by_value
    .group_segment_fixed_size: 8192
    .kernarg_segment_align: 8
    .kernarg_segment_size: 100
    .language:       OpenCL C
    .language_version:
      - 2
      - 0
    .max_flat_workgroup_size: 256
    .name:           _ZL29rocblas_internal_gemmt_kernelIiLi16ELi32ELi8ELc78ELc84ELc76ELb0ELb0E19rocblas_complex_numIdEPKS1_S3_PS1_EviT_T9_T10_S5_lS7_S5_lS6_T11_S5_li
    .private_segment_fixed_size: 0
    .sgpr_count:     38
    .sgpr_spill_count: 0
    .symbol:         _ZL29rocblas_internal_gemmt_kernelIiLi16ELi32ELi8ELc78ELc84ELc76ELb0ELb0E19rocblas_complex_numIdEPKS1_S3_PS1_EviT_T9_T10_S5_lS7_S5_lS6_T11_S5_li.kd
    .uniform_work_group_size: 1
    .uses_dynamic_stack: false
    .vgpr_count:     56
    .vgpr_spill_count: 0
    .wavefront_size: 32
    .workgroup_processor_mode: 1
  - .args:
      - .offset:         0
        .size:           4
        .value_kind:     by_value
      - .offset:         4
        .size:           4
        .value_kind:     by_value
      - .address_space:  global
        .offset:         8
        .size:           8
        .value_kind:     global_buffer
      - .address_space:  global
        .offset:         16
        .size:           8
        .value_kind:     global_buffer
      - .offset:         24
        .size:           4
        .value_kind:     by_value
      - .offset:         32
        .size:           8
        .value_kind:     by_value
      - .address_space:  global
        .offset:         40
        .size:           8
        .value_kind:     global_buffer
      - .offset:         48
        .size:           4
        .value_kind:     by_value
      - .offset:         56
        .size:           8
        .value_kind:     by_value
      - .address_space:  global
        .offset:         64
        .size:           8
        .value_kind:     global_buffer
      - .address_space:  global
        .offset:         72
        .size:           8
        .value_kind:     global_buffer
      - .offset:         80
        .size:           4
        .value_kind:     by_value
      - .offset:         88
        .size:           8
        .value_kind:     by_value
      - .offset:         96
        .size:           4
        .value_kind:     by_value
    .group_segment_fixed_size: 8192
    .kernarg_segment_align: 8
    .kernarg_segment_size: 100
    .language:       OpenCL C
    .language_version:
      - 2
      - 0
    .max_flat_workgroup_size: 256
    .name:           _ZL29rocblas_internal_gemmt_kernelIiLi16ELi32ELi8ELc78ELc67ELc76ELb0ELb1E19rocblas_complex_numIdEPKS1_S3_PS1_EviT_T9_T10_S5_lS7_S5_lS6_T11_S5_li
    .private_segment_fixed_size: 0
    .sgpr_count:     37
    .sgpr_spill_count: 0
    .symbol:         _ZL29rocblas_internal_gemmt_kernelIiLi16ELi32ELi8ELc78ELc67ELc76ELb0ELb1E19rocblas_complex_numIdEPKS1_S3_PS1_EviT_T9_T10_S5_lS7_S5_lS6_T11_S5_li.kd
    .uniform_work_group_size: 1
    .uses_dynamic_stack: false
    .vgpr_count:     127
    .vgpr_spill_count: 0
    .wavefront_size: 32
    .workgroup_processor_mode: 1
  - .args:
      - .offset:         0
        .size:           4
        .value_kind:     by_value
      - .offset:         4
        .size:           4
        .value_kind:     by_value
      - .address_space:  global
        .offset:         8
        .size:           8
        .value_kind:     global_buffer
      - .address_space:  global
        .offset:         16
        .size:           8
        .value_kind:     global_buffer
      - .offset:         24
        .size:           4
        .value_kind:     by_value
      - .offset:         32
        .size:           8
        .value_kind:     by_value
      - .address_space:  global
        .offset:         40
        .size:           8
        .value_kind:     global_buffer
      - .offset:         48
        .size:           4
        .value_kind:     by_value
      - .offset:         56
        .size:           8
        .value_kind:     by_value
      - .address_space:  global
        .offset:         64
        .size:           8
        .value_kind:     global_buffer
      - .address_space:  global
        .offset:         72
        .size:           8
        .value_kind:     global_buffer
      - .offset:         80
        .size:           4
        .value_kind:     by_value
      - .offset:         88
        .size:           8
        .value_kind:     by_value
      - .offset:         96
        .size:           4
        .value_kind:     by_value
    .group_segment_fixed_size: 8192
    .kernarg_segment_align: 8
    .kernarg_segment_size: 100
    .language:       OpenCL C
    .language_version:
      - 2
      - 0
    .max_flat_workgroup_size: 256
    .name:           _ZL29rocblas_internal_gemmt_kernelIiLi16ELi32ELi8ELc84ELc78ELc76ELb0ELb0E19rocblas_complex_numIdEPKS1_S3_PS1_EviT_T9_T10_S5_lS7_S5_lS6_T11_S5_li
    .private_segment_fixed_size: 0
    .sgpr_count:     32
    .sgpr_spill_count: 0
    .symbol:         _ZL29rocblas_internal_gemmt_kernelIiLi16ELi32ELi8ELc84ELc78ELc76ELb0ELb0E19rocblas_complex_numIdEPKS1_S3_PS1_EviT_T9_T10_S5_lS7_S5_lS6_T11_S5_li.kd
    .uniform_work_group_size: 1
    .uses_dynamic_stack: false
    .vgpr_count:     56
    .vgpr_spill_count: 0
    .wavefront_size: 32
    .workgroup_processor_mode: 1
  - .args:
      - .offset:         0
        .size:           4
        .value_kind:     by_value
      - .offset:         4
        .size:           4
        .value_kind:     by_value
      - .address_space:  global
        .offset:         8
        .size:           8
        .value_kind:     global_buffer
      - .address_space:  global
        .offset:         16
        .size:           8
        .value_kind:     global_buffer
      - .offset:         24
        .size:           4
        .value_kind:     by_value
      - .offset:         32
        .size:           8
        .value_kind:     by_value
      - .address_space:  global
        .offset:         40
        .size:           8
        .value_kind:     global_buffer
      - .offset:         48
        .size:           4
        .value_kind:     by_value
      - .offset:         56
        .size:           8
        .value_kind:     by_value
      - .address_space:  global
        .offset:         64
        .size:           8
        .value_kind:     global_buffer
      - .address_space:  global
        .offset:         72
        .size:           8
        .value_kind:     global_buffer
      - .offset:         80
        .size:           4
        .value_kind:     by_value
      - .offset:         88
        .size:           8
        .value_kind:     by_value
      - .offset:         96
        .size:           4
        .value_kind:     by_value
    .group_segment_fixed_size: 8192
    .kernarg_segment_align: 8
    .kernarg_segment_size: 100
    .language:       OpenCL C
    .language_version:
      - 2
      - 0
    .max_flat_workgroup_size: 256
    .name:           _ZL29rocblas_internal_gemmt_kernelIiLi16ELi32ELi8ELc84ELc84ELc76ELb0ELb0E19rocblas_complex_numIdEPKS1_S3_PS1_EviT_T9_T10_S5_lS7_S5_lS6_T11_S5_li
    .private_segment_fixed_size: 0
    .sgpr_count:     33
    .sgpr_spill_count: 0
    .symbol:         _ZL29rocblas_internal_gemmt_kernelIiLi16ELi32ELi8ELc84ELc84ELc76ELb0ELb0E19rocblas_complex_numIdEPKS1_S3_PS1_EviT_T9_T10_S5_lS7_S5_lS6_T11_S5_li.kd
    .uniform_work_group_size: 1
    .uses_dynamic_stack: false
    .vgpr_count:     56
    .vgpr_spill_count: 0
    .wavefront_size: 32
    .workgroup_processor_mode: 1
  - .args:
      - .offset:         0
        .size:           4
        .value_kind:     by_value
      - .offset:         4
        .size:           4
        .value_kind:     by_value
      - .address_space:  global
        .offset:         8
        .size:           8
        .value_kind:     global_buffer
      - .address_space:  global
        .offset:         16
        .size:           8
        .value_kind:     global_buffer
      - .offset:         24
        .size:           4
        .value_kind:     by_value
      - .offset:         32
        .size:           8
        .value_kind:     by_value
      - .address_space:  global
        .offset:         40
        .size:           8
        .value_kind:     global_buffer
      - .offset:         48
        .size:           4
        .value_kind:     by_value
      - .offset:         56
        .size:           8
        .value_kind:     by_value
      - .address_space:  global
        .offset:         64
        .size:           8
        .value_kind:     global_buffer
      - .address_space:  global
        .offset:         72
        .size:           8
        .value_kind:     global_buffer
      - .offset:         80
        .size:           4
        .value_kind:     by_value
      - .offset:         88
        .size:           8
        .value_kind:     by_value
      - .offset:         96
        .size:           4
        .value_kind:     by_value
    .group_segment_fixed_size: 8192
    .kernarg_segment_align: 8
    .kernarg_segment_size: 100
    .language:       OpenCL C
    .language_version:
      - 2
      - 0
    .max_flat_workgroup_size: 256
    .name:           _ZL29rocblas_internal_gemmt_kernelIiLi16ELi32ELi8ELc84ELc67ELc76ELb0ELb1E19rocblas_complex_numIdEPKS1_S3_PS1_EviT_T9_T10_S5_lS7_S5_lS6_T11_S5_li
    .private_segment_fixed_size: 0
    .sgpr_count:     33
    .sgpr_spill_count: 0
    .symbol:         _ZL29rocblas_internal_gemmt_kernelIiLi16ELi32ELi8ELc84ELc67ELc76ELb0ELb1E19rocblas_complex_numIdEPKS1_S3_PS1_EviT_T9_T10_S5_lS7_S5_lS6_T11_S5_li.kd
    .uniform_work_group_size: 1
    .uses_dynamic_stack: false
    .vgpr_count:     127
    .vgpr_spill_count: 0
    .wavefront_size: 32
    .workgroup_processor_mode: 1
  - .args:
      - .offset:         0
        .size:           4
        .value_kind:     by_value
      - .offset:         4
        .size:           4
        .value_kind:     by_value
      - .address_space:  global
        .offset:         8
        .size:           8
        .value_kind:     global_buffer
      - .address_space:  global
        .offset:         16
        .size:           8
        .value_kind:     global_buffer
      - .offset:         24
        .size:           4
        .value_kind:     by_value
      - .offset:         32
        .size:           8
        .value_kind:     by_value
      - .address_space:  global
        .offset:         40
        .size:           8
        .value_kind:     global_buffer
      - .offset:         48
        .size:           4
        .value_kind:     by_value
      - .offset:         56
        .size:           8
        .value_kind:     by_value
      - .address_space:  global
        .offset:         64
        .size:           8
        .value_kind:     global_buffer
      - .address_space:  global
        .offset:         72
        .size:           8
        .value_kind:     global_buffer
      - .offset:         80
        .size:           4
        .value_kind:     by_value
      - .offset:         88
        .size:           8
        .value_kind:     by_value
      - .offset:         96
        .size:           4
        .value_kind:     by_value
    .group_segment_fixed_size: 8192
    .kernarg_segment_align: 8
    .kernarg_segment_size: 100
    .language:       OpenCL C
    .language_version:
      - 2
      - 0
    .max_flat_workgroup_size: 256
    .name:           _ZL29rocblas_internal_gemmt_kernelIiLi16ELi32ELi8ELc67ELc78ELc76ELb1ELb0E19rocblas_complex_numIdEPKS1_S3_PS1_EviT_T9_T10_S5_lS7_S5_lS6_T11_S5_li
    .private_segment_fixed_size: 0
    .sgpr_count:     32
    .sgpr_spill_count: 0
    .symbol:         _ZL29rocblas_internal_gemmt_kernelIiLi16ELi32ELi8ELc67ELc78ELc76ELb1ELb0E19rocblas_complex_numIdEPKS1_S3_PS1_EviT_T9_T10_S5_lS7_S5_lS6_T11_S5_li.kd
    .uniform_work_group_size: 1
    .uses_dynamic_stack: false
    .vgpr_count:     127
    .vgpr_spill_count: 0
    .wavefront_size: 32
    .workgroup_processor_mode: 1
  - .args:
      - .offset:         0
        .size:           4
        .value_kind:     by_value
      - .offset:         4
        .size:           4
        .value_kind:     by_value
      - .address_space:  global
        .offset:         8
        .size:           8
        .value_kind:     global_buffer
      - .address_space:  global
        .offset:         16
        .size:           8
        .value_kind:     global_buffer
      - .offset:         24
        .size:           4
        .value_kind:     by_value
      - .offset:         32
        .size:           8
        .value_kind:     by_value
      - .address_space:  global
        .offset:         40
        .size:           8
        .value_kind:     global_buffer
      - .offset:         48
        .size:           4
        .value_kind:     by_value
      - .offset:         56
        .size:           8
        .value_kind:     by_value
      - .address_space:  global
        .offset:         64
        .size:           8
        .value_kind:     global_buffer
      - .address_space:  global
        .offset:         72
        .size:           8
        .value_kind:     global_buffer
      - .offset:         80
        .size:           4
        .value_kind:     by_value
      - .offset:         88
        .size:           8
        .value_kind:     by_value
      - .offset:         96
        .size:           4
        .value_kind:     by_value
    .group_segment_fixed_size: 8192
    .kernarg_segment_align: 8
    .kernarg_segment_size: 100
    .language:       OpenCL C
    .language_version:
      - 2
      - 0
    .max_flat_workgroup_size: 256
    .name:           _ZL29rocblas_internal_gemmt_kernelIiLi16ELi32ELi8ELc67ELc84ELc76ELb1ELb0E19rocblas_complex_numIdEPKS1_S3_PS1_EviT_T9_T10_S5_lS7_S5_lS6_T11_S5_li
    .private_segment_fixed_size: 0
    .sgpr_count:     33
    .sgpr_spill_count: 0
    .symbol:         _ZL29rocblas_internal_gemmt_kernelIiLi16ELi32ELi8ELc67ELc84ELc76ELb1ELb0E19rocblas_complex_numIdEPKS1_S3_PS1_EviT_T9_T10_S5_lS7_S5_lS6_T11_S5_li.kd
    .uniform_work_group_size: 1
    .uses_dynamic_stack: false
    .vgpr_count:     127
    .vgpr_spill_count: 0
    .wavefront_size: 32
    .workgroup_processor_mode: 1
  - .args:
      - .offset:         0
        .size:           4
        .value_kind:     by_value
      - .offset:         4
        .size:           4
        .value_kind:     by_value
      - .address_space:  global
        .offset:         8
        .size:           8
        .value_kind:     global_buffer
      - .address_space:  global
        .offset:         16
        .size:           8
        .value_kind:     global_buffer
      - .offset:         24
        .size:           4
        .value_kind:     by_value
      - .offset:         32
        .size:           8
        .value_kind:     by_value
      - .address_space:  global
        .offset:         40
        .size:           8
        .value_kind:     global_buffer
      - .offset:         48
        .size:           4
        .value_kind:     by_value
      - .offset:         56
        .size:           8
        .value_kind:     by_value
      - .address_space:  global
        .offset:         64
        .size:           8
        .value_kind:     global_buffer
      - .address_space:  global
        .offset:         72
        .size:           8
        .value_kind:     global_buffer
      - .offset:         80
        .size:           4
        .value_kind:     by_value
      - .offset:         88
        .size:           8
        .value_kind:     by_value
      - .offset:         96
        .size:           4
        .value_kind:     by_value
    .group_segment_fixed_size: 8192
    .kernarg_segment_align: 8
    .kernarg_segment_size: 100
    .language:       OpenCL C
    .language_version:
      - 2
      - 0
    .max_flat_workgroup_size: 256
    .name:           _ZL29rocblas_internal_gemmt_kernelIiLi16ELi32ELi8ELc67ELc67ELc76ELb1ELb1E19rocblas_complex_numIdEPKS1_S3_PS1_EviT_T9_T10_S5_lS7_S5_lS6_T11_S5_li
    .private_segment_fixed_size: 0
    .sgpr_count:     33
    .sgpr_spill_count: 0
    .symbol:         _ZL29rocblas_internal_gemmt_kernelIiLi16ELi32ELi8ELc67ELc67ELc76ELb1ELb1E19rocblas_complex_numIdEPKS1_S3_PS1_EviT_T9_T10_S5_lS7_S5_lS6_T11_S5_li.kd
    .uniform_work_group_size: 1
    .uses_dynamic_stack: false
    .vgpr_count:     126
    .vgpr_spill_count: 0
    .wavefront_size: 32
    .workgroup_processor_mode: 1
  - .args:
      - .offset:         0
        .size:           4
        .value_kind:     by_value
      - .offset:         4
        .size:           4
        .value_kind:     by_value
      - .offset:         8
        .size:           16
        .value_kind:     by_value
      - .address_space:  global
        .offset:         24
        .size:           8
        .value_kind:     global_buffer
      - .offset:         32
        .size:           4
        .value_kind:     by_value
      - .offset:         40
        .size:           8
        .value_kind:     by_value
      - .address_space:  global
        .offset:         48
        .size:           8
        .value_kind:     global_buffer
      - .offset:         56
        .size:           4
        .value_kind:     by_value
      - .offset:         64
        .size:           8
        .value_kind:     by_value
      - .offset:         72
        .size:           16
        .value_kind:     by_value
      - .address_space:  global
        .offset:         88
        .size:           8
        .value_kind:     global_buffer
      - .offset:         96
        .size:           4
        .value_kind:     by_value
      - .offset:         104
        .size:           8
        .value_kind:     by_value
      - .offset:         112
        .size:           4
        .value_kind:     by_value
    .group_segment_fixed_size: 8192
    .kernarg_segment_align: 8
    .kernarg_segment_size: 116
    .language:       OpenCL C
    .language_version:
      - 2
      - 0
    .max_flat_workgroup_size: 256
    .name:           _ZL29rocblas_internal_gemmt_kernelIiLi16ELi32ELi8ELc78ELc78ELc85ELb0ELb0E19rocblas_complex_numIdES1_PKS1_PS1_EviT_T9_T10_S5_lS7_S5_lS6_T11_S5_li
    .private_segment_fixed_size: 0
    .sgpr_count:     34
    .sgpr_spill_count: 0
    .symbol:         _ZL29rocblas_internal_gemmt_kernelIiLi16ELi32ELi8ELc78ELc78ELc85ELb0ELb0E19rocblas_complex_numIdES1_PKS1_PS1_EviT_T9_T10_S5_lS7_S5_lS6_T11_S5_li.kd
    .uniform_work_group_size: 1
    .uses_dynamic_stack: false
    .vgpr_count:     56
    .vgpr_spill_count: 0
    .wavefront_size: 32
    .workgroup_processor_mode: 1
  - .args:
      - .offset:         0
        .size:           4
        .value_kind:     by_value
      - .offset:         4
        .size:           4
        .value_kind:     by_value
      - .offset:         8
        .size:           16
        .value_kind:     by_value
      - .address_space:  global
        .offset:         24
        .size:           8
        .value_kind:     global_buffer
      - .offset:         32
        .size:           4
        .value_kind:     by_value
      - .offset:         40
        .size:           8
        .value_kind:     by_value
      - .address_space:  global
        .offset:         48
        .size:           8
        .value_kind:     global_buffer
      - .offset:         56
        .size:           4
        .value_kind:     by_value
      - .offset:         64
        .size:           8
        .value_kind:     by_value
      - .offset:         72
        .size:           16
        .value_kind:     by_value
      - .address_space:  global
        .offset:         88
        .size:           8
        .value_kind:     global_buffer
      - .offset:         96
        .size:           4
        .value_kind:     by_value
      - .offset:         104
        .size:           8
        .value_kind:     by_value
      - .offset:         112
        .size:           4
        .value_kind:     by_value
    .group_segment_fixed_size: 8192
    .kernarg_segment_align: 8
    .kernarg_segment_size: 116
    .language:       OpenCL C
    .language_version:
      - 2
      - 0
    .max_flat_workgroup_size: 256
    .name:           _ZL29rocblas_internal_gemmt_kernelIiLi16ELi32ELi8ELc78ELc84ELc85ELb0ELb0E19rocblas_complex_numIdES1_PKS1_PS1_EviT_T9_T10_S5_lS7_S5_lS6_T11_S5_li
    .private_segment_fixed_size: 0
    .sgpr_count:     38
    .sgpr_spill_count: 0
    .symbol:         _ZL29rocblas_internal_gemmt_kernelIiLi16ELi32ELi8ELc78ELc84ELc85ELb0ELb0E19rocblas_complex_numIdES1_PKS1_PS1_EviT_T9_T10_S5_lS7_S5_lS6_T11_S5_li.kd
    .uniform_work_group_size: 1
    .uses_dynamic_stack: false
    .vgpr_count:     56
    .vgpr_spill_count: 0
    .wavefront_size: 32
    .workgroup_processor_mode: 1
  - .args:
      - .offset:         0
        .size:           4
        .value_kind:     by_value
      - .offset:         4
        .size:           4
        .value_kind:     by_value
      - .offset:         8
        .size:           16
        .value_kind:     by_value
      - .address_space:  global
        .offset:         24
        .size:           8
        .value_kind:     global_buffer
      - .offset:         32
        .size:           4
        .value_kind:     by_value
      - .offset:         40
        .size:           8
        .value_kind:     by_value
      - .address_space:  global
        .offset:         48
        .size:           8
        .value_kind:     global_buffer
      - .offset:         56
        .size:           4
        .value_kind:     by_value
      - .offset:         64
        .size:           8
        .value_kind:     by_value
      - .offset:         72
        .size:           16
        .value_kind:     by_value
      - .address_space:  global
        .offset:         88
        .size:           8
        .value_kind:     global_buffer
      - .offset:         96
        .size:           4
        .value_kind:     by_value
      - .offset:         104
        .size:           8
        .value_kind:     by_value
      - .offset:         112
        .size:           4
        .value_kind:     by_value
    .group_segment_fixed_size: 8192
    .kernarg_segment_align: 8
    .kernarg_segment_size: 116
    .language:       OpenCL C
    .language_version:
      - 2
      - 0
    .max_flat_workgroup_size: 256
    .name:           _ZL29rocblas_internal_gemmt_kernelIiLi16ELi32ELi8ELc78ELc67ELc85ELb0ELb1E19rocblas_complex_numIdES1_PKS1_PS1_EviT_T9_T10_S5_lS7_S5_lS6_T11_S5_li
    .private_segment_fixed_size: 0
    .sgpr_count:     38
    .sgpr_spill_count: 0
    .symbol:         _ZL29rocblas_internal_gemmt_kernelIiLi16ELi32ELi8ELc78ELc67ELc85ELb0ELb1E19rocblas_complex_numIdES1_PKS1_PS1_EviT_T9_T10_S5_lS7_S5_lS6_T11_S5_li.kd
    .uniform_work_group_size: 1
    .uses_dynamic_stack: false
    .vgpr_count:     127
    .vgpr_spill_count: 0
    .wavefront_size: 32
    .workgroup_processor_mode: 1
  - .args:
      - .offset:         0
        .size:           4
        .value_kind:     by_value
      - .offset:         4
        .size:           4
        .value_kind:     by_value
      - .offset:         8
        .size:           16
        .value_kind:     by_value
      - .address_space:  global
        .offset:         24
        .size:           8
        .value_kind:     global_buffer
      - .offset:         32
        .size:           4
        .value_kind:     by_value
      - .offset:         40
        .size:           8
        .value_kind:     by_value
      - .address_space:  global
        .offset:         48
        .size:           8
        .value_kind:     global_buffer
      - .offset:         56
        .size:           4
        .value_kind:     by_value
      - .offset:         64
        .size:           8
        .value_kind:     by_value
      - .offset:         72
        .size:           16
        .value_kind:     by_value
      - .address_space:  global
        .offset:         88
        .size:           8
        .value_kind:     global_buffer
      - .offset:         96
        .size:           4
        .value_kind:     by_value
      - .offset:         104
        .size:           8
        .value_kind:     by_value
      - .offset:         112
        .size:           4
        .value_kind:     by_value
    .group_segment_fixed_size: 8192
    .kernarg_segment_align: 8
    .kernarg_segment_size: 116
    .language:       OpenCL C
    .language_version:
      - 2
      - 0
    .max_flat_workgroup_size: 256
    .name:           _ZL29rocblas_internal_gemmt_kernelIiLi16ELi32ELi8ELc84ELc78ELc85ELb0ELb0E19rocblas_complex_numIdES1_PKS1_PS1_EviT_T9_T10_S5_lS7_S5_lS6_T11_S5_li
    .private_segment_fixed_size: 0
    .sgpr_count:     32
    .sgpr_spill_count: 0
    .symbol:         _ZL29rocblas_internal_gemmt_kernelIiLi16ELi32ELi8ELc84ELc78ELc85ELb0ELb0E19rocblas_complex_numIdES1_PKS1_PS1_EviT_T9_T10_S5_lS7_S5_lS6_T11_S5_li.kd
    .uniform_work_group_size: 1
    .uses_dynamic_stack: false
    .vgpr_count:     56
    .vgpr_spill_count: 0
    .wavefront_size: 32
    .workgroup_processor_mode: 1
  - .args:
      - .offset:         0
        .size:           4
        .value_kind:     by_value
      - .offset:         4
        .size:           4
        .value_kind:     by_value
      - .offset:         8
        .size:           16
        .value_kind:     by_value
      - .address_space:  global
        .offset:         24
        .size:           8
        .value_kind:     global_buffer
      - .offset:         32
        .size:           4
        .value_kind:     by_value
      - .offset:         40
        .size:           8
        .value_kind:     by_value
      - .address_space:  global
        .offset:         48
        .size:           8
        .value_kind:     global_buffer
      - .offset:         56
        .size:           4
        .value_kind:     by_value
      - .offset:         64
        .size:           8
        .value_kind:     by_value
      - .offset:         72
        .size:           16
        .value_kind:     by_value
      - .address_space:  global
        .offset:         88
        .size:           8
        .value_kind:     global_buffer
      - .offset:         96
        .size:           4
        .value_kind:     by_value
      - .offset:         104
        .size:           8
        .value_kind:     by_value
      - .offset:         112
        .size:           4
        .value_kind:     by_value
    .group_segment_fixed_size: 8192
    .kernarg_segment_align: 8
    .kernarg_segment_size: 116
    .language:       OpenCL C
    .language_version:
      - 2
      - 0
    .max_flat_workgroup_size: 256
    .name:           _ZL29rocblas_internal_gemmt_kernelIiLi16ELi32ELi8ELc84ELc84ELc85ELb0ELb0E19rocblas_complex_numIdES1_PKS1_PS1_EviT_T9_T10_S5_lS7_S5_lS6_T11_S5_li
    .private_segment_fixed_size: 0
    .sgpr_count:     34
    .sgpr_spill_count: 0
    .symbol:         _ZL29rocblas_internal_gemmt_kernelIiLi16ELi32ELi8ELc84ELc84ELc85ELb0ELb0E19rocblas_complex_numIdES1_PKS1_PS1_EviT_T9_T10_S5_lS7_S5_lS6_T11_S5_li.kd
    .uniform_work_group_size: 1
    .uses_dynamic_stack: false
    .vgpr_count:     56
    .vgpr_spill_count: 0
    .wavefront_size: 32
    .workgroup_processor_mode: 1
  - .args:
      - .offset:         0
        .size:           4
        .value_kind:     by_value
      - .offset:         4
        .size:           4
        .value_kind:     by_value
      - .offset:         8
        .size:           16
        .value_kind:     by_value
      - .address_space:  global
        .offset:         24
        .size:           8
        .value_kind:     global_buffer
      - .offset:         32
        .size:           4
        .value_kind:     by_value
      - .offset:         40
        .size:           8
        .value_kind:     by_value
      - .address_space:  global
        .offset:         48
        .size:           8
        .value_kind:     global_buffer
      - .offset:         56
        .size:           4
        .value_kind:     by_value
      - .offset:         64
        .size:           8
        .value_kind:     by_value
      - .offset:         72
        .size:           16
        .value_kind:     by_value
      - .address_space:  global
        .offset:         88
        .size:           8
        .value_kind:     global_buffer
      - .offset:         96
        .size:           4
        .value_kind:     by_value
      - .offset:         104
        .size:           8
        .value_kind:     by_value
      - .offset:         112
        .size:           4
        .value_kind:     by_value
    .group_segment_fixed_size: 8192
    .kernarg_segment_align: 8
    .kernarg_segment_size: 116
    .language:       OpenCL C
    .language_version:
      - 2
      - 0
    .max_flat_workgroup_size: 256
    .name:           _ZL29rocblas_internal_gemmt_kernelIiLi16ELi32ELi8ELc84ELc67ELc85ELb0ELb1E19rocblas_complex_numIdES1_PKS1_PS1_EviT_T9_T10_S5_lS7_S5_lS6_T11_S5_li
    .private_segment_fixed_size: 0
    .sgpr_count:     34
    .sgpr_spill_count: 0
    .symbol:         _ZL29rocblas_internal_gemmt_kernelIiLi16ELi32ELi8ELc84ELc67ELc85ELb0ELb1E19rocblas_complex_numIdES1_PKS1_PS1_EviT_T9_T10_S5_lS7_S5_lS6_T11_S5_li.kd
    .uniform_work_group_size: 1
    .uses_dynamic_stack: false
    .vgpr_count:     127
    .vgpr_spill_count: 0
    .wavefront_size: 32
    .workgroup_processor_mode: 1
  - .args:
      - .offset:         0
        .size:           4
        .value_kind:     by_value
      - .offset:         4
        .size:           4
        .value_kind:     by_value
      - .offset:         8
        .size:           16
        .value_kind:     by_value
      - .address_space:  global
        .offset:         24
        .size:           8
        .value_kind:     global_buffer
      - .offset:         32
        .size:           4
        .value_kind:     by_value
      - .offset:         40
        .size:           8
        .value_kind:     by_value
      - .address_space:  global
        .offset:         48
        .size:           8
        .value_kind:     global_buffer
      - .offset:         56
        .size:           4
        .value_kind:     by_value
      - .offset:         64
        .size:           8
        .value_kind:     by_value
      - .offset:         72
        .size:           16
        .value_kind:     by_value
      - .address_space:  global
        .offset:         88
        .size:           8
        .value_kind:     global_buffer
      - .offset:         96
        .size:           4
        .value_kind:     by_value
      - .offset:         104
        .size:           8
        .value_kind:     by_value
      - .offset:         112
        .size:           4
        .value_kind:     by_value
    .group_segment_fixed_size: 8192
    .kernarg_segment_align: 8
    .kernarg_segment_size: 116
    .language:       OpenCL C
    .language_version:
      - 2
      - 0
    .max_flat_workgroup_size: 256
    .name:           _ZL29rocblas_internal_gemmt_kernelIiLi16ELi32ELi8ELc67ELc78ELc85ELb1ELb0E19rocblas_complex_numIdES1_PKS1_PS1_EviT_T9_T10_S5_lS7_S5_lS6_T11_S5_li
    .private_segment_fixed_size: 0
    .sgpr_count:     32
    .sgpr_spill_count: 0
    .symbol:         _ZL29rocblas_internal_gemmt_kernelIiLi16ELi32ELi8ELc67ELc78ELc85ELb1ELb0E19rocblas_complex_numIdES1_PKS1_PS1_EviT_T9_T10_S5_lS7_S5_lS6_T11_S5_li.kd
    .uniform_work_group_size: 1
    .uses_dynamic_stack: false
    .vgpr_count:     127
    .vgpr_spill_count: 0
    .wavefront_size: 32
    .workgroup_processor_mode: 1
  - .args:
      - .offset:         0
        .size:           4
        .value_kind:     by_value
      - .offset:         4
        .size:           4
        .value_kind:     by_value
      - .offset:         8
        .size:           16
        .value_kind:     by_value
      - .address_space:  global
        .offset:         24
        .size:           8
        .value_kind:     global_buffer
      - .offset:         32
        .size:           4
        .value_kind:     by_value
      - .offset:         40
        .size:           8
        .value_kind:     by_value
      - .address_space:  global
        .offset:         48
        .size:           8
        .value_kind:     global_buffer
      - .offset:         56
        .size:           4
        .value_kind:     by_value
      - .offset:         64
        .size:           8
        .value_kind:     by_value
      - .offset:         72
        .size:           16
        .value_kind:     by_value
      - .address_space:  global
        .offset:         88
        .size:           8
        .value_kind:     global_buffer
      - .offset:         96
        .size:           4
        .value_kind:     by_value
      - .offset:         104
        .size:           8
        .value_kind:     by_value
      - .offset:         112
        .size:           4
        .value_kind:     by_value
    .group_segment_fixed_size: 8192
    .kernarg_segment_align: 8
    .kernarg_segment_size: 116
    .language:       OpenCL C
    .language_version:
      - 2
      - 0
    .max_flat_workgroup_size: 256
    .name:           _ZL29rocblas_internal_gemmt_kernelIiLi16ELi32ELi8ELc67ELc84ELc85ELb1ELb0E19rocblas_complex_numIdES1_PKS1_PS1_EviT_T9_T10_S5_lS7_S5_lS6_T11_S5_li
    .private_segment_fixed_size: 0
    .sgpr_count:     34
    .sgpr_spill_count: 0
    .symbol:         _ZL29rocblas_internal_gemmt_kernelIiLi16ELi32ELi8ELc67ELc84ELc85ELb1ELb0E19rocblas_complex_numIdES1_PKS1_PS1_EviT_T9_T10_S5_lS7_S5_lS6_T11_S5_li.kd
    .uniform_work_group_size: 1
    .uses_dynamic_stack: false
    .vgpr_count:     127
    .vgpr_spill_count: 0
    .wavefront_size: 32
    .workgroup_processor_mode: 1
  - .args:
      - .offset:         0
        .size:           4
        .value_kind:     by_value
      - .offset:         4
        .size:           4
        .value_kind:     by_value
      - .offset:         8
        .size:           16
        .value_kind:     by_value
      - .address_space:  global
        .offset:         24
        .size:           8
        .value_kind:     global_buffer
      - .offset:         32
        .size:           4
        .value_kind:     by_value
      - .offset:         40
        .size:           8
        .value_kind:     by_value
      - .address_space:  global
        .offset:         48
        .size:           8
        .value_kind:     global_buffer
      - .offset:         56
        .size:           4
        .value_kind:     by_value
      - .offset:         64
        .size:           8
        .value_kind:     by_value
      - .offset:         72
        .size:           16
        .value_kind:     by_value
      - .address_space:  global
        .offset:         88
        .size:           8
        .value_kind:     global_buffer
      - .offset:         96
        .size:           4
        .value_kind:     by_value
      - .offset:         104
        .size:           8
        .value_kind:     by_value
      - .offset:         112
        .size:           4
        .value_kind:     by_value
    .group_segment_fixed_size: 8192
    .kernarg_segment_align: 8
    .kernarg_segment_size: 116
    .language:       OpenCL C
    .language_version:
      - 2
      - 0
    .max_flat_workgroup_size: 256
    .name:           _ZL29rocblas_internal_gemmt_kernelIiLi16ELi32ELi8ELc67ELc67ELc85ELb1ELb1E19rocblas_complex_numIdES1_PKS1_PS1_EviT_T9_T10_S5_lS7_S5_lS6_T11_S5_li
    .private_segment_fixed_size: 0
    .sgpr_count:     34
    .sgpr_spill_count: 0
    .symbol:         _ZL29rocblas_internal_gemmt_kernelIiLi16ELi32ELi8ELc67ELc67ELc85ELb1ELb1E19rocblas_complex_numIdES1_PKS1_PS1_EviT_T9_T10_S5_lS7_S5_lS6_T11_S5_li.kd
    .uniform_work_group_size: 1
    .uses_dynamic_stack: false
    .vgpr_count:     126
    .vgpr_spill_count: 0
    .wavefront_size: 32
    .workgroup_processor_mode: 1
  - .args:
      - .offset:         0
        .size:           4
        .value_kind:     by_value
      - .offset:         4
        .size:           4
        .value_kind:     by_value
      - .offset:         8
        .size:           16
        .value_kind:     by_value
      - .address_space:  global
        .offset:         24
        .size:           8
        .value_kind:     global_buffer
      - .offset:         32
        .size:           4
        .value_kind:     by_value
      - .offset:         40
        .size:           8
        .value_kind:     by_value
      - .address_space:  global
        .offset:         48
        .size:           8
        .value_kind:     global_buffer
      - .offset:         56
        .size:           4
        .value_kind:     by_value
      - .offset:         64
        .size:           8
        .value_kind:     by_value
      - .offset:         72
        .size:           16
        .value_kind:     by_value
      - .address_space:  global
        .offset:         88
        .size:           8
        .value_kind:     global_buffer
      - .offset:         96
        .size:           4
        .value_kind:     by_value
      - .offset:         104
        .size:           8
        .value_kind:     by_value
      - .offset:         112
        .size:           4
        .value_kind:     by_value
    .group_segment_fixed_size: 8192
    .kernarg_segment_align: 8
    .kernarg_segment_size: 116
    .language:       OpenCL C
    .language_version:
      - 2
      - 0
    .max_flat_workgroup_size: 256
    .name:           _ZL29rocblas_internal_gemmt_kernelIiLi16ELi32ELi8ELc78ELc78ELc76ELb0ELb0E19rocblas_complex_numIdES1_PKS1_PS1_EviT_T9_T10_S5_lS7_S5_lS6_T11_S5_li
    .private_segment_fixed_size: 0
    .sgpr_count:     34
    .sgpr_spill_count: 0
    .symbol:         _ZL29rocblas_internal_gemmt_kernelIiLi16ELi32ELi8ELc78ELc78ELc76ELb0ELb0E19rocblas_complex_numIdES1_PKS1_PS1_EviT_T9_T10_S5_lS7_S5_lS6_T11_S5_li.kd
    .uniform_work_group_size: 1
    .uses_dynamic_stack: false
    .vgpr_count:     56
    .vgpr_spill_count: 0
    .wavefront_size: 32
    .workgroup_processor_mode: 1
  - .args:
      - .offset:         0
        .size:           4
        .value_kind:     by_value
      - .offset:         4
        .size:           4
        .value_kind:     by_value
      - .offset:         8
        .size:           16
        .value_kind:     by_value
      - .address_space:  global
        .offset:         24
        .size:           8
        .value_kind:     global_buffer
      - .offset:         32
        .size:           4
        .value_kind:     by_value
      - .offset:         40
        .size:           8
        .value_kind:     by_value
      - .address_space:  global
        .offset:         48
        .size:           8
        .value_kind:     global_buffer
      - .offset:         56
        .size:           4
        .value_kind:     by_value
      - .offset:         64
        .size:           8
        .value_kind:     by_value
      - .offset:         72
        .size:           16
        .value_kind:     by_value
      - .address_space:  global
        .offset:         88
        .size:           8
        .value_kind:     global_buffer
      - .offset:         96
        .size:           4
        .value_kind:     by_value
      - .offset:         104
        .size:           8
        .value_kind:     by_value
      - .offset:         112
        .size:           4
        .value_kind:     by_value
    .group_segment_fixed_size: 8192
    .kernarg_segment_align: 8
    .kernarg_segment_size: 116
    .language:       OpenCL C
    .language_version:
      - 2
      - 0
    .max_flat_workgroup_size: 256
    .name:           _ZL29rocblas_internal_gemmt_kernelIiLi16ELi32ELi8ELc78ELc84ELc76ELb0ELb0E19rocblas_complex_numIdES1_PKS1_PS1_EviT_T9_T10_S5_lS7_S5_lS6_T11_S5_li
    .private_segment_fixed_size: 0
    .sgpr_count:     38
    .sgpr_spill_count: 0
    .symbol:         _ZL29rocblas_internal_gemmt_kernelIiLi16ELi32ELi8ELc78ELc84ELc76ELb0ELb0E19rocblas_complex_numIdES1_PKS1_PS1_EviT_T9_T10_S5_lS7_S5_lS6_T11_S5_li.kd
    .uniform_work_group_size: 1
    .uses_dynamic_stack: false
    .vgpr_count:     56
    .vgpr_spill_count: 0
    .wavefront_size: 32
    .workgroup_processor_mode: 1
  - .args:
      - .offset:         0
        .size:           4
        .value_kind:     by_value
      - .offset:         4
        .size:           4
        .value_kind:     by_value
      - .offset:         8
        .size:           16
        .value_kind:     by_value
      - .address_space:  global
        .offset:         24
        .size:           8
        .value_kind:     global_buffer
      - .offset:         32
        .size:           4
        .value_kind:     by_value
      - .offset:         40
        .size:           8
        .value_kind:     by_value
      - .address_space:  global
        .offset:         48
        .size:           8
        .value_kind:     global_buffer
      - .offset:         56
        .size:           4
        .value_kind:     by_value
      - .offset:         64
        .size:           8
        .value_kind:     by_value
      - .offset:         72
        .size:           16
        .value_kind:     by_value
      - .address_space:  global
        .offset:         88
        .size:           8
        .value_kind:     global_buffer
      - .offset:         96
        .size:           4
        .value_kind:     by_value
      - .offset:         104
        .size:           8
        .value_kind:     by_value
      - .offset:         112
        .size:           4
        .value_kind:     by_value
    .group_segment_fixed_size: 8192
    .kernarg_segment_align: 8
    .kernarg_segment_size: 116
    .language:       OpenCL C
    .language_version:
      - 2
      - 0
    .max_flat_workgroup_size: 256
    .name:           _ZL29rocblas_internal_gemmt_kernelIiLi16ELi32ELi8ELc78ELc67ELc76ELb0ELb1E19rocblas_complex_numIdES1_PKS1_PS1_EviT_T9_T10_S5_lS7_S5_lS6_T11_S5_li
    .private_segment_fixed_size: 0
    .sgpr_count:     38
    .sgpr_spill_count: 0
    .symbol:         _ZL29rocblas_internal_gemmt_kernelIiLi16ELi32ELi8ELc78ELc67ELc76ELb0ELb1E19rocblas_complex_numIdES1_PKS1_PS1_EviT_T9_T10_S5_lS7_S5_lS6_T11_S5_li.kd
    .uniform_work_group_size: 1
    .uses_dynamic_stack: false
    .vgpr_count:     127
    .vgpr_spill_count: 0
    .wavefront_size: 32
    .workgroup_processor_mode: 1
  - .args:
      - .offset:         0
        .size:           4
        .value_kind:     by_value
      - .offset:         4
        .size:           4
        .value_kind:     by_value
      - .offset:         8
        .size:           16
        .value_kind:     by_value
      - .address_space:  global
        .offset:         24
        .size:           8
        .value_kind:     global_buffer
      - .offset:         32
        .size:           4
        .value_kind:     by_value
      - .offset:         40
        .size:           8
        .value_kind:     by_value
      - .address_space:  global
        .offset:         48
        .size:           8
        .value_kind:     global_buffer
      - .offset:         56
        .size:           4
        .value_kind:     by_value
      - .offset:         64
        .size:           8
        .value_kind:     by_value
      - .offset:         72
        .size:           16
        .value_kind:     by_value
      - .address_space:  global
        .offset:         88
        .size:           8
        .value_kind:     global_buffer
      - .offset:         96
        .size:           4
        .value_kind:     by_value
      - .offset:         104
        .size:           8
        .value_kind:     by_value
      - .offset:         112
        .size:           4
        .value_kind:     by_value
    .group_segment_fixed_size: 8192
    .kernarg_segment_align: 8
    .kernarg_segment_size: 116
    .language:       OpenCL C
    .language_version:
      - 2
      - 0
    .max_flat_workgroup_size: 256
    .name:           _ZL29rocblas_internal_gemmt_kernelIiLi16ELi32ELi8ELc84ELc78ELc76ELb0ELb0E19rocblas_complex_numIdES1_PKS1_PS1_EviT_T9_T10_S5_lS7_S5_lS6_T11_S5_li
    .private_segment_fixed_size: 0
    .sgpr_count:     32
    .sgpr_spill_count: 0
    .symbol:         _ZL29rocblas_internal_gemmt_kernelIiLi16ELi32ELi8ELc84ELc78ELc76ELb0ELb0E19rocblas_complex_numIdES1_PKS1_PS1_EviT_T9_T10_S5_lS7_S5_lS6_T11_S5_li.kd
    .uniform_work_group_size: 1
    .uses_dynamic_stack: false
    .vgpr_count:     56
    .vgpr_spill_count: 0
    .wavefront_size: 32
    .workgroup_processor_mode: 1
  - .args:
      - .offset:         0
        .size:           4
        .value_kind:     by_value
      - .offset:         4
        .size:           4
        .value_kind:     by_value
      - .offset:         8
        .size:           16
        .value_kind:     by_value
      - .address_space:  global
        .offset:         24
        .size:           8
        .value_kind:     global_buffer
      - .offset:         32
        .size:           4
        .value_kind:     by_value
      - .offset:         40
        .size:           8
        .value_kind:     by_value
      - .address_space:  global
        .offset:         48
        .size:           8
        .value_kind:     global_buffer
      - .offset:         56
        .size:           4
        .value_kind:     by_value
      - .offset:         64
        .size:           8
        .value_kind:     by_value
      - .offset:         72
        .size:           16
        .value_kind:     by_value
      - .address_space:  global
        .offset:         88
        .size:           8
        .value_kind:     global_buffer
      - .offset:         96
        .size:           4
        .value_kind:     by_value
      - .offset:         104
        .size:           8
        .value_kind:     by_value
      - .offset:         112
        .size:           4
        .value_kind:     by_value
    .group_segment_fixed_size: 8192
    .kernarg_segment_align: 8
    .kernarg_segment_size: 116
    .language:       OpenCL C
    .language_version:
      - 2
      - 0
    .max_flat_workgroup_size: 256
    .name:           _ZL29rocblas_internal_gemmt_kernelIiLi16ELi32ELi8ELc84ELc84ELc76ELb0ELb0E19rocblas_complex_numIdES1_PKS1_PS1_EviT_T9_T10_S5_lS7_S5_lS6_T11_S5_li
    .private_segment_fixed_size: 0
    .sgpr_count:     34
    .sgpr_spill_count: 0
    .symbol:         _ZL29rocblas_internal_gemmt_kernelIiLi16ELi32ELi8ELc84ELc84ELc76ELb0ELb0E19rocblas_complex_numIdES1_PKS1_PS1_EviT_T9_T10_S5_lS7_S5_lS6_T11_S5_li.kd
    .uniform_work_group_size: 1
    .uses_dynamic_stack: false
    .vgpr_count:     56
    .vgpr_spill_count: 0
    .wavefront_size: 32
    .workgroup_processor_mode: 1
  - .args:
      - .offset:         0
        .size:           4
        .value_kind:     by_value
      - .offset:         4
        .size:           4
        .value_kind:     by_value
      - .offset:         8
        .size:           16
        .value_kind:     by_value
      - .address_space:  global
        .offset:         24
        .size:           8
        .value_kind:     global_buffer
      - .offset:         32
        .size:           4
        .value_kind:     by_value
      - .offset:         40
        .size:           8
        .value_kind:     by_value
      - .address_space:  global
        .offset:         48
        .size:           8
        .value_kind:     global_buffer
      - .offset:         56
        .size:           4
        .value_kind:     by_value
      - .offset:         64
        .size:           8
        .value_kind:     by_value
      - .offset:         72
        .size:           16
        .value_kind:     by_value
      - .address_space:  global
        .offset:         88
        .size:           8
        .value_kind:     global_buffer
      - .offset:         96
        .size:           4
        .value_kind:     by_value
      - .offset:         104
        .size:           8
        .value_kind:     by_value
      - .offset:         112
        .size:           4
        .value_kind:     by_value
    .group_segment_fixed_size: 8192
    .kernarg_segment_align: 8
    .kernarg_segment_size: 116
    .language:       OpenCL C
    .language_version:
      - 2
      - 0
    .max_flat_workgroup_size: 256
    .name:           _ZL29rocblas_internal_gemmt_kernelIiLi16ELi32ELi8ELc84ELc67ELc76ELb0ELb1E19rocblas_complex_numIdES1_PKS1_PS1_EviT_T9_T10_S5_lS7_S5_lS6_T11_S5_li
    .private_segment_fixed_size: 0
    .sgpr_count:     34
    .sgpr_spill_count: 0
    .symbol:         _ZL29rocblas_internal_gemmt_kernelIiLi16ELi32ELi8ELc84ELc67ELc76ELb0ELb1E19rocblas_complex_numIdES1_PKS1_PS1_EviT_T9_T10_S5_lS7_S5_lS6_T11_S5_li.kd
    .uniform_work_group_size: 1
    .uses_dynamic_stack: false
    .vgpr_count:     127
    .vgpr_spill_count: 0
    .wavefront_size: 32
    .workgroup_processor_mode: 1
  - .args:
      - .offset:         0
        .size:           4
        .value_kind:     by_value
      - .offset:         4
        .size:           4
        .value_kind:     by_value
      - .offset:         8
        .size:           16
        .value_kind:     by_value
      - .address_space:  global
        .offset:         24
        .size:           8
        .value_kind:     global_buffer
      - .offset:         32
        .size:           4
        .value_kind:     by_value
      - .offset:         40
        .size:           8
        .value_kind:     by_value
      - .address_space:  global
        .offset:         48
        .size:           8
        .value_kind:     global_buffer
      - .offset:         56
        .size:           4
        .value_kind:     by_value
      - .offset:         64
        .size:           8
        .value_kind:     by_value
      - .offset:         72
        .size:           16
        .value_kind:     by_value
      - .address_space:  global
        .offset:         88
        .size:           8
        .value_kind:     global_buffer
      - .offset:         96
        .size:           4
        .value_kind:     by_value
      - .offset:         104
        .size:           8
        .value_kind:     by_value
      - .offset:         112
        .size:           4
        .value_kind:     by_value
    .group_segment_fixed_size: 8192
    .kernarg_segment_align: 8
    .kernarg_segment_size: 116
    .language:       OpenCL C
    .language_version:
      - 2
      - 0
    .max_flat_workgroup_size: 256
    .name:           _ZL29rocblas_internal_gemmt_kernelIiLi16ELi32ELi8ELc67ELc78ELc76ELb1ELb0E19rocblas_complex_numIdES1_PKS1_PS1_EviT_T9_T10_S5_lS7_S5_lS6_T11_S5_li
    .private_segment_fixed_size: 0
    .sgpr_count:     32
    .sgpr_spill_count: 0
    .symbol:         _ZL29rocblas_internal_gemmt_kernelIiLi16ELi32ELi8ELc67ELc78ELc76ELb1ELb0E19rocblas_complex_numIdES1_PKS1_PS1_EviT_T9_T10_S5_lS7_S5_lS6_T11_S5_li.kd
    .uniform_work_group_size: 1
    .uses_dynamic_stack: false
    .vgpr_count:     127
    .vgpr_spill_count: 0
    .wavefront_size: 32
    .workgroup_processor_mode: 1
  - .args:
      - .offset:         0
        .size:           4
        .value_kind:     by_value
      - .offset:         4
        .size:           4
        .value_kind:     by_value
      - .offset:         8
        .size:           16
        .value_kind:     by_value
      - .address_space:  global
        .offset:         24
        .size:           8
        .value_kind:     global_buffer
      - .offset:         32
        .size:           4
        .value_kind:     by_value
      - .offset:         40
        .size:           8
        .value_kind:     by_value
      - .address_space:  global
        .offset:         48
        .size:           8
        .value_kind:     global_buffer
      - .offset:         56
        .size:           4
        .value_kind:     by_value
      - .offset:         64
        .size:           8
        .value_kind:     by_value
      - .offset:         72
        .size:           16
        .value_kind:     by_value
      - .address_space:  global
        .offset:         88
        .size:           8
        .value_kind:     global_buffer
      - .offset:         96
        .size:           4
        .value_kind:     by_value
      - .offset:         104
        .size:           8
        .value_kind:     by_value
      - .offset:         112
        .size:           4
        .value_kind:     by_value
    .group_segment_fixed_size: 8192
    .kernarg_segment_align: 8
    .kernarg_segment_size: 116
    .language:       OpenCL C
    .language_version:
      - 2
      - 0
    .max_flat_workgroup_size: 256
    .name:           _ZL29rocblas_internal_gemmt_kernelIiLi16ELi32ELi8ELc67ELc84ELc76ELb1ELb0E19rocblas_complex_numIdES1_PKS1_PS1_EviT_T9_T10_S5_lS7_S5_lS6_T11_S5_li
    .private_segment_fixed_size: 0
    .sgpr_count:     34
    .sgpr_spill_count: 0
    .symbol:         _ZL29rocblas_internal_gemmt_kernelIiLi16ELi32ELi8ELc67ELc84ELc76ELb1ELb0E19rocblas_complex_numIdES1_PKS1_PS1_EviT_T9_T10_S5_lS7_S5_lS6_T11_S5_li.kd
    .uniform_work_group_size: 1
    .uses_dynamic_stack: false
    .vgpr_count:     127
    .vgpr_spill_count: 0
    .wavefront_size: 32
    .workgroup_processor_mode: 1
  - .args:
      - .offset:         0
        .size:           4
        .value_kind:     by_value
      - .offset:         4
        .size:           4
        .value_kind:     by_value
      - .offset:         8
        .size:           16
        .value_kind:     by_value
      - .address_space:  global
        .offset:         24
        .size:           8
        .value_kind:     global_buffer
      - .offset:         32
        .size:           4
        .value_kind:     by_value
      - .offset:         40
        .size:           8
        .value_kind:     by_value
      - .address_space:  global
        .offset:         48
        .size:           8
        .value_kind:     global_buffer
      - .offset:         56
        .size:           4
        .value_kind:     by_value
      - .offset:         64
        .size:           8
        .value_kind:     by_value
      - .offset:         72
        .size:           16
        .value_kind:     by_value
      - .address_space:  global
        .offset:         88
        .size:           8
        .value_kind:     global_buffer
      - .offset:         96
        .size:           4
        .value_kind:     by_value
      - .offset:         104
        .size:           8
        .value_kind:     by_value
      - .offset:         112
        .size:           4
        .value_kind:     by_value
    .group_segment_fixed_size: 8192
    .kernarg_segment_align: 8
    .kernarg_segment_size: 116
    .language:       OpenCL C
    .language_version:
      - 2
      - 0
    .max_flat_workgroup_size: 256
    .name:           _ZL29rocblas_internal_gemmt_kernelIiLi16ELi32ELi8ELc67ELc67ELc76ELb1ELb1E19rocblas_complex_numIdES1_PKS1_PS1_EviT_T9_T10_S5_lS7_S5_lS6_T11_S5_li
    .private_segment_fixed_size: 0
    .sgpr_count:     34
    .sgpr_spill_count: 0
    .symbol:         _ZL29rocblas_internal_gemmt_kernelIiLi16ELi32ELi8ELc67ELc67ELc76ELb1ELb1E19rocblas_complex_numIdES1_PKS1_PS1_EviT_T9_T10_S5_lS7_S5_lS6_T11_S5_li.kd
    .uniform_work_group_size: 1
    .uses_dynamic_stack: false
    .vgpr_count:     126
    .vgpr_spill_count: 0
    .wavefront_size: 32
    .workgroup_processor_mode: 1
  - .args:
      - .offset:         0
        .size:           4
        .value_kind:     by_value
      - .offset:         8
        .size:           8
        .value_kind:     by_value
      - .address_space:  global
        .offset:         16
        .size:           8
        .value_kind:     global_buffer
      - .address_space:  global
        .offset:         24
        .size:           8
        .value_kind:     global_buffer
      - .offset:         32
        .size:           8
        .value_kind:     by_value
      - .offset:         40
        .size:           8
        .value_kind:     by_value
      - .address_space:  global
        .offset:         48
        .size:           8
        .value_kind:     global_buffer
      - .offset:         56
        .size:           8
        .value_kind:     by_value
      - .offset:         64
        .size:           8
        .value_kind:     by_value
      - .address_space:  global
        .offset:         72
        .size:           8
        .value_kind:     global_buffer
      - .address_space:  global
        .offset:         80
        .size:           8
        .value_kind:     global_buffer
      - .offset:         88
        .size:           8
        .value_kind:     by_value
      - .offset:         96
        .size:           8
        .value_kind:     by_value
      - .offset:         104
        .size:           4
        .value_kind:     by_value
    .group_segment_fixed_size: 2048
    .kernarg_segment_align: 8
    .kernarg_segment_size: 108
    .language:       OpenCL C
    .language_version:
      - 2
      - 0
    .max_flat_workgroup_size: 256
    .name:           _ZL29rocblas_internal_gemmt_kernelIlLi16ELi32ELi8ELc78ELc78ELc85ELb0ELb0EfPKfS1_PfEviT_T9_T10_S3_lS5_S3_lS4_T11_S3_li
    .private_segment_fixed_size: 0
    .sgpr_count:     46
    .sgpr_spill_count: 0
    .symbol:         _ZL29rocblas_internal_gemmt_kernelIlLi16ELi32ELi8ELc78ELc78ELc85ELb0ELb0EfPKfS1_PfEviT_T9_T10_S3_lS5_S3_lS4_T11_S3_li.kd
    .uniform_work_group_size: 1
    .uses_dynamic_stack: false
    .vgpr_count:     46
    .vgpr_spill_count: 0
    .wavefront_size: 32
    .workgroup_processor_mode: 1
  - .args:
      - .offset:         0
        .size:           4
        .value_kind:     by_value
      - .offset:         8
        .size:           8
        .value_kind:     by_value
      - .address_space:  global
        .offset:         16
        .size:           8
        .value_kind:     global_buffer
      - .address_space:  global
        .offset:         24
        .size:           8
        .value_kind:     global_buffer
      - .offset:         32
        .size:           8
        .value_kind:     by_value
      - .offset:         40
        .size:           8
        .value_kind:     by_value
      - .address_space:  global
        .offset:         48
        .size:           8
        .value_kind:     global_buffer
      - .offset:         56
        .size:           8
        .value_kind:     by_value
      - .offset:         64
        .size:           8
        .value_kind:     by_value
      - .address_space:  global
        .offset:         72
        .size:           8
        .value_kind:     global_buffer
      - .address_space:  global
        .offset:         80
        .size:           8
        .value_kind:     global_buffer
      - .offset:         88
        .size:           8
        .value_kind:     by_value
      - .offset:         96
        .size:           8
        .value_kind:     by_value
      - .offset:         104
        .size:           4
        .value_kind:     by_value
    .group_segment_fixed_size: 2048
    .kernarg_segment_align: 8
    .kernarg_segment_size: 108
    .language:       OpenCL C
    .language_version:
      - 2
      - 0
    .max_flat_workgroup_size: 256
    .name:           _ZL29rocblas_internal_gemmt_kernelIlLi16ELi32ELi8ELc78ELc84ELc85ELb0ELb0EfPKfS1_PfEviT_T9_T10_S3_lS5_S3_lS4_T11_S3_li
    .private_segment_fixed_size: 0
    .sgpr_count:     46
    .sgpr_spill_count: 0
    .symbol:         _ZL29rocblas_internal_gemmt_kernelIlLi16ELi32ELi8ELc78ELc84ELc85ELb0ELb0EfPKfS1_PfEviT_T9_T10_S3_lS5_S3_lS4_T11_S3_li.kd
    .uniform_work_group_size: 1
    .uses_dynamic_stack: false
    .vgpr_count:     46
    .vgpr_spill_count: 0
    .wavefront_size: 32
    .workgroup_processor_mode: 1
  - .args:
      - .offset:         0
        .size:           4
        .value_kind:     by_value
      - .offset:         8
        .size:           8
        .value_kind:     by_value
      - .address_space:  global
        .offset:         16
        .size:           8
        .value_kind:     global_buffer
      - .address_space:  global
        .offset:         24
        .size:           8
        .value_kind:     global_buffer
      - .offset:         32
        .size:           8
        .value_kind:     by_value
      - .offset:         40
        .size:           8
        .value_kind:     by_value
      - .address_space:  global
        .offset:         48
        .size:           8
        .value_kind:     global_buffer
      - .offset:         56
        .size:           8
        .value_kind:     by_value
      - .offset:         64
        .size:           8
        .value_kind:     by_value
      - .address_space:  global
        .offset:         72
        .size:           8
        .value_kind:     global_buffer
      - .address_space:  global
        .offset:         80
        .size:           8
        .value_kind:     global_buffer
      - .offset:         88
        .size:           8
        .value_kind:     by_value
      - .offset:         96
        .size:           8
        .value_kind:     by_value
      - .offset:         104
        .size:           4
        .value_kind:     by_value
    .group_segment_fixed_size: 2048
    .kernarg_segment_align: 8
    .kernarg_segment_size: 108
    .language:       OpenCL C
    .language_version:
      - 2
      - 0
    .max_flat_workgroup_size: 256
    .name:           _ZL29rocblas_internal_gemmt_kernelIlLi16ELi32ELi8ELc78ELc67ELc85ELb0ELb0EfPKfS1_PfEviT_T9_T10_S3_lS5_S3_lS4_T11_S3_li
    .private_segment_fixed_size: 0
    .sgpr_count:     46
    .sgpr_spill_count: 0
    .symbol:         _ZL29rocblas_internal_gemmt_kernelIlLi16ELi32ELi8ELc78ELc67ELc85ELb0ELb0EfPKfS1_PfEviT_T9_T10_S3_lS5_S3_lS4_T11_S3_li.kd
    .uniform_work_group_size: 1
    .uses_dynamic_stack: false
    .vgpr_count:     46
    .vgpr_spill_count: 0
    .wavefront_size: 32
    .workgroup_processor_mode: 1
  - .args:
      - .offset:         0
        .size:           4
        .value_kind:     by_value
      - .offset:         8
        .size:           8
        .value_kind:     by_value
      - .address_space:  global
        .offset:         16
        .size:           8
        .value_kind:     global_buffer
      - .address_space:  global
        .offset:         24
        .size:           8
        .value_kind:     global_buffer
      - .offset:         32
        .size:           8
        .value_kind:     by_value
      - .offset:         40
        .size:           8
        .value_kind:     by_value
      - .address_space:  global
        .offset:         48
        .size:           8
        .value_kind:     global_buffer
      - .offset:         56
        .size:           8
        .value_kind:     by_value
      - .offset:         64
        .size:           8
        .value_kind:     by_value
      - .address_space:  global
        .offset:         72
        .size:           8
        .value_kind:     global_buffer
      - .address_space:  global
        .offset:         80
        .size:           8
        .value_kind:     global_buffer
      - .offset:         88
        .size:           8
        .value_kind:     by_value
      - .offset:         96
        .size:           8
        .value_kind:     by_value
      - .offset:         104
        .size:           4
        .value_kind:     by_value
    .group_segment_fixed_size: 2048
    .kernarg_segment_align: 8
    .kernarg_segment_size: 108
    .language:       OpenCL C
    .language_version:
      - 2
      - 0
    .max_flat_workgroup_size: 256
    .name:           _ZL29rocblas_internal_gemmt_kernelIlLi16ELi32ELi8ELc84ELc78ELc85ELb0ELb0EfPKfS1_PfEviT_T9_T10_S3_lS5_S3_lS4_T11_S3_li
    .private_segment_fixed_size: 0
    .sgpr_count:     46
    .sgpr_spill_count: 0
    .symbol:         _ZL29rocblas_internal_gemmt_kernelIlLi16ELi32ELi8ELc84ELc78ELc85ELb0ELb0EfPKfS1_PfEviT_T9_T10_S3_lS5_S3_lS4_T11_S3_li.kd
    .uniform_work_group_size: 1
    .uses_dynamic_stack: false
    .vgpr_count:     46
    .vgpr_spill_count: 0
    .wavefront_size: 32
    .workgroup_processor_mode: 1
  - .args:
      - .offset:         0
        .size:           4
        .value_kind:     by_value
      - .offset:         8
        .size:           8
        .value_kind:     by_value
      - .address_space:  global
        .offset:         16
        .size:           8
        .value_kind:     global_buffer
      - .address_space:  global
        .offset:         24
        .size:           8
        .value_kind:     global_buffer
      - .offset:         32
        .size:           8
        .value_kind:     by_value
      - .offset:         40
        .size:           8
        .value_kind:     by_value
      - .address_space:  global
        .offset:         48
        .size:           8
        .value_kind:     global_buffer
      - .offset:         56
        .size:           8
        .value_kind:     by_value
      - .offset:         64
        .size:           8
        .value_kind:     by_value
      - .address_space:  global
        .offset:         72
        .size:           8
        .value_kind:     global_buffer
      - .address_space:  global
        .offset:         80
        .size:           8
        .value_kind:     global_buffer
      - .offset:         88
        .size:           8
        .value_kind:     by_value
      - .offset:         96
        .size:           8
        .value_kind:     by_value
      - .offset:         104
        .size:           4
        .value_kind:     by_value
    .group_segment_fixed_size: 2048
    .kernarg_segment_align: 8
    .kernarg_segment_size: 108
    .language:       OpenCL C
    .language_version:
      - 2
      - 0
    .max_flat_workgroup_size: 256
    .name:           _ZL29rocblas_internal_gemmt_kernelIlLi16ELi32ELi8ELc84ELc84ELc85ELb0ELb0EfPKfS1_PfEviT_T9_T10_S3_lS5_S3_lS4_T11_S3_li
    .private_segment_fixed_size: 0
    .sgpr_count:     46
    .sgpr_spill_count: 0
    .symbol:         _ZL29rocblas_internal_gemmt_kernelIlLi16ELi32ELi8ELc84ELc84ELc85ELb0ELb0EfPKfS1_PfEviT_T9_T10_S3_lS5_S3_lS4_T11_S3_li.kd
    .uniform_work_group_size: 1
    .uses_dynamic_stack: false
    .vgpr_count:     46
    .vgpr_spill_count: 0
    .wavefront_size: 32
    .workgroup_processor_mode: 1
  - .args:
      - .offset:         0
        .size:           4
        .value_kind:     by_value
      - .offset:         8
        .size:           8
        .value_kind:     by_value
      - .address_space:  global
        .offset:         16
        .size:           8
        .value_kind:     global_buffer
      - .address_space:  global
        .offset:         24
        .size:           8
        .value_kind:     global_buffer
      - .offset:         32
        .size:           8
        .value_kind:     by_value
      - .offset:         40
        .size:           8
        .value_kind:     by_value
      - .address_space:  global
        .offset:         48
        .size:           8
        .value_kind:     global_buffer
      - .offset:         56
        .size:           8
        .value_kind:     by_value
      - .offset:         64
        .size:           8
        .value_kind:     by_value
      - .address_space:  global
        .offset:         72
        .size:           8
        .value_kind:     global_buffer
      - .address_space:  global
        .offset:         80
        .size:           8
        .value_kind:     global_buffer
      - .offset:         88
        .size:           8
        .value_kind:     by_value
      - .offset:         96
        .size:           8
        .value_kind:     by_value
      - .offset:         104
        .size:           4
        .value_kind:     by_value
    .group_segment_fixed_size: 2048
    .kernarg_segment_align: 8
    .kernarg_segment_size: 108
    .language:       OpenCL C
    .language_version:
      - 2
      - 0
    .max_flat_workgroup_size: 256
    .name:           _ZL29rocblas_internal_gemmt_kernelIlLi16ELi32ELi8ELc84ELc67ELc85ELb0ELb0EfPKfS1_PfEviT_T9_T10_S3_lS5_S3_lS4_T11_S3_li
    .private_segment_fixed_size: 0
    .sgpr_count:     46
    .sgpr_spill_count: 0
    .symbol:         _ZL29rocblas_internal_gemmt_kernelIlLi16ELi32ELi8ELc84ELc67ELc85ELb0ELb0EfPKfS1_PfEviT_T9_T10_S3_lS5_S3_lS4_T11_S3_li.kd
    .uniform_work_group_size: 1
    .uses_dynamic_stack: false
    .vgpr_count:     46
    .vgpr_spill_count: 0
    .wavefront_size: 32
    .workgroup_processor_mode: 1
  - .args:
      - .offset:         0
        .size:           4
        .value_kind:     by_value
      - .offset:         8
        .size:           8
        .value_kind:     by_value
      - .address_space:  global
        .offset:         16
        .size:           8
        .value_kind:     global_buffer
      - .address_space:  global
        .offset:         24
        .size:           8
        .value_kind:     global_buffer
      - .offset:         32
        .size:           8
        .value_kind:     by_value
      - .offset:         40
        .size:           8
        .value_kind:     by_value
      - .address_space:  global
        .offset:         48
        .size:           8
        .value_kind:     global_buffer
      - .offset:         56
        .size:           8
        .value_kind:     by_value
      - .offset:         64
        .size:           8
        .value_kind:     by_value
      - .address_space:  global
        .offset:         72
        .size:           8
        .value_kind:     global_buffer
      - .address_space:  global
        .offset:         80
        .size:           8
        .value_kind:     global_buffer
      - .offset:         88
        .size:           8
        .value_kind:     by_value
      - .offset:         96
        .size:           8
        .value_kind:     by_value
      - .offset:         104
        .size:           4
        .value_kind:     by_value
    .group_segment_fixed_size: 2048
    .kernarg_segment_align: 8
    .kernarg_segment_size: 108
    .language:       OpenCL C
    .language_version:
      - 2
      - 0
    .max_flat_workgroup_size: 256
    .name:           _ZL29rocblas_internal_gemmt_kernelIlLi16ELi32ELi8ELc67ELc78ELc85ELb0ELb0EfPKfS1_PfEviT_T9_T10_S3_lS5_S3_lS4_T11_S3_li
    .private_segment_fixed_size: 0
    .sgpr_count:     46
    .sgpr_spill_count: 0
    .symbol:         _ZL29rocblas_internal_gemmt_kernelIlLi16ELi32ELi8ELc67ELc78ELc85ELb0ELb0EfPKfS1_PfEviT_T9_T10_S3_lS5_S3_lS4_T11_S3_li.kd
    .uniform_work_group_size: 1
    .uses_dynamic_stack: false
    .vgpr_count:     46
    .vgpr_spill_count: 0
    .wavefront_size: 32
    .workgroup_processor_mode: 1
  - .args:
      - .offset:         0
        .size:           4
        .value_kind:     by_value
      - .offset:         8
        .size:           8
        .value_kind:     by_value
      - .address_space:  global
        .offset:         16
        .size:           8
        .value_kind:     global_buffer
      - .address_space:  global
        .offset:         24
        .size:           8
        .value_kind:     global_buffer
      - .offset:         32
        .size:           8
        .value_kind:     by_value
      - .offset:         40
        .size:           8
        .value_kind:     by_value
      - .address_space:  global
        .offset:         48
        .size:           8
        .value_kind:     global_buffer
      - .offset:         56
        .size:           8
        .value_kind:     by_value
      - .offset:         64
        .size:           8
        .value_kind:     by_value
      - .address_space:  global
        .offset:         72
        .size:           8
        .value_kind:     global_buffer
      - .address_space:  global
        .offset:         80
        .size:           8
        .value_kind:     global_buffer
      - .offset:         88
        .size:           8
        .value_kind:     by_value
      - .offset:         96
        .size:           8
        .value_kind:     by_value
      - .offset:         104
        .size:           4
        .value_kind:     by_value
    .group_segment_fixed_size: 2048
    .kernarg_segment_align: 8
    .kernarg_segment_size: 108
    .language:       OpenCL C
    .language_version:
      - 2
      - 0
    .max_flat_workgroup_size: 256
    .name:           _ZL29rocblas_internal_gemmt_kernelIlLi16ELi32ELi8ELc67ELc84ELc85ELb0ELb0EfPKfS1_PfEviT_T9_T10_S3_lS5_S3_lS4_T11_S3_li
    .private_segment_fixed_size: 0
    .sgpr_count:     46
    .sgpr_spill_count: 0
    .symbol:         _ZL29rocblas_internal_gemmt_kernelIlLi16ELi32ELi8ELc67ELc84ELc85ELb0ELb0EfPKfS1_PfEviT_T9_T10_S3_lS5_S3_lS4_T11_S3_li.kd
    .uniform_work_group_size: 1
    .uses_dynamic_stack: false
    .vgpr_count:     46
    .vgpr_spill_count: 0
    .wavefront_size: 32
    .workgroup_processor_mode: 1
  - .args:
      - .offset:         0
        .size:           4
        .value_kind:     by_value
      - .offset:         8
        .size:           8
        .value_kind:     by_value
      - .address_space:  global
        .offset:         16
        .size:           8
        .value_kind:     global_buffer
      - .address_space:  global
        .offset:         24
        .size:           8
        .value_kind:     global_buffer
      - .offset:         32
        .size:           8
        .value_kind:     by_value
      - .offset:         40
        .size:           8
        .value_kind:     by_value
      - .address_space:  global
        .offset:         48
        .size:           8
        .value_kind:     global_buffer
      - .offset:         56
        .size:           8
        .value_kind:     by_value
      - .offset:         64
        .size:           8
        .value_kind:     by_value
      - .address_space:  global
        .offset:         72
        .size:           8
        .value_kind:     global_buffer
      - .address_space:  global
        .offset:         80
        .size:           8
        .value_kind:     global_buffer
      - .offset:         88
        .size:           8
        .value_kind:     by_value
      - .offset:         96
        .size:           8
        .value_kind:     by_value
      - .offset:         104
        .size:           4
        .value_kind:     by_value
    .group_segment_fixed_size: 2048
    .kernarg_segment_align: 8
    .kernarg_segment_size: 108
    .language:       OpenCL C
    .language_version:
      - 2
      - 0
    .max_flat_workgroup_size: 256
    .name:           _ZL29rocblas_internal_gemmt_kernelIlLi16ELi32ELi8ELc67ELc67ELc85ELb0ELb0EfPKfS1_PfEviT_T9_T10_S3_lS5_S3_lS4_T11_S3_li
    .private_segment_fixed_size: 0
    .sgpr_count:     46
    .sgpr_spill_count: 0
    .symbol:         _ZL29rocblas_internal_gemmt_kernelIlLi16ELi32ELi8ELc67ELc67ELc85ELb0ELb0EfPKfS1_PfEviT_T9_T10_S3_lS5_S3_lS4_T11_S3_li.kd
    .uniform_work_group_size: 1
    .uses_dynamic_stack: false
    .vgpr_count:     46
    .vgpr_spill_count: 0
    .wavefront_size: 32
    .workgroup_processor_mode: 1
  - .args:
      - .offset:         0
        .size:           4
        .value_kind:     by_value
      - .offset:         8
        .size:           8
        .value_kind:     by_value
      - .address_space:  global
        .offset:         16
        .size:           8
        .value_kind:     global_buffer
      - .address_space:  global
        .offset:         24
        .size:           8
        .value_kind:     global_buffer
      - .offset:         32
        .size:           8
        .value_kind:     by_value
      - .offset:         40
        .size:           8
        .value_kind:     by_value
      - .address_space:  global
        .offset:         48
        .size:           8
        .value_kind:     global_buffer
      - .offset:         56
        .size:           8
        .value_kind:     by_value
      - .offset:         64
        .size:           8
        .value_kind:     by_value
      - .address_space:  global
        .offset:         72
        .size:           8
        .value_kind:     global_buffer
      - .address_space:  global
        .offset:         80
        .size:           8
        .value_kind:     global_buffer
      - .offset:         88
        .size:           8
        .value_kind:     by_value
      - .offset:         96
        .size:           8
        .value_kind:     by_value
      - .offset:         104
        .size:           4
        .value_kind:     by_value
    .group_segment_fixed_size: 2048
    .kernarg_segment_align: 8
    .kernarg_segment_size: 108
    .language:       OpenCL C
    .language_version:
      - 2
      - 0
    .max_flat_workgroup_size: 256
    .name:           _ZL29rocblas_internal_gemmt_kernelIlLi16ELi32ELi8ELc78ELc78ELc76ELb0ELb0EfPKfS1_PfEviT_T9_T10_S3_lS5_S3_lS4_T11_S3_li
    .private_segment_fixed_size: 0
    .sgpr_count:     46
    .sgpr_spill_count: 0
    .symbol:         _ZL29rocblas_internal_gemmt_kernelIlLi16ELi32ELi8ELc78ELc78ELc76ELb0ELb0EfPKfS1_PfEviT_T9_T10_S3_lS5_S3_lS4_T11_S3_li.kd
    .uniform_work_group_size: 1
    .uses_dynamic_stack: false
    .vgpr_count:     46
    .vgpr_spill_count: 0
    .wavefront_size: 32
    .workgroup_processor_mode: 1
  - .args:
      - .offset:         0
        .size:           4
        .value_kind:     by_value
      - .offset:         8
        .size:           8
        .value_kind:     by_value
      - .address_space:  global
        .offset:         16
        .size:           8
        .value_kind:     global_buffer
      - .address_space:  global
        .offset:         24
        .size:           8
        .value_kind:     global_buffer
      - .offset:         32
        .size:           8
        .value_kind:     by_value
      - .offset:         40
        .size:           8
        .value_kind:     by_value
      - .address_space:  global
        .offset:         48
        .size:           8
        .value_kind:     global_buffer
      - .offset:         56
        .size:           8
        .value_kind:     by_value
      - .offset:         64
        .size:           8
        .value_kind:     by_value
      - .address_space:  global
        .offset:         72
        .size:           8
        .value_kind:     global_buffer
      - .address_space:  global
        .offset:         80
        .size:           8
        .value_kind:     global_buffer
      - .offset:         88
        .size:           8
        .value_kind:     by_value
      - .offset:         96
        .size:           8
        .value_kind:     by_value
      - .offset:         104
        .size:           4
        .value_kind:     by_value
    .group_segment_fixed_size: 2048
    .kernarg_segment_align: 8
    .kernarg_segment_size: 108
    .language:       OpenCL C
    .language_version:
      - 2
      - 0
    .max_flat_workgroup_size: 256
    .name:           _ZL29rocblas_internal_gemmt_kernelIlLi16ELi32ELi8ELc78ELc84ELc76ELb0ELb0EfPKfS1_PfEviT_T9_T10_S3_lS5_S3_lS4_T11_S3_li
    .private_segment_fixed_size: 0
    .sgpr_count:     46
    .sgpr_spill_count: 0
    .symbol:         _ZL29rocblas_internal_gemmt_kernelIlLi16ELi32ELi8ELc78ELc84ELc76ELb0ELb0EfPKfS1_PfEviT_T9_T10_S3_lS5_S3_lS4_T11_S3_li.kd
    .uniform_work_group_size: 1
    .uses_dynamic_stack: false
    .vgpr_count:     46
    .vgpr_spill_count: 0
    .wavefront_size: 32
    .workgroup_processor_mode: 1
  - .args:
      - .offset:         0
        .size:           4
        .value_kind:     by_value
      - .offset:         8
        .size:           8
        .value_kind:     by_value
      - .address_space:  global
        .offset:         16
        .size:           8
        .value_kind:     global_buffer
      - .address_space:  global
        .offset:         24
        .size:           8
        .value_kind:     global_buffer
      - .offset:         32
        .size:           8
        .value_kind:     by_value
      - .offset:         40
        .size:           8
        .value_kind:     by_value
      - .address_space:  global
        .offset:         48
        .size:           8
        .value_kind:     global_buffer
      - .offset:         56
        .size:           8
        .value_kind:     by_value
      - .offset:         64
        .size:           8
        .value_kind:     by_value
      - .address_space:  global
        .offset:         72
        .size:           8
        .value_kind:     global_buffer
      - .address_space:  global
        .offset:         80
        .size:           8
        .value_kind:     global_buffer
      - .offset:         88
        .size:           8
        .value_kind:     by_value
      - .offset:         96
        .size:           8
        .value_kind:     by_value
      - .offset:         104
        .size:           4
        .value_kind:     by_value
    .group_segment_fixed_size: 2048
    .kernarg_segment_align: 8
    .kernarg_segment_size: 108
    .language:       OpenCL C
    .language_version:
      - 2
      - 0
    .max_flat_workgroup_size: 256
    .name:           _ZL29rocblas_internal_gemmt_kernelIlLi16ELi32ELi8ELc78ELc67ELc76ELb0ELb0EfPKfS1_PfEviT_T9_T10_S3_lS5_S3_lS4_T11_S3_li
    .private_segment_fixed_size: 0
    .sgpr_count:     46
    .sgpr_spill_count: 0
    .symbol:         _ZL29rocblas_internal_gemmt_kernelIlLi16ELi32ELi8ELc78ELc67ELc76ELb0ELb0EfPKfS1_PfEviT_T9_T10_S3_lS5_S3_lS4_T11_S3_li.kd
    .uniform_work_group_size: 1
    .uses_dynamic_stack: false
    .vgpr_count:     46
    .vgpr_spill_count: 0
    .wavefront_size: 32
    .workgroup_processor_mode: 1
  - .args:
      - .offset:         0
        .size:           4
        .value_kind:     by_value
      - .offset:         8
        .size:           8
        .value_kind:     by_value
      - .address_space:  global
        .offset:         16
        .size:           8
        .value_kind:     global_buffer
      - .address_space:  global
        .offset:         24
        .size:           8
        .value_kind:     global_buffer
      - .offset:         32
        .size:           8
        .value_kind:     by_value
      - .offset:         40
        .size:           8
        .value_kind:     by_value
      - .address_space:  global
        .offset:         48
        .size:           8
        .value_kind:     global_buffer
      - .offset:         56
        .size:           8
        .value_kind:     by_value
      - .offset:         64
        .size:           8
        .value_kind:     by_value
      - .address_space:  global
        .offset:         72
        .size:           8
        .value_kind:     global_buffer
      - .address_space:  global
        .offset:         80
        .size:           8
        .value_kind:     global_buffer
      - .offset:         88
        .size:           8
        .value_kind:     by_value
      - .offset:         96
        .size:           8
        .value_kind:     by_value
      - .offset:         104
        .size:           4
        .value_kind:     by_value
    .group_segment_fixed_size: 2048
    .kernarg_segment_align: 8
    .kernarg_segment_size: 108
    .language:       OpenCL C
    .language_version:
      - 2
      - 0
    .max_flat_workgroup_size: 256
    .name:           _ZL29rocblas_internal_gemmt_kernelIlLi16ELi32ELi8ELc84ELc78ELc76ELb0ELb0EfPKfS1_PfEviT_T9_T10_S3_lS5_S3_lS4_T11_S3_li
    .private_segment_fixed_size: 0
    .sgpr_count:     46
    .sgpr_spill_count: 0
    .symbol:         _ZL29rocblas_internal_gemmt_kernelIlLi16ELi32ELi8ELc84ELc78ELc76ELb0ELb0EfPKfS1_PfEviT_T9_T10_S3_lS5_S3_lS4_T11_S3_li.kd
    .uniform_work_group_size: 1
    .uses_dynamic_stack: false
    .vgpr_count:     46
    .vgpr_spill_count: 0
    .wavefront_size: 32
    .workgroup_processor_mode: 1
  - .args:
      - .offset:         0
        .size:           4
        .value_kind:     by_value
      - .offset:         8
        .size:           8
        .value_kind:     by_value
      - .address_space:  global
        .offset:         16
        .size:           8
        .value_kind:     global_buffer
      - .address_space:  global
        .offset:         24
        .size:           8
        .value_kind:     global_buffer
      - .offset:         32
        .size:           8
        .value_kind:     by_value
      - .offset:         40
        .size:           8
        .value_kind:     by_value
      - .address_space:  global
        .offset:         48
        .size:           8
        .value_kind:     global_buffer
      - .offset:         56
        .size:           8
        .value_kind:     by_value
      - .offset:         64
        .size:           8
        .value_kind:     by_value
      - .address_space:  global
        .offset:         72
        .size:           8
        .value_kind:     global_buffer
      - .address_space:  global
        .offset:         80
        .size:           8
        .value_kind:     global_buffer
      - .offset:         88
        .size:           8
        .value_kind:     by_value
      - .offset:         96
        .size:           8
        .value_kind:     by_value
      - .offset:         104
        .size:           4
        .value_kind:     by_value
    .group_segment_fixed_size: 2048
    .kernarg_segment_align: 8
    .kernarg_segment_size: 108
    .language:       OpenCL C
    .language_version:
      - 2
      - 0
    .max_flat_workgroup_size: 256
    .name:           _ZL29rocblas_internal_gemmt_kernelIlLi16ELi32ELi8ELc84ELc84ELc76ELb0ELb0EfPKfS1_PfEviT_T9_T10_S3_lS5_S3_lS4_T11_S3_li
    .private_segment_fixed_size: 0
    .sgpr_count:     46
    .sgpr_spill_count: 0
    .symbol:         _ZL29rocblas_internal_gemmt_kernelIlLi16ELi32ELi8ELc84ELc84ELc76ELb0ELb0EfPKfS1_PfEviT_T9_T10_S3_lS5_S3_lS4_T11_S3_li.kd
    .uniform_work_group_size: 1
    .uses_dynamic_stack: false
    .vgpr_count:     46
    .vgpr_spill_count: 0
    .wavefront_size: 32
    .workgroup_processor_mode: 1
  - .args:
      - .offset:         0
        .size:           4
        .value_kind:     by_value
      - .offset:         8
        .size:           8
        .value_kind:     by_value
      - .address_space:  global
        .offset:         16
        .size:           8
        .value_kind:     global_buffer
      - .address_space:  global
        .offset:         24
        .size:           8
        .value_kind:     global_buffer
      - .offset:         32
        .size:           8
        .value_kind:     by_value
      - .offset:         40
        .size:           8
        .value_kind:     by_value
      - .address_space:  global
        .offset:         48
        .size:           8
        .value_kind:     global_buffer
      - .offset:         56
        .size:           8
        .value_kind:     by_value
      - .offset:         64
        .size:           8
        .value_kind:     by_value
      - .address_space:  global
        .offset:         72
        .size:           8
        .value_kind:     global_buffer
      - .address_space:  global
        .offset:         80
        .size:           8
        .value_kind:     global_buffer
      - .offset:         88
        .size:           8
        .value_kind:     by_value
      - .offset:         96
        .size:           8
        .value_kind:     by_value
      - .offset:         104
        .size:           4
        .value_kind:     by_value
    .group_segment_fixed_size: 2048
    .kernarg_segment_align: 8
    .kernarg_segment_size: 108
    .language:       OpenCL C
    .language_version:
      - 2
      - 0
    .max_flat_workgroup_size: 256
    .name:           _ZL29rocblas_internal_gemmt_kernelIlLi16ELi32ELi8ELc84ELc67ELc76ELb0ELb0EfPKfS1_PfEviT_T9_T10_S3_lS5_S3_lS4_T11_S3_li
    .private_segment_fixed_size: 0
    .sgpr_count:     46
    .sgpr_spill_count: 0
    .symbol:         _ZL29rocblas_internal_gemmt_kernelIlLi16ELi32ELi8ELc84ELc67ELc76ELb0ELb0EfPKfS1_PfEviT_T9_T10_S3_lS5_S3_lS4_T11_S3_li.kd
    .uniform_work_group_size: 1
    .uses_dynamic_stack: false
    .vgpr_count:     46
    .vgpr_spill_count: 0
    .wavefront_size: 32
    .workgroup_processor_mode: 1
  - .args:
      - .offset:         0
        .size:           4
        .value_kind:     by_value
      - .offset:         8
        .size:           8
        .value_kind:     by_value
      - .address_space:  global
        .offset:         16
        .size:           8
        .value_kind:     global_buffer
      - .address_space:  global
        .offset:         24
        .size:           8
        .value_kind:     global_buffer
      - .offset:         32
        .size:           8
        .value_kind:     by_value
      - .offset:         40
        .size:           8
        .value_kind:     by_value
      - .address_space:  global
        .offset:         48
        .size:           8
        .value_kind:     global_buffer
      - .offset:         56
        .size:           8
        .value_kind:     by_value
      - .offset:         64
        .size:           8
        .value_kind:     by_value
      - .address_space:  global
        .offset:         72
        .size:           8
        .value_kind:     global_buffer
      - .address_space:  global
        .offset:         80
        .size:           8
        .value_kind:     global_buffer
      - .offset:         88
        .size:           8
        .value_kind:     by_value
      - .offset:         96
        .size:           8
        .value_kind:     by_value
      - .offset:         104
        .size:           4
        .value_kind:     by_value
    .group_segment_fixed_size: 2048
    .kernarg_segment_align: 8
    .kernarg_segment_size: 108
    .language:       OpenCL C
    .language_version:
      - 2
      - 0
    .max_flat_workgroup_size: 256
    .name:           _ZL29rocblas_internal_gemmt_kernelIlLi16ELi32ELi8ELc67ELc78ELc76ELb0ELb0EfPKfS1_PfEviT_T9_T10_S3_lS5_S3_lS4_T11_S3_li
    .private_segment_fixed_size: 0
    .sgpr_count:     46
    .sgpr_spill_count: 0
    .symbol:         _ZL29rocblas_internal_gemmt_kernelIlLi16ELi32ELi8ELc67ELc78ELc76ELb0ELb0EfPKfS1_PfEviT_T9_T10_S3_lS5_S3_lS4_T11_S3_li.kd
    .uniform_work_group_size: 1
    .uses_dynamic_stack: false
    .vgpr_count:     46
    .vgpr_spill_count: 0
    .wavefront_size: 32
    .workgroup_processor_mode: 1
  - .args:
      - .offset:         0
        .size:           4
        .value_kind:     by_value
      - .offset:         8
        .size:           8
        .value_kind:     by_value
      - .address_space:  global
        .offset:         16
        .size:           8
        .value_kind:     global_buffer
      - .address_space:  global
        .offset:         24
        .size:           8
        .value_kind:     global_buffer
      - .offset:         32
        .size:           8
        .value_kind:     by_value
      - .offset:         40
        .size:           8
        .value_kind:     by_value
      - .address_space:  global
        .offset:         48
        .size:           8
        .value_kind:     global_buffer
      - .offset:         56
        .size:           8
        .value_kind:     by_value
      - .offset:         64
        .size:           8
        .value_kind:     by_value
      - .address_space:  global
        .offset:         72
        .size:           8
        .value_kind:     global_buffer
      - .address_space:  global
        .offset:         80
        .size:           8
        .value_kind:     global_buffer
      - .offset:         88
        .size:           8
        .value_kind:     by_value
      - .offset:         96
        .size:           8
        .value_kind:     by_value
      - .offset:         104
        .size:           4
        .value_kind:     by_value
    .group_segment_fixed_size: 2048
    .kernarg_segment_align: 8
    .kernarg_segment_size: 108
    .language:       OpenCL C
    .language_version:
      - 2
      - 0
    .max_flat_workgroup_size: 256
    .name:           _ZL29rocblas_internal_gemmt_kernelIlLi16ELi32ELi8ELc67ELc84ELc76ELb0ELb0EfPKfS1_PfEviT_T9_T10_S3_lS5_S3_lS4_T11_S3_li
    .private_segment_fixed_size: 0
    .sgpr_count:     46
    .sgpr_spill_count: 0
    .symbol:         _ZL29rocblas_internal_gemmt_kernelIlLi16ELi32ELi8ELc67ELc84ELc76ELb0ELb0EfPKfS1_PfEviT_T9_T10_S3_lS5_S3_lS4_T11_S3_li.kd
    .uniform_work_group_size: 1
    .uses_dynamic_stack: false
    .vgpr_count:     46
    .vgpr_spill_count: 0
    .wavefront_size: 32
    .workgroup_processor_mode: 1
  - .args:
      - .offset:         0
        .size:           4
        .value_kind:     by_value
      - .offset:         8
        .size:           8
        .value_kind:     by_value
      - .address_space:  global
        .offset:         16
        .size:           8
        .value_kind:     global_buffer
      - .address_space:  global
        .offset:         24
        .size:           8
        .value_kind:     global_buffer
      - .offset:         32
        .size:           8
        .value_kind:     by_value
      - .offset:         40
        .size:           8
        .value_kind:     by_value
      - .address_space:  global
        .offset:         48
        .size:           8
        .value_kind:     global_buffer
      - .offset:         56
        .size:           8
        .value_kind:     by_value
      - .offset:         64
        .size:           8
        .value_kind:     by_value
      - .address_space:  global
        .offset:         72
        .size:           8
        .value_kind:     global_buffer
      - .address_space:  global
        .offset:         80
        .size:           8
        .value_kind:     global_buffer
      - .offset:         88
        .size:           8
        .value_kind:     by_value
      - .offset:         96
        .size:           8
        .value_kind:     by_value
      - .offset:         104
        .size:           4
        .value_kind:     by_value
    .group_segment_fixed_size: 2048
    .kernarg_segment_align: 8
    .kernarg_segment_size: 108
    .language:       OpenCL C
    .language_version:
      - 2
      - 0
    .max_flat_workgroup_size: 256
    .name:           _ZL29rocblas_internal_gemmt_kernelIlLi16ELi32ELi8ELc67ELc67ELc76ELb0ELb0EfPKfS1_PfEviT_T9_T10_S3_lS5_S3_lS4_T11_S3_li
    .private_segment_fixed_size: 0
    .sgpr_count:     46
    .sgpr_spill_count: 0
    .symbol:         _ZL29rocblas_internal_gemmt_kernelIlLi16ELi32ELi8ELc67ELc67ELc76ELb0ELb0EfPKfS1_PfEviT_T9_T10_S3_lS5_S3_lS4_T11_S3_li.kd
    .uniform_work_group_size: 1
    .uses_dynamic_stack: false
    .vgpr_count:     46
    .vgpr_spill_count: 0
    .wavefront_size: 32
    .workgroup_processor_mode: 1
  - .args:
      - .offset:         0
        .size:           4
        .value_kind:     by_value
      - .offset:         8
        .size:           8
        .value_kind:     by_value
      - .offset:         16
        .size:           4
        .value_kind:     by_value
      - .address_space:  global
        .offset:         24
        .size:           8
        .value_kind:     global_buffer
      - .offset:         32
        .size:           8
        .value_kind:     by_value
      - .offset:         40
        .size:           8
        .value_kind:     by_value
      - .address_space:  global
        .offset:         48
        .size:           8
        .value_kind:     global_buffer
      - .offset:         56
        .size:           8
        .value_kind:     by_value
      - .offset:         64
        .size:           8
        .value_kind:     by_value
      - .offset:         72
        .size:           4
        .value_kind:     by_value
      - .address_space:  global
        .offset:         80
        .size:           8
        .value_kind:     global_buffer
      - .offset:         88
        .size:           8
        .value_kind:     by_value
      - .offset:         96
        .size:           8
        .value_kind:     by_value
      - .offset:         104
        .size:           4
        .value_kind:     by_value
    .group_segment_fixed_size: 2048
    .kernarg_segment_align: 8
    .kernarg_segment_size: 108
    .language:       OpenCL C
    .language_version:
      - 2
      - 0
    .max_flat_workgroup_size: 256
    .name:           _ZL29rocblas_internal_gemmt_kernelIlLi16ELi32ELi8ELc78ELc78ELc85ELb0ELb0EffPKfPfEviT_T9_T10_S3_lS5_S3_lS4_T11_S3_li
    .private_segment_fixed_size: 0
    .sgpr_count:     26
    .sgpr_spill_count: 0
    .symbol:         _ZL29rocblas_internal_gemmt_kernelIlLi16ELi32ELi8ELc78ELc78ELc85ELb0ELb0EffPKfPfEviT_T9_T10_S3_lS5_S3_lS4_T11_S3_li.kd
    .uniform_work_group_size: 1
    .uses_dynamic_stack: false
    .vgpr_count:     46
    .vgpr_spill_count: 0
    .wavefront_size: 32
    .workgroup_processor_mode: 1
  - .args:
      - .offset:         0
        .size:           4
        .value_kind:     by_value
      - .offset:         8
        .size:           8
        .value_kind:     by_value
      - .offset:         16
        .size:           4
        .value_kind:     by_value
      - .address_space:  global
        .offset:         24
        .size:           8
        .value_kind:     global_buffer
      - .offset:         32
        .size:           8
        .value_kind:     by_value
      - .offset:         40
        .size:           8
        .value_kind:     by_value
      - .address_space:  global
        .offset:         48
        .size:           8
        .value_kind:     global_buffer
      - .offset:         56
        .size:           8
        .value_kind:     by_value
      - .offset:         64
        .size:           8
        .value_kind:     by_value
      - .offset:         72
        .size:           4
        .value_kind:     by_value
      - .address_space:  global
        .offset:         80
        .size:           8
        .value_kind:     global_buffer
      - .offset:         88
        .size:           8
        .value_kind:     by_value
      - .offset:         96
        .size:           8
        .value_kind:     by_value
      - .offset:         104
        .size:           4
        .value_kind:     by_value
    .group_segment_fixed_size: 2048
    .kernarg_segment_align: 8
    .kernarg_segment_size: 108
    .language:       OpenCL C
    .language_version:
      - 2
      - 0
    .max_flat_workgroup_size: 256
    .name:           _ZL29rocblas_internal_gemmt_kernelIlLi16ELi32ELi8ELc78ELc84ELc85ELb0ELb0EffPKfPfEviT_T9_T10_S3_lS5_S3_lS4_T11_S3_li
    .private_segment_fixed_size: 0
    .sgpr_count:     28
    .sgpr_spill_count: 0
    .symbol:         _ZL29rocblas_internal_gemmt_kernelIlLi16ELi32ELi8ELc78ELc84ELc85ELb0ELb0EffPKfPfEviT_T9_T10_S3_lS5_S3_lS4_T11_S3_li.kd
    .uniform_work_group_size: 1
    .uses_dynamic_stack: false
    .vgpr_count:     46
    .vgpr_spill_count: 0
    .wavefront_size: 32
    .workgroup_processor_mode: 1
  - .args:
      - .offset:         0
        .size:           4
        .value_kind:     by_value
      - .offset:         8
        .size:           8
        .value_kind:     by_value
      - .offset:         16
        .size:           4
        .value_kind:     by_value
      - .address_space:  global
        .offset:         24
        .size:           8
        .value_kind:     global_buffer
      - .offset:         32
        .size:           8
        .value_kind:     by_value
      - .offset:         40
        .size:           8
        .value_kind:     by_value
      - .address_space:  global
        .offset:         48
        .size:           8
        .value_kind:     global_buffer
      - .offset:         56
        .size:           8
        .value_kind:     by_value
      - .offset:         64
        .size:           8
        .value_kind:     by_value
      - .offset:         72
        .size:           4
        .value_kind:     by_value
      - .address_space:  global
        .offset:         80
        .size:           8
        .value_kind:     global_buffer
      - .offset:         88
        .size:           8
        .value_kind:     by_value
      - .offset:         96
        .size:           8
        .value_kind:     by_value
      - .offset:         104
        .size:           4
        .value_kind:     by_value
    .group_segment_fixed_size: 2048
    .kernarg_segment_align: 8
    .kernarg_segment_size: 108
    .language:       OpenCL C
    .language_version:
      - 2
      - 0
    .max_flat_workgroup_size: 256
    .name:           _ZL29rocblas_internal_gemmt_kernelIlLi16ELi32ELi8ELc78ELc67ELc85ELb0ELb0EffPKfPfEviT_T9_T10_S3_lS5_S3_lS4_T11_S3_li
    .private_segment_fixed_size: 0
    .sgpr_count:     28
    .sgpr_spill_count: 0
    .symbol:         _ZL29rocblas_internal_gemmt_kernelIlLi16ELi32ELi8ELc78ELc67ELc85ELb0ELb0EffPKfPfEviT_T9_T10_S3_lS5_S3_lS4_T11_S3_li.kd
    .uniform_work_group_size: 1
    .uses_dynamic_stack: false
    .vgpr_count:     46
    .vgpr_spill_count: 0
    .wavefront_size: 32
    .workgroup_processor_mode: 1
  - .args:
      - .offset:         0
        .size:           4
        .value_kind:     by_value
      - .offset:         8
        .size:           8
        .value_kind:     by_value
      - .offset:         16
        .size:           4
        .value_kind:     by_value
      - .address_space:  global
        .offset:         24
        .size:           8
        .value_kind:     global_buffer
      - .offset:         32
        .size:           8
        .value_kind:     by_value
      - .offset:         40
        .size:           8
        .value_kind:     by_value
      - .address_space:  global
        .offset:         48
        .size:           8
        .value_kind:     global_buffer
      - .offset:         56
        .size:           8
        .value_kind:     by_value
      - .offset:         64
        .size:           8
        .value_kind:     by_value
      - .offset:         72
        .size:           4
        .value_kind:     by_value
      - .address_space:  global
        .offset:         80
        .size:           8
        .value_kind:     global_buffer
      - .offset:         88
        .size:           8
        .value_kind:     by_value
      - .offset:         96
        .size:           8
        .value_kind:     by_value
      - .offset:         104
        .size:           4
        .value_kind:     by_value
    .group_segment_fixed_size: 2048
    .kernarg_segment_align: 8
    .kernarg_segment_size: 108
    .language:       OpenCL C
    .language_version:
      - 2
      - 0
    .max_flat_workgroup_size: 256
    .name:           _ZL29rocblas_internal_gemmt_kernelIlLi16ELi32ELi8ELc84ELc78ELc85ELb0ELb0EffPKfPfEviT_T9_T10_S3_lS5_S3_lS4_T11_S3_li
    .private_segment_fixed_size: 0
    .sgpr_count:     26
    .sgpr_spill_count: 0
    .symbol:         _ZL29rocblas_internal_gemmt_kernelIlLi16ELi32ELi8ELc84ELc78ELc85ELb0ELb0EffPKfPfEviT_T9_T10_S3_lS5_S3_lS4_T11_S3_li.kd
    .uniform_work_group_size: 1
    .uses_dynamic_stack: false
    .vgpr_count:     46
    .vgpr_spill_count: 0
    .wavefront_size: 32
    .workgroup_processor_mode: 1
  - .args:
      - .offset:         0
        .size:           4
        .value_kind:     by_value
      - .offset:         8
        .size:           8
        .value_kind:     by_value
      - .offset:         16
        .size:           4
        .value_kind:     by_value
      - .address_space:  global
        .offset:         24
        .size:           8
        .value_kind:     global_buffer
      - .offset:         32
        .size:           8
        .value_kind:     by_value
      - .offset:         40
        .size:           8
        .value_kind:     by_value
      - .address_space:  global
        .offset:         48
        .size:           8
        .value_kind:     global_buffer
      - .offset:         56
        .size:           8
        .value_kind:     by_value
      - .offset:         64
        .size:           8
        .value_kind:     by_value
      - .offset:         72
        .size:           4
        .value_kind:     by_value
      - .address_space:  global
        .offset:         80
        .size:           8
        .value_kind:     global_buffer
      - .offset:         88
        .size:           8
        .value_kind:     by_value
      - .offset:         96
        .size:           8
        .value_kind:     by_value
      - .offset:         104
        .size:           4
        .value_kind:     by_value
    .group_segment_fixed_size: 2048
    .kernarg_segment_align: 8
    .kernarg_segment_size: 108
    .language:       OpenCL C
    .language_version:
      - 2
      - 0
    .max_flat_workgroup_size: 256
    .name:           _ZL29rocblas_internal_gemmt_kernelIlLi16ELi32ELi8ELc84ELc84ELc85ELb0ELb0EffPKfPfEviT_T9_T10_S3_lS5_S3_lS4_T11_S3_li
    .private_segment_fixed_size: 0
    .sgpr_count:     28
    .sgpr_spill_count: 0
    .symbol:         _ZL29rocblas_internal_gemmt_kernelIlLi16ELi32ELi8ELc84ELc84ELc85ELb0ELb0EffPKfPfEviT_T9_T10_S3_lS5_S3_lS4_T11_S3_li.kd
    .uniform_work_group_size: 1
    .uses_dynamic_stack: false
    .vgpr_count:     46
    .vgpr_spill_count: 0
    .wavefront_size: 32
    .workgroup_processor_mode: 1
  - .args:
      - .offset:         0
        .size:           4
        .value_kind:     by_value
      - .offset:         8
        .size:           8
        .value_kind:     by_value
      - .offset:         16
        .size:           4
        .value_kind:     by_value
      - .address_space:  global
        .offset:         24
        .size:           8
        .value_kind:     global_buffer
      - .offset:         32
        .size:           8
        .value_kind:     by_value
      - .offset:         40
        .size:           8
        .value_kind:     by_value
      - .address_space:  global
        .offset:         48
        .size:           8
        .value_kind:     global_buffer
      - .offset:         56
        .size:           8
        .value_kind:     by_value
      - .offset:         64
        .size:           8
        .value_kind:     by_value
      - .offset:         72
        .size:           4
        .value_kind:     by_value
      - .address_space:  global
        .offset:         80
        .size:           8
        .value_kind:     global_buffer
      - .offset:         88
        .size:           8
        .value_kind:     by_value
      - .offset:         96
        .size:           8
        .value_kind:     by_value
      - .offset:         104
        .size:           4
        .value_kind:     by_value
    .group_segment_fixed_size: 2048
    .kernarg_segment_align: 8
    .kernarg_segment_size: 108
    .language:       OpenCL C
    .language_version:
      - 2
      - 0
    .max_flat_workgroup_size: 256
    .name:           _ZL29rocblas_internal_gemmt_kernelIlLi16ELi32ELi8ELc84ELc67ELc85ELb0ELb0EffPKfPfEviT_T9_T10_S3_lS5_S3_lS4_T11_S3_li
    .private_segment_fixed_size: 0
    .sgpr_count:     28
    .sgpr_spill_count: 0
    .symbol:         _ZL29rocblas_internal_gemmt_kernelIlLi16ELi32ELi8ELc84ELc67ELc85ELb0ELb0EffPKfPfEviT_T9_T10_S3_lS5_S3_lS4_T11_S3_li.kd
    .uniform_work_group_size: 1
    .uses_dynamic_stack: false
    .vgpr_count:     46
    .vgpr_spill_count: 0
    .wavefront_size: 32
    .workgroup_processor_mode: 1
  - .args:
      - .offset:         0
        .size:           4
        .value_kind:     by_value
      - .offset:         8
        .size:           8
        .value_kind:     by_value
      - .offset:         16
        .size:           4
        .value_kind:     by_value
      - .address_space:  global
        .offset:         24
        .size:           8
        .value_kind:     global_buffer
      - .offset:         32
        .size:           8
        .value_kind:     by_value
      - .offset:         40
        .size:           8
        .value_kind:     by_value
      - .address_space:  global
        .offset:         48
        .size:           8
        .value_kind:     global_buffer
      - .offset:         56
        .size:           8
        .value_kind:     by_value
      - .offset:         64
        .size:           8
        .value_kind:     by_value
      - .offset:         72
        .size:           4
        .value_kind:     by_value
      - .address_space:  global
        .offset:         80
        .size:           8
        .value_kind:     global_buffer
      - .offset:         88
        .size:           8
        .value_kind:     by_value
      - .offset:         96
        .size:           8
        .value_kind:     by_value
      - .offset:         104
        .size:           4
        .value_kind:     by_value
    .group_segment_fixed_size: 2048
    .kernarg_segment_align: 8
    .kernarg_segment_size: 108
    .language:       OpenCL C
    .language_version:
      - 2
      - 0
    .max_flat_workgroup_size: 256
    .name:           _ZL29rocblas_internal_gemmt_kernelIlLi16ELi32ELi8ELc67ELc78ELc85ELb0ELb0EffPKfPfEviT_T9_T10_S3_lS5_S3_lS4_T11_S3_li
    .private_segment_fixed_size: 0
    .sgpr_count:     26
    .sgpr_spill_count: 0
    .symbol:         _ZL29rocblas_internal_gemmt_kernelIlLi16ELi32ELi8ELc67ELc78ELc85ELb0ELb0EffPKfPfEviT_T9_T10_S3_lS5_S3_lS4_T11_S3_li.kd
    .uniform_work_group_size: 1
    .uses_dynamic_stack: false
    .vgpr_count:     46
    .vgpr_spill_count: 0
    .wavefront_size: 32
    .workgroup_processor_mode: 1
  - .args:
      - .offset:         0
        .size:           4
        .value_kind:     by_value
      - .offset:         8
        .size:           8
        .value_kind:     by_value
      - .offset:         16
        .size:           4
        .value_kind:     by_value
      - .address_space:  global
        .offset:         24
        .size:           8
        .value_kind:     global_buffer
      - .offset:         32
        .size:           8
        .value_kind:     by_value
      - .offset:         40
        .size:           8
        .value_kind:     by_value
      - .address_space:  global
        .offset:         48
        .size:           8
        .value_kind:     global_buffer
      - .offset:         56
        .size:           8
        .value_kind:     by_value
      - .offset:         64
        .size:           8
        .value_kind:     by_value
      - .offset:         72
        .size:           4
        .value_kind:     by_value
      - .address_space:  global
        .offset:         80
        .size:           8
        .value_kind:     global_buffer
      - .offset:         88
        .size:           8
        .value_kind:     by_value
      - .offset:         96
        .size:           8
        .value_kind:     by_value
      - .offset:         104
        .size:           4
        .value_kind:     by_value
    .group_segment_fixed_size: 2048
    .kernarg_segment_align: 8
    .kernarg_segment_size: 108
    .language:       OpenCL C
    .language_version:
      - 2
      - 0
    .max_flat_workgroup_size: 256
    .name:           _ZL29rocblas_internal_gemmt_kernelIlLi16ELi32ELi8ELc67ELc84ELc85ELb0ELb0EffPKfPfEviT_T9_T10_S3_lS5_S3_lS4_T11_S3_li
    .private_segment_fixed_size: 0
    .sgpr_count:     28
    .sgpr_spill_count: 0
    .symbol:         _ZL29rocblas_internal_gemmt_kernelIlLi16ELi32ELi8ELc67ELc84ELc85ELb0ELb0EffPKfPfEviT_T9_T10_S3_lS5_S3_lS4_T11_S3_li.kd
    .uniform_work_group_size: 1
    .uses_dynamic_stack: false
    .vgpr_count:     46
    .vgpr_spill_count: 0
    .wavefront_size: 32
    .workgroup_processor_mode: 1
  - .args:
      - .offset:         0
        .size:           4
        .value_kind:     by_value
      - .offset:         8
        .size:           8
        .value_kind:     by_value
      - .offset:         16
        .size:           4
        .value_kind:     by_value
      - .address_space:  global
        .offset:         24
        .size:           8
        .value_kind:     global_buffer
      - .offset:         32
        .size:           8
        .value_kind:     by_value
      - .offset:         40
        .size:           8
        .value_kind:     by_value
      - .address_space:  global
        .offset:         48
        .size:           8
        .value_kind:     global_buffer
      - .offset:         56
        .size:           8
        .value_kind:     by_value
      - .offset:         64
        .size:           8
        .value_kind:     by_value
      - .offset:         72
        .size:           4
        .value_kind:     by_value
      - .address_space:  global
        .offset:         80
        .size:           8
        .value_kind:     global_buffer
      - .offset:         88
        .size:           8
        .value_kind:     by_value
      - .offset:         96
        .size:           8
        .value_kind:     by_value
      - .offset:         104
        .size:           4
        .value_kind:     by_value
    .group_segment_fixed_size: 2048
    .kernarg_segment_align: 8
    .kernarg_segment_size: 108
    .language:       OpenCL C
    .language_version:
      - 2
      - 0
    .max_flat_workgroup_size: 256
    .name:           _ZL29rocblas_internal_gemmt_kernelIlLi16ELi32ELi8ELc67ELc67ELc85ELb0ELb0EffPKfPfEviT_T9_T10_S3_lS5_S3_lS4_T11_S3_li
    .private_segment_fixed_size: 0
    .sgpr_count:     28
    .sgpr_spill_count: 0
    .symbol:         _ZL29rocblas_internal_gemmt_kernelIlLi16ELi32ELi8ELc67ELc67ELc85ELb0ELb0EffPKfPfEviT_T9_T10_S3_lS5_S3_lS4_T11_S3_li.kd
    .uniform_work_group_size: 1
    .uses_dynamic_stack: false
    .vgpr_count:     46
    .vgpr_spill_count: 0
    .wavefront_size: 32
    .workgroup_processor_mode: 1
  - .args:
      - .offset:         0
        .size:           4
        .value_kind:     by_value
      - .offset:         8
        .size:           8
        .value_kind:     by_value
      - .offset:         16
        .size:           4
        .value_kind:     by_value
      - .address_space:  global
        .offset:         24
        .size:           8
        .value_kind:     global_buffer
      - .offset:         32
        .size:           8
        .value_kind:     by_value
      - .offset:         40
        .size:           8
        .value_kind:     by_value
      - .address_space:  global
        .offset:         48
        .size:           8
        .value_kind:     global_buffer
      - .offset:         56
        .size:           8
        .value_kind:     by_value
      - .offset:         64
        .size:           8
        .value_kind:     by_value
      - .offset:         72
        .size:           4
        .value_kind:     by_value
      - .address_space:  global
        .offset:         80
        .size:           8
        .value_kind:     global_buffer
      - .offset:         88
        .size:           8
        .value_kind:     by_value
      - .offset:         96
        .size:           8
        .value_kind:     by_value
      - .offset:         104
        .size:           4
        .value_kind:     by_value
    .group_segment_fixed_size: 2048
    .kernarg_segment_align: 8
    .kernarg_segment_size: 108
    .language:       OpenCL C
    .language_version:
      - 2
      - 0
    .max_flat_workgroup_size: 256
    .name:           _ZL29rocblas_internal_gemmt_kernelIlLi16ELi32ELi8ELc78ELc78ELc76ELb0ELb0EffPKfPfEviT_T9_T10_S3_lS5_S3_lS4_T11_S3_li
    .private_segment_fixed_size: 0
    .sgpr_count:     26
    .sgpr_spill_count: 0
    .symbol:         _ZL29rocblas_internal_gemmt_kernelIlLi16ELi32ELi8ELc78ELc78ELc76ELb0ELb0EffPKfPfEviT_T9_T10_S3_lS5_S3_lS4_T11_S3_li.kd
    .uniform_work_group_size: 1
    .uses_dynamic_stack: false
    .vgpr_count:     46
    .vgpr_spill_count: 0
    .wavefront_size: 32
    .workgroup_processor_mode: 1
  - .args:
      - .offset:         0
        .size:           4
        .value_kind:     by_value
      - .offset:         8
        .size:           8
        .value_kind:     by_value
      - .offset:         16
        .size:           4
        .value_kind:     by_value
      - .address_space:  global
        .offset:         24
        .size:           8
        .value_kind:     global_buffer
      - .offset:         32
        .size:           8
        .value_kind:     by_value
      - .offset:         40
        .size:           8
        .value_kind:     by_value
      - .address_space:  global
        .offset:         48
        .size:           8
        .value_kind:     global_buffer
      - .offset:         56
        .size:           8
        .value_kind:     by_value
      - .offset:         64
        .size:           8
        .value_kind:     by_value
      - .offset:         72
        .size:           4
        .value_kind:     by_value
      - .address_space:  global
        .offset:         80
        .size:           8
        .value_kind:     global_buffer
      - .offset:         88
        .size:           8
        .value_kind:     by_value
      - .offset:         96
        .size:           8
        .value_kind:     by_value
      - .offset:         104
        .size:           4
        .value_kind:     by_value
    .group_segment_fixed_size: 2048
    .kernarg_segment_align: 8
    .kernarg_segment_size: 108
    .language:       OpenCL C
    .language_version:
      - 2
      - 0
    .max_flat_workgroup_size: 256
    .name:           _ZL29rocblas_internal_gemmt_kernelIlLi16ELi32ELi8ELc78ELc84ELc76ELb0ELb0EffPKfPfEviT_T9_T10_S3_lS5_S3_lS4_T11_S3_li
    .private_segment_fixed_size: 0
    .sgpr_count:     28
    .sgpr_spill_count: 0
    .symbol:         _ZL29rocblas_internal_gemmt_kernelIlLi16ELi32ELi8ELc78ELc84ELc76ELb0ELb0EffPKfPfEviT_T9_T10_S3_lS5_S3_lS4_T11_S3_li.kd
    .uniform_work_group_size: 1
    .uses_dynamic_stack: false
    .vgpr_count:     46
    .vgpr_spill_count: 0
    .wavefront_size: 32
    .workgroup_processor_mode: 1
  - .args:
      - .offset:         0
        .size:           4
        .value_kind:     by_value
      - .offset:         8
        .size:           8
        .value_kind:     by_value
      - .offset:         16
        .size:           4
        .value_kind:     by_value
      - .address_space:  global
        .offset:         24
        .size:           8
        .value_kind:     global_buffer
      - .offset:         32
        .size:           8
        .value_kind:     by_value
      - .offset:         40
        .size:           8
        .value_kind:     by_value
      - .address_space:  global
        .offset:         48
        .size:           8
        .value_kind:     global_buffer
      - .offset:         56
        .size:           8
        .value_kind:     by_value
      - .offset:         64
        .size:           8
        .value_kind:     by_value
      - .offset:         72
        .size:           4
        .value_kind:     by_value
      - .address_space:  global
        .offset:         80
        .size:           8
        .value_kind:     global_buffer
      - .offset:         88
        .size:           8
        .value_kind:     by_value
      - .offset:         96
        .size:           8
        .value_kind:     by_value
      - .offset:         104
        .size:           4
        .value_kind:     by_value
    .group_segment_fixed_size: 2048
    .kernarg_segment_align: 8
    .kernarg_segment_size: 108
    .language:       OpenCL C
    .language_version:
      - 2
      - 0
    .max_flat_workgroup_size: 256
    .name:           _ZL29rocblas_internal_gemmt_kernelIlLi16ELi32ELi8ELc78ELc67ELc76ELb0ELb0EffPKfPfEviT_T9_T10_S3_lS5_S3_lS4_T11_S3_li
    .private_segment_fixed_size: 0
    .sgpr_count:     28
    .sgpr_spill_count: 0
    .symbol:         _ZL29rocblas_internal_gemmt_kernelIlLi16ELi32ELi8ELc78ELc67ELc76ELb0ELb0EffPKfPfEviT_T9_T10_S3_lS5_S3_lS4_T11_S3_li.kd
    .uniform_work_group_size: 1
    .uses_dynamic_stack: false
    .vgpr_count:     46
    .vgpr_spill_count: 0
    .wavefront_size: 32
    .workgroup_processor_mode: 1
  - .args:
      - .offset:         0
        .size:           4
        .value_kind:     by_value
      - .offset:         8
        .size:           8
        .value_kind:     by_value
      - .offset:         16
        .size:           4
        .value_kind:     by_value
      - .address_space:  global
        .offset:         24
        .size:           8
        .value_kind:     global_buffer
      - .offset:         32
        .size:           8
        .value_kind:     by_value
      - .offset:         40
        .size:           8
        .value_kind:     by_value
      - .address_space:  global
        .offset:         48
        .size:           8
        .value_kind:     global_buffer
      - .offset:         56
        .size:           8
        .value_kind:     by_value
      - .offset:         64
        .size:           8
        .value_kind:     by_value
      - .offset:         72
        .size:           4
        .value_kind:     by_value
      - .address_space:  global
        .offset:         80
        .size:           8
        .value_kind:     global_buffer
      - .offset:         88
        .size:           8
        .value_kind:     by_value
      - .offset:         96
        .size:           8
        .value_kind:     by_value
      - .offset:         104
        .size:           4
        .value_kind:     by_value
    .group_segment_fixed_size: 2048
    .kernarg_segment_align: 8
    .kernarg_segment_size: 108
    .language:       OpenCL C
    .language_version:
      - 2
      - 0
    .max_flat_workgroup_size: 256
    .name:           _ZL29rocblas_internal_gemmt_kernelIlLi16ELi32ELi8ELc84ELc78ELc76ELb0ELb0EffPKfPfEviT_T9_T10_S3_lS5_S3_lS4_T11_S3_li
    .private_segment_fixed_size: 0
    .sgpr_count:     26
    .sgpr_spill_count: 0
    .symbol:         _ZL29rocblas_internal_gemmt_kernelIlLi16ELi32ELi8ELc84ELc78ELc76ELb0ELb0EffPKfPfEviT_T9_T10_S3_lS5_S3_lS4_T11_S3_li.kd
    .uniform_work_group_size: 1
    .uses_dynamic_stack: false
    .vgpr_count:     46
    .vgpr_spill_count: 0
    .wavefront_size: 32
    .workgroup_processor_mode: 1
  - .args:
      - .offset:         0
        .size:           4
        .value_kind:     by_value
      - .offset:         8
        .size:           8
        .value_kind:     by_value
      - .offset:         16
        .size:           4
        .value_kind:     by_value
      - .address_space:  global
        .offset:         24
        .size:           8
        .value_kind:     global_buffer
      - .offset:         32
        .size:           8
        .value_kind:     by_value
      - .offset:         40
        .size:           8
        .value_kind:     by_value
      - .address_space:  global
        .offset:         48
        .size:           8
        .value_kind:     global_buffer
      - .offset:         56
        .size:           8
        .value_kind:     by_value
      - .offset:         64
        .size:           8
        .value_kind:     by_value
      - .offset:         72
        .size:           4
        .value_kind:     by_value
      - .address_space:  global
        .offset:         80
        .size:           8
        .value_kind:     global_buffer
      - .offset:         88
        .size:           8
        .value_kind:     by_value
      - .offset:         96
        .size:           8
        .value_kind:     by_value
      - .offset:         104
        .size:           4
        .value_kind:     by_value
    .group_segment_fixed_size: 2048
    .kernarg_segment_align: 8
    .kernarg_segment_size: 108
    .language:       OpenCL C
    .language_version:
      - 2
      - 0
    .max_flat_workgroup_size: 256
    .name:           _ZL29rocblas_internal_gemmt_kernelIlLi16ELi32ELi8ELc84ELc84ELc76ELb0ELb0EffPKfPfEviT_T9_T10_S3_lS5_S3_lS4_T11_S3_li
    .private_segment_fixed_size: 0
    .sgpr_count:     28
    .sgpr_spill_count: 0
    .symbol:         _ZL29rocblas_internal_gemmt_kernelIlLi16ELi32ELi8ELc84ELc84ELc76ELb0ELb0EffPKfPfEviT_T9_T10_S3_lS5_S3_lS4_T11_S3_li.kd
    .uniform_work_group_size: 1
    .uses_dynamic_stack: false
    .vgpr_count:     46
    .vgpr_spill_count: 0
    .wavefront_size: 32
    .workgroup_processor_mode: 1
  - .args:
      - .offset:         0
        .size:           4
        .value_kind:     by_value
      - .offset:         8
        .size:           8
        .value_kind:     by_value
      - .offset:         16
        .size:           4
        .value_kind:     by_value
      - .address_space:  global
        .offset:         24
        .size:           8
        .value_kind:     global_buffer
      - .offset:         32
        .size:           8
        .value_kind:     by_value
      - .offset:         40
        .size:           8
        .value_kind:     by_value
      - .address_space:  global
        .offset:         48
        .size:           8
        .value_kind:     global_buffer
      - .offset:         56
        .size:           8
        .value_kind:     by_value
      - .offset:         64
        .size:           8
        .value_kind:     by_value
      - .offset:         72
        .size:           4
        .value_kind:     by_value
      - .address_space:  global
        .offset:         80
        .size:           8
        .value_kind:     global_buffer
      - .offset:         88
        .size:           8
        .value_kind:     by_value
      - .offset:         96
        .size:           8
        .value_kind:     by_value
      - .offset:         104
        .size:           4
        .value_kind:     by_value
    .group_segment_fixed_size: 2048
    .kernarg_segment_align: 8
    .kernarg_segment_size: 108
    .language:       OpenCL C
    .language_version:
      - 2
      - 0
    .max_flat_workgroup_size: 256
    .name:           _ZL29rocblas_internal_gemmt_kernelIlLi16ELi32ELi8ELc84ELc67ELc76ELb0ELb0EffPKfPfEviT_T9_T10_S3_lS5_S3_lS4_T11_S3_li
    .private_segment_fixed_size: 0
    .sgpr_count:     28
    .sgpr_spill_count: 0
    .symbol:         _ZL29rocblas_internal_gemmt_kernelIlLi16ELi32ELi8ELc84ELc67ELc76ELb0ELb0EffPKfPfEviT_T9_T10_S3_lS5_S3_lS4_T11_S3_li.kd
    .uniform_work_group_size: 1
    .uses_dynamic_stack: false
    .vgpr_count:     46
    .vgpr_spill_count: 0
    .wavefront_size: 32
    .workgroup_processor_mode: 1
  - .args:
      - .offset:         0
        .size:           4
        .value_kind:     by_value
      - .offset:         8
        .size:           8
        .value_kind:     by_value
      - .offset:         16
        .size:           4
        .value_kind:     by_value
      - .address_space:  global
        .offset:         24
        .size:           8
        .value_kind:     global_buffer
      - .offset:         32
        .size:           8
        .value_kind:     by_value
      - .offset:         40
        .size:           8
        .value_kind:     by_value
      - .address_space:  global
        .offset:         48
        .size:           8
        .value_kind:     global_buffer
      - .offset:         56
        .size:           8
        .value_kind:     by_value
      - .offset:         64
        .size:           8
        .value_kind:     by_value
      - .offset:         72
        .size:           4
        .value_kind:     by_value
      - .address_space:  global
        .offset:         80
        .size:           8
        .value_kind:     global_buffer
      - .offset:         88
        .size:           8
        .value_kind:     by_value
      - .offset:         96
        .size:           8
        .value_kind:     by_value
      - .offset:         104
        .size:           4
        .value_kind:     by_value
    .group_segment_fixed_size: 2048
    .kernarg_segment_align: 8
    .kernarg_segment_size: 108
    .language:       OpenCL C
    .language_version:
      - 2
      - 0
    .max_flat_workgroup_size: 256
    .name:           _ZL29rocblas_internal_gemmt_kernelIlLi16ELi32ELi8ELc67ELc78ELc76ELb0ELb0EffPKfPfEviT_T9_T10_S3_lS5_S3_lS4_T11_S3_li
    .private_segment_fixed_size: 0
    .sgpr_count:     26
    .sgpr_spill_count: 0
    .symbol:         _ZL29rocblas_internal_gemmt_kernelIlLi16ELi32ELi8ELc67ELc78ELc76ELb0ELb0EffPKfPfEviT_T9_T10_S3_lS5_S3_lS4_T11_S3_li.kd
    .uniform_work_group_size: 1
    .uses_dynamic_stack: false
    .vgpr_count:     46
    .vgpr_spill_count: 0
    .wavefront_size: 32
    .workgroup_processor_mode: 1
  - .args:
      - .offset:         0
        .size:           4
        .value_kind:     by_value
      - .offset:         8
        .size:           8
        .value_kind:     by_value
      - .offset:         16
        .size:           4
        .value_kind:     by_value
      - .address_space:  global
        .offset:         24
        .size:           8
        .value_kind:     global_buffer
      - .offset:         32
        .size:           8
        .value_kind:     by_value
      - .offset:         40
        .size:           8
        .value_kind:     by_value
      - .address_space:  global
        .offset:         48
        .size:           8
        .value_kind:     global_buffer
      - .offset:         56
        .size:           8
        .value_kind:     by_value
      - .offset:         64
        .size:           8
        .value_kind:     by_value
      - .offset:         72
        .size:           4
        .value_kind:     by_value
      - .address_space:  global
        .offset:         80
        .size:           8
        .value_kind:     global_buffer
      - .offset:         88
        .size:           8
        .value_kind:     by_value
      - .offset:         96
        .size:           8
        .value_kind:     by_value
      - .offset:         104
        .size:           4
        .value_kind:     by_value
    .group_segment_fixed_size: 2048
    .kernarg_segment_align: 8
    .kernarg_segment_size: 108
    .language:       OpenCL C
    .language_version:
      - 2
      - 0
    .max_flat_workgroup_size: 256
    .name:           _ZL29rocblas_internal_gemmt_kernelIlLi16ELi32ELi8ELc67ELc84ELc76ELb0ELb0EffPKfPfEviT_T9_T10_S3_lS5_S3_lS4_T11_S3_li
    .private_segment_fixed_size: 0
    .sgpr_count:     28
    .sgpr_spill_count: 0
    .symbol:         _ZL29rocblas_internal_gemmt_kernelIlLi16ELi32ELi8ELc67ELc84ELc76ELb0ELb0EffPKfPfEviT_T9_T10_S3_lS5_S3_lS4_T11_S3_li.kd
    .uniform_work_group_size: 1
    .uses_dynamic_stack: false
    .vgpr_count:     46
    .vgpr_spill_count: 0
    .wavefront_size: 32
    .workgroup_processor_mode: 1
  - .args:
      - .offset:         0
        .size:           4
        .value_kind:     by_value
      - .offset:         8
        .size:           8
        .value_kind:     by_value
      - .offset:         16
        .size:           4
        .value_kind:     by_value
      - .address_space:  global
        .offset:         24
        .size:           8
        .value_kind:     global_buffer
      - .offset:         32
        .size:           8
        .value_kind:     by_value
      - .offset:         40
        .size:           8
        .value_kind:     by_value
      - .address_space:  global
        .offset:         48
        .size:           8
        .value_kind:     global_buffer
      - .offset:         56
        .size:           8
        .value_kind:     by_value
      - .offset:         64
        .size:           8
        .value_kind:     by_value
      - .offset:         72
        .size:           4
        .value_kind:     by_value
      - .address_space:  global
        .offset:         80
        .size:           8
        .value_kind:     global_buffer
      - .offset:         88
        .size:           8
        .value_kind:     by_value
      - .offset:         96
        .size:           8
        .value_kind:     by_value
      - .offset:         104
        .size:           4
        .value_kind:     by_value
    .group_segment_fixed_size: 2048
    .kernarg_segment_align: 8
    .kernarg_segment_size: 108
    .language:       OpenCL C
    .language_version:
      - 2
      - 0
    .max_flat_workgroup_size: 256
    .name:           _ZL29rocblas_internal_gemmt_kernelIlLi16ELi32ELi8ELc67ELc67ELc76ELb0ELb0EffPKfPfEviT_T9_T10_S3_lS5_S3_lS4_T11_S3_li
    .private_segment_fixed_size: 0
    .sgpr_count:     28
    .sgpr_spill_count: 0
    .symbol:         _ZL29rocblas_internal_gemmt_kernelIlLi16ELi32ELi8ELc67ELc67ELc76ELb0ELb0EffPKfPfEviT_T9_T10_S3_lS5_S3_lS4_T11_S3_li.kd
    .uniform_work_group_size: 1
    .uses_dynamic_stack: false
    .vgpr_count:     46
    .vgpr_spill_count: 0
    .wavefront_size: 32
    .workgroup_processor_mode: 1
  - .args:
      - .offset:         0
        .size:           4
        .value_kind:     by_value
      - .offset:         8
        .size:           8
        .value_kind:     by_value
      - .address_space:  global
        .offset:         16
        .size:           8
        .value_kind:     global_buffer
      - .address_space:  global
        .offset:         24
        .size:           8
        .value_kind:     global_buffer
      - .offset:         32
        .size:           8
        .value_kind:     by_value
      - .offset:         40
        .size:           8
        .value_kind:     by_value
      - .address_space:  global
        .offset:         48
        .size:           8
        .value_kind:     global_buffer
      - .offset:         56
        .size:           8
        .value_kind:     by_value
      - .offset:         64
        .size:           8
        .value_kind:     by_value
      - .address_space:  global
        .offset:         72
        .size:           8
        .value_kind:     global_buffer
      - .address_space:  global
        .offset:         80
        .size:           8
        .value_kind:     global_buffer
      - .offset:         88
        .size:           8
        .value_kind:     by_value
      - .offset:         96
        .size:           8
        .value_kind:     by_value
      - .offset:         104
        .size:           4
        .value_kind:     by_value
    .group_segment_fixed_size: 4096
    .kernarg_segment_align: 8
    .kernarg_segment_size: 108
    .language:       OpenCL C
    .language_version:
      - 2
      - 0
    .max_flat_workgroup_size: 256
    .name:           _ZL29rocblas_internal_gemmt_kernelIlLi16ELi32ELi8ELc78ELc78ELc85ELb0ELb0EdPKdS1_PdEviT_T9_T10_S3_lS5_S3_lS4_T11_S3_li
    .private_segment_fixed_size: 0
    .sgpr_count:     46
    .sgpr_spill_count: 0
    .symbol:         _ZL29rocblas_internal_gemmt_kernelIlLi16ELi32ELi8ELc78ELc78ELc85ELb0ELb0EdPKdS1_PdEviT_T9_T10_S3_lS5_S3_lS4_T11_S3_li.kd
    .uniform_work_group_size: 1
    .uses_dynamic_stack: false
    .vgpr_count:     46
    .vgpr_spill_count: 0
    .wavefront_size: 32
    .workgroup_processor_mode: 1
  - .args:
      - .offset:         0
        .size:           4
        .value_kind:     by_value
      - .offset:         8
        .size:           8
        .value_kind:     by_value
      - .address_space:  global
        .offset:         16
        .size:           8
        .value_kind:     global_buffer
      - .address_space:  global
        .offset:         24
        .size:           8
        .value_kind:     global_buffer
      - .offset:         32
        .size:           8
        .value_kind:     by_value
      - .offset:         40
        .size:           8
        .value_kind:     by_value
      - .address_space:  global
        .offset:         48
        .size:           8
        .value_kind:     global_buffer
      - .offset:         56
        .size:           8
        .value_kind:     by_value
      - .offset:         64
        .size:           8
        .value_kind:     by_value
      - .address_space:  global
        .offset:         72
        .size:           8
        .value_kind:     global_buffer
      - .address_space:  global
        .offset:         80
        .size:           8
        .value_kind:     global_buffer
      - .offset:         88
        .size:           8
        .value_kind:     by_value
      - .offset:         96
        .size:           8
        .value_kind:     by_value
      - .offset:         104
        .size:           4
        .value_kind:     by_value
    .group_segment_fixed_size: 4096
    .kernarg_segment_align: 8
    .kernarg_segment_size: 108
    .language:       OpenCL C
    .language_version:
      - 2
      - 0
    .max_flat_workgroup_size: 256
    .name:           _ZL29rocblas_internal_gemmt_kernelIlLi16ELi32ELi8ELc78ELc84ELc85ELb0ELb0EdPKdS1_PdEviT_T9_T10_S3_lS5_S3_lS4_T11_S3_li
    .private_segment_fixed_size: 0
    .sgpr_count:     46
    .sgpr_spill_count: 0
    .symbol:         _ZL29rocblas_internal_gemmt_kernelIlLi16ELi32ELi8ELc78ELc84ELc85ELb0ELb0EdPKdS1_PdEviT_T9_T10_S3_lS5_S3_lS4_T11_S3_li.kd
    .uniform_work_group_size: 1
    .uses_dynamic_stack: false
    .vgpr_count:     46
    .vgpr_spill_count: 0
    .wavefront_size: 32
    .workgroup_processor_mode: 1
  - .args:
      - .offset:         0
        .size:           4
        .value_kind:     by_value
      - .offset:         8
        .size:           8
        .value_kind:     by_value
      - .address_space:  global
        .offset:         16
        .size:           8
        .value_kind:     global_buffer
      - .address_space:  global
        .offset:         24
        .size:           8
        .value_kind:     global_buffer
      - .offset:         32
        .size:           8
        .value_kind:     by_value
      - .offset:         40
        .size:           8
        .value_kind:     by_value
      - .address_space:  global
        .offset:         48
        .size:           8
        .value_kind:     global_buffer
      - .offset:         56
        .size:           8
        .value_kind:     by_value
      - .offset:         64
        .size:           8
        .value_kind:     by_value
      - .address_space:  global
        .offset:         72
        .size:           8
        .value_kind:     global_buffer
      - .address_space:  global
        .offset:         80
        .size:           8
        .value_kind:     global_buffer
      - .offset:         88
        .size:           8
        .value_kind:     by_value
      - .offset:         96
        .size:           8
        .value_kind:     by_value
      - .offset:         104
        .size:           4
        .value_kind:     by_value
    .group_segment_fixed_size: 4096
    .kernarg_segment_align: 8
    .kernarg_segment_size: 108
    .language:       OpenCL C
    .language_version:
      - 2
      - 0
    .max_flat_workgroup_size: 256
    .name:           _ZL29rocblas_internal_gemmt_kernelIlLi16ELi32ELi8ELc78ELc67ELc85ELb0ELb0EdPKdS1_PdEviT_T9_T10_S3_lS5_S3_lS4_T11_S3_li
    .private_segment_fixed_size: 0
    .sgpr_count:     46
    .sgpr_spill_count: 0
    .symbol:         _ZL29rocblas_internal_gemmt_kernelIlLi16ELi32ELi8ELc78ELc67ELc85ELb0ELb0EdPKdS1_PdEviT_T9_T10_S3_lS5_S3_lS4_T11_S3_li.kd
    .uniform_work_group_size: 1
    .uses_dynamic_stack: false
    .vgpr_count:     46
    .vgpr_spill_count: 0
    .wavefront_size: 32
    .workgroup_processor_mode: 1
  - .args:
      - .offset:         0
        .size:           4
        .value_kind:     by_value
      - .offset:         8
        .size:           8
        .value_kind:     by_value
      - .address_space:  global
        .offset:         16
        .size:           8
        .value_kind:     global_buffer
      - .address_space:  global
        .offset:         24
        .size:           8
        .value_kind:     global_buffer
      - .offset:         32
        .size:           8
        .value_kind:     by_value
      - .offset:         40
        .size:           8
        .value_kind:     by_value
      - .address_space:  global
        .offset:         48
        .size:           8
        .value_kind:     global_buffer
      - .offset:         56
        .size:           8
        .value_kind:     by_value
      - .offset:         64
        .size:           8
        .value_kind:     by_value
      - .address_space:  global
        .offset:         72
        .size:           8
        .value_kind:     global_buffer
      - .address_space:  global
        .offset:         80
        .size:           8
        .value_kind:     global_buffer
      - .offset:         88
        .size:           8
        .value_kind:     by_value
      - .offset:         96
        .size:           8
        .value_kind:     by_value
      - .offset:         104
        .size:           4
        .value_kind:     by_value
    .group_segment_fixed_size: 4096
    .kernarg_segment_align: 8
    .kernarg_segment_size: 108
    .language:       OpenCL C
    .language_version:
      - 2
      - 0
    .max_flat_workgroup_size: 256
    .name:           _ZL29rocblas_internal_gemmt_kernelIlLi16ELi32ELi8ELc84ELc78ELc85ELb0ELb0EdPKdS1_PdEviT_T9_T10_S3_lS5_S3_lS4_T11_S3_li
    .private_segment_fixed_size: 0
    .sgpr_count:     46
    .sgpr_spill_count: 0
    .symbol:         _ZL29rocblas_internal_gemmt_kernelIlLi16ELi32ELi8ELc84ELc78ELc85ELb0ELb0EdPKdS1_PdEviT_T9_T10_S3_lS5_S3_lS4_T11_S3_li.kd
    .uniform_work_group_size: 1
    .uses_dynamic_stack: false
    .vgpr_count:     46
    .vgpr_spill_count: 0
    .wavefront_size: 32
    .workgroup_processor_mode: 1
  - .args:
      - .offset:         0
        .size:           4
        .value_kind:     by_value
      - .offset:         8
        .size:           8
        .value_kind:     by_value
      - .address_space:  global
        .offset:         16
        .size:           8
        .value_kind:     global_buffer
      - .address_space:  global
        .offset:         24
        .size:           8
        .value_kind:     global_buffer
      - .offset:         32
        .size:           8
        .value_kind:     by_value
      - .offset:         40
        .size:           8
        .value_kind:     by_value
      - .address_space:  global
        .offset:         48
        .size:           8
        .value_kind:     global_buffer
      - .offset:         56
        .size:           8
        .value_kind:     by_value
      - .offset:         64
        .size:           8
        .value_kind:     by_value
      - .address_space:  global
        .offset:         72
        .size:           8
        .value_kind:     global_buffer
      - .address_space:  global
        .offset:         80
        .size:           8
        .value_kind:     global_buffer
      - .offset:         88
        .size:           8
        .value_kind:     by_value
      - .offset:         96
        .size:           8
        .value_kind:     by_value
      - .offset:         104
        .size:           4
        .value_kind:     by_value
    .group_segment_fixed_size: 4096
    .kernarg_segment_align: 8
    .kernarg_segment_size: 108
    .language:       OpenCL C
    .language_version:
      - 2
      - 0
    .max_flat_workgroup_size: 256
    .name:           _ZL29rocblas_internal_gemmt_kernelIlLi16ELi32ELi8ELc84ELc84ELc85ELb0ELb0EdPKdS1_PdEviT_T9_T10_S3_lS5_S3_lS4_T11_S3_li
    .private_segment_fixed_size: 0
    .sgpr_count:     46
    .sgpr_spill_count: 0
    .symbol:         _ZL29rocblas_internal_gemmt_kernelIlLi16ELi32ELi8ELc84ELc84ELc85ELb0ELb0EdPKdS1_PdEviT_T9_T10_S3_lS5_S3_lS4_T11_S3_li.kd
    .uniform_work_group_size: 1
    .uses_dynamic_stack: false
    .vgpr_count:     46
    .vgpr_spill_count: 0
    .wavefront_size: 32
    .workgroup_processor_mode: 1
  - .args:
      - .offset:         0
        .size:           4
        .value_kind:     by_value
      - .offset:         8
        .size:           8
        .value_kind:     by_value
      - .address_space:  global
        .offset:         16
        .size:           8
        .value_kind:     global_buffer
      - .address_space:  global
        .offset:         24
        .size:           8
        .value_kind:     global_buffer
      - .offset:         32
        .size:           8
        .value_kind:     by_value
      - .offset:         40
        .size:           8
        .value_kind:     by_value
      - .address_space:  global
        .offset:         48
        .size:           8
        .value_kind:     global_buffer
      - .offset:         56
        .size:           8
        .value_kind:     by_value
      - .offset:         64
        .size:           8
        .value_kind:     by_value
      - .address_space:  global
        .offset:         72
        .size:           8
        .value_kind:     global_buffer
      - .address_space:  global
        .offset:         80
        .size:           8
        .value_kind:     global_buffer
      - .offset:         88
        .size:           8
        .value_kind:     by_value
      - .offset:         96
        .size:           8
        .value_kind:     by_value
      - .offset:         104
        .size:           4
        .value_kind:     by_value
    .group_segment_fixed_size: 4096
    .kernarg_segment_align: 8
    .kernarg_segment_size: 108
    .language:       OpenCL C
    .language_version:
      - 2
      - 0
    .max_flat_workgroup_size: 256
    .name:           _ZL29rocblas_internal_gemmt_kernelIlLi16ELi32ELi8ELc84ELc67ELc85ELb0ELb0EdPKdS1_PdEviT_T9_T10_S3_lS5_S3_lS4_T11_S3_li
    .private_segment_fixed_size: 0
    .sgpr_count:     46
    .sgpr_spill_count: 0
    .symbol:         _ZL29rocblas_internal_gemmt_kernelIlLi16ELi32ELi8ELc84ELc67ELc85ELb0ELb0EdPKdS1_PdEviT_T9_T10_S3_lS5_S3_lS4_T11_S3_li.kd
    .uniform_work_group_size: 1
    .uses_dynamic_stack: false
    .vgpr_count:     46
    .vgpr_spill_count: 0
    .wavefront_size: 32
    .workgroup_processor_mode: 1
  - .args:
      - .offset:         0
        .size:           4
        .value_kind:     by_value
      - .offset:         8
        .size:           8
        .value_kind:     by_value
      - .address_space:  global
        .offset:         16
        .size:           8
        .value_kind:     global_buffer
      - .address_space:  global
        .offset:         24
        .size:           8
        .value_kind:     global_buffer
      - .offset:         32
        .size:           8
        .value_kind:     by_value
      - .offset:         40
        .size:           8
        .value_kind:     by_value
      - .address_space:  global
        .offset:         48
        .size:           8
        .value_kind:     global_buffer
      - .offset:         56
        .size:           8
        .value_kind:     by_value
      - .offset:         64
        .size:           8
        .value_kind:     by_value
      - .address_space:  global
        .offset:         72
        .size:           8
        .value_kind:     global_buffer
      - .address_space:  global
        .offset:         80
        .size:           8
        .value_kind:     global_buffer
      - .offset:         88
        .size:           8
        .value_kind:     by_value
      - .offset:         96
        .size:           8
        .value_kind:     by_value
      - .offset:         104
        .size:           4
        .value_kind:     by_value
    .group_segment_fixed_size: 4096
    .kernarg_segment_align: 8
    .kernarg_segment_size: 108
    .language:       OpenCL C
    .language_version:
      - 2
      - 0
    .max_flat_workgroup_size: 256
    .name:           _ZL29rocblas_internal_gemmt_kernelIlLi16ELi32ELi8ELc67ELc78ELc85ELb0ELb0EdPKdS1_PdEviT_T9_T10_S3_lS5_S3_lS4_T11_S3_li
    .private_segment_fixed_size: 0
    .sgpr_count:     46
    .sgpr_spill_count: 0
    .symbol:         _ZL29rocblas_internal_gemmt_kernelIlLi16ELi32ELi8ELc67ELc78ELc85ELb0ELb0EdPKdS1_PdEviT_T9_T10_S3_lS5_S3_lS4_T11_S3_li.kd
    .uniform_work_group_size: 1
    .uses_dynamic_stack: false
    .vgpr_count:     46
    .vgpr_spill_count: 0
    .wavefront_size: 32
    .workgroup_processor_mode: 1
  - .args:
      - .offset:         0
        .size:           4
        .value_kind:     by_value
      - .offset:         8
        .size:           8
        .value_kind:     by_value
      - .address_space:  global
        .offset:         16
        .size:           8
        .value_kind:     global_buffer
      - .address_space:  global
        .offset:         24
        .size:           8
        .value_kind:     global_buffer
      - .offset:         32
        .size:           8
        .value_kind:     by_value
      - .offset:         40
        .size:           8
        .value_kind:     by_value
      - .address_space:  global
        .offset:         48
        .size:           8
        .value_kind:     global_buffer
      - .offset:         56
        .size:           8
        .value_kind:     by_value
      - .offset:         64
        .size:           8
        .value_kind:     by_value
      - .address_space:  global
        .offset:         72
        .size:           8
        .value_kind:     global_buffer
      - .address_space:  global
        .offset:         80
        .size:           8
        .value_kind:     global_buffer
      - .offset:         88
        .size:           8
        .value_kind:     by_value
      - .offset:         96
        .size:           8
        .value_kind:     by_value
      - .offset:         104
        .size:           4
        .value_kind:     by_value
    .group_segment_fixed_size: 4096
    .kernarg_segment_align: 8
    .kernarg_segment_size: 108
    .language:       OpenCL C
    .language_version:
      - 2
      - 0
    .max_flat_workgroup_size: 256
    .name:           _ZL29rocblas_internal_gemmt_kernelIlLi16ELi32ELi8ELc67ELc84ELc85ELb0ELb0EdPKdS1_PdEviT_T9_T10_S3_lS5_S3_lS4_T11_S3_li
    .private_segment_fixed_size: 0
    .sgpr_count:     46
    .sgpr_spill_count: 0
    .symbol:         _ZL29rocblas_internal_gemmt_kernelIlLi16ELi32ELi8ELc67ELc84ELc85ELb0ELb0EdPKdS1_PdEviT_T9_T10_S3_lS5_S3_lS4_T11_S3_li.kd
    .uniform_work_group_size: 1
    .uses_dynamic_stack: false
    .vgpr_count:     46
    .vgpr_spill_count: 0
    .wavefront_size: 32
    .workgroup_processor_mode: 1
  - .args:
      - .offset:         0
        .size:           4
        .value_kind:     by_value
      - .offset:         8
        .size:           8
        .value_kind:     by_value
      - .address_space:  global
        .offset:         16
        .size:           8
        .value_kind:     global_buffer
      - .address_space:  global
        .offset:         24
        .size:           8
        .value_kind:     global_buffer
      - .offset:         32
        .size:           8
        .value_kind:     by_value
      - .offset:         40
        .size:           8
        .value_kind:     by_value
      - .address_space:  global
        .offset:         48
        .size:           8
        .value_kind:     global_buffer
      - .offset:         56
        .size:           8
        .value_kind:     by_value
      - .offset:         64
        .size:           8
        .value_kind:     by_value
      - .address_space:  global
        .offset:         72
        .size:           8
        .value_kind:     global_buffer
      - .address_space:  global
        .offset:         80
        .size:           8
        .value_kind:     global_buffer
      - .offset:         88
        .size:           8
        .value_kind:     by_value
      - .offset:         96
        .size:           8
        .value_kind:     by_value
      - .offset:         104
        .size:           4
        .value_kind:     by_value
    .group_segment_fixed_size: 4096
    .kernarg_segment_align: 8
    .kernarg_segment_size: 108
    .language:       OpenCL C
    .language_version:
      - 2
      - 0
    .max_flat_workgroup_size: 256
    .name:           _ZL29rocblas_internal_gemmt_kernelIlLi16ELi32ELi8ELc67ELc67ELc85ELb0ELb0EdPKdS1_PdEviT_T9_T10_S3_lS5_S3_lS4_T11_S3_li
    .private_segment_fixed_size: 0
    .sgpr_count:     46
    .sgpr_spill_count: 0
    .symbol:         _ZL29rocblas_internal_gemmt_kernelIlLi16ELi32ELi8ELc67ELc67ELc85ELb0ELb0EdPKdS1_PdEviT_T9_T10_S3_lS5_S3_lS4_T11_S3_li.kd
    .uniform_work_group_size: 1
    .uses_dynamic_stack: false
    .vgpr_count:     46
    .vgpr_spill_count: 0
    .wavefront_size: 32
    .workgroup_processor_mode: 1
  - .args:
      - .offset:         0
        .size:           4
        .value_kind:     by_value
      - .offset:         8
        .size:           8
        .value_kind:     by_value
      - .address_space:  global
        .offset:         16
        .size:           8
        .value_kind:     global_buffer
      - .address_space:  global
        .offset:         24
        .size:           8
        .value_kind:     global_buffer
      - .offset:         32
        .size:           8
        .value_kind:     by_value
      - .offset:         40
        .size:           8
        .value_kind:     by_value
      - .address_space:  global
        .offset:         48
        .size:           8
        .value_kind:     global_buffer
      - .offset:         56
        .size:           8
        .value_kind:     by_value
      - .offset:         64
        .size:           8
        .value_kind:     by_value
      - .address_space:  global
        .offset:         72
        .size:           8
        .value_kind:     global_buffer
      - .address_space:  global
        .offset:         80
        .size:           8
        .value_kind:     global_buffer
      - .offset:         88
        .size:           8
        .value_kind:     by_value
      - .offset:         96
        .size:           8
        .value_kind:     by_value
      - .offset:         104
        .size:           4
        .value_kind:     by_value
    .group_segment_fixed_size: 4096
    .kernarg_segment_align: 8
    .kernarg_segment_size: 108
    .language:       OpenCL C
    .language_version:
      - 2
      - 0
    .max_flat_workgroup_size: 256
    .name:           _ZL29rocblas_internal_gemmt_kernelIlLi16ELi32ELi8ELc78ELc78ELc76ELb0ELb0EdPKdS1_PdEviT_T9_T10_S3_lS5_S3_lS4_T11_S3_li
    .private_segment_fixed_size: 0
    .sgpr_count:     46
    .sgpr_spill_count: 0
    .symbol:         _ZL29rocblas_internal_gemmt_kernelIlLi16ELi32ELi8ELc78ELc78ELc76ELb0ELb0EdPKdS1_PdEviT_T9_T10_S3_lS5_S3_lS4_T11_S3_li.kd
    .uniform_work_group_size: 1
    .uses_dynamic_stack: false
    .vgpr_count:     46
    .vgpr_spill_count: 0
    .wavefront_size: 32
    .workgroup_processor_mode: 1
  - .args:
      - .offset:         0
        .size:           4
        .value_kind:     by_value
      - .offset:         8
        .size:           8
        .value_kind:     by_value
      - .address_space:  global
        .offset:         16
        .size:           8
        .value_kind:     global_buffer
      - .address_space:  global
        .offset:         24
        .size:           8
        .value_kind:     global_buffer
      - .offset:         32
        .size:           8
        .value_kind:     by_value
      - .offset:         40
        .size:           8
        .value_kind:     by_value
      - .address_space:  global
        .offset:         48
        .size:           8
        .value_kind:     global_buffer
      - .offset:         56
        .size:           8
        .value_kind:     by_value
      - .offset:         64
        .size:           8
        .value_kind:     by_value
      - .address_space:  global
        .offset:         72
        .size:           8
        .value_kind:     global_buffer
      - .address_space:  global
        .offset:         80
        .size:           8
        .value_kind:     global_buffer
      - .offset:         88
        .size:           8
        .value_kind:     by_value
      - .offset:         96
        .size:           8
        .value_kind:     by_value
      - .offset:         104
        .size:           4
        .value_kind:     by_value
    .group_segment_fixed_size: 4096
    .kernarg_segment_align: 8
    .kernarg_segment_size: 108
    .language:       OpenCL C
    .language_version:
      - 2
      - 0
    .max_flat_workgroup_size: 256
    .name:           _ZL29rocblas_internal_gemmt_kernelIlLi16ELi32ELi8ELc78ELc84ELc76ELb0ELb0EdPKdS1_PdEviT_T9_T10_S3_lS5_S3_lS4_T11_S3_li
    .private_segment_fixed_size: 0
    .sgpr_count:     46
    .sgpr_spill_count: 0
    .symbol:         _ZL29rocblas_internal_gemmt_kernelIlLi16ELi32ELi8ELc78ELc84ELc76ELb0ELb0EdPKdS1_PdEviT_T9_T10_S3_lS5_S3_lS4_T11_S3_li.kd
    .uniform_work_group_size: 1
    .uses_dynamic_stack: false
    .vgpr_count:     46
    .vgpr_spill_count: 0
    .wavefront_size: 32
    .workgroup_processor_mode: 1
  - .args:
      - .offset:         0
        .size:           4
        .value_kind:     by_value
      - .offset:         8
        .size:           8
        .value_kind:     by_value
      - .address_space:  global
        .offset:         16
        .size:           8
        .value_kind:     global_buffer
      - .address_space:  global
        .offset:         24
        .size:           8
        .value_kind:     global_buffer
      - .offset:         32
        .size:           8
        .value_kind:     by_value
      - .offset:         40
        .size:           8
        .value_kind:     by_value
      - .address_space:  global
        .offset:         48
        .size:           8
        .value_kind:     global_buffer
      - .offset:         56
        .size:           8
        .value_kind:     by_value
      - .offset:         64
        .size:           8
        .value_kind:     by_value
      - .address_space:  global
        .offset:         72
        .size:           8
        .value_kind:     global_buffer
      - .address_space:  global
        .offset:         80
        .size:           8
        .value_kind:     global_buffer
      - .offset:         88
        .size:           8
        .value_kind:     by_value
      - .offset:         96
        .size:           8
        .value_kind:     by_value
      - .offset:         104
        .size:           4
        .value_kind:     by_value
    .group_segment_fixed_size: 4096
    .kernarg_segment_align: 8
    .kernarg_segment_size: 108
    .language:       OpenCL C
    .language_version:
      - 2
      - 0
    .max_flat_workgroup_size: 256
    .name:           _ZL29rocblas_internal_gemmt_kernelIlLi16ELi32ELi8ELc78ELc67ELc76ELb0ELb0EdPKdS1_PdEviT_T9_T10_S3_lS5_S3_lS4_T11_S3_li
    .private_segment_fixed_size: 0
    .sgpr_count:     46
    .sgpr_spill_count: 0
    .symbol:         _ZL29rocblas_internal_gemmt_kernelIlLi16ELi32ELi8ELc78ELc67ELc76ELb0ELb0EdPKdS1_PdEviT_T9_T10_S3_lS5_S3_lS4_T11_S3_li.kd
    .uniform_work_group_size: 1
    .uses_dynamic_stack: false
    .vgpr_count:     46
    .vgpr_spill_count: 0
    .wavefront_size: 32
    .workgroup_processor_mode: 1
  - .args:
      - .offset:         0
        .size:           4
        .value_kind:     by_value
      - .offset:         8
        .size:           8
        .value_kind:     by_value
      - .address_space:  global
        .offset:         16
        .size:           8
        .value_kind:     global_buffer
      - .address_space:  global
        .offset:         24
        .size:           8
        .value_kind:     global_buffer
      - .offset:         32
        .size:           8
        .value_kind:     by_value
      - .offset:         40
        .size:           8
        .value_kind:     by_value
      - .address_space:  global
        .offset:         48
        .size:           8
        .value_kind:     global_buffer
      - .offset:         56
        .size:           8
        .value_kind:     by_value
      - .offset:         64
        .size:           8
        .value_kind:     by_value
      - .address_space:  global
        .offset:         72
        .size:           8
        .value_kind:     global_buffer
      - .address_space:  global
        .offset:         80
        .size:           8
        .value_kind:     global_buffer
      - .offset:         88
        .size:           8
        .value_kind:     by_value
      - .offset:         96
        .size:           8
        .value_kind:     by_value
      - .offset:         104
        .size:           4
        .value_kind:     by_value
    .group_segment_fixed_size: 4096
    .kernarg_segment_align: 8
    .kernarg_segment_size: 108
    .language:       OpenCL C
    .language_version:
      - 2
      - 0
    .max_flat_workgroup_size: 256
    .name:           _ZL29rocblas_internal_gemmt_kernelIlLi16ELi32ELi8ELc84ELc78ELc76ELb0ELb0EdPKdS1_PdEviT_T9_T10_S3_lS5_S3_lS4_T11_S3_li
    .private_segment_fixed_size: 0
    .sgpr_count:     46
    .sgpr_spill_count: 0
    .symbol:         _ZL29rocblas_internal_gemmt_kernelIlLi16ELi32ELi8ELc84ELc78ELc76ELb0ELb0EdPKdS1_PdEviT_T9_T10_S3_lS5_S3_lS4_T11_S3_li.kd
    .uniform_work_group_size: 1
    .uses_dynamic_stack: false
    .vgpr_count:     46
    .vgpr_spill_count: 0
    .wavefront_size: 32
    .workgroup_processor_mode: 1
  - .args:
      - .offset:         0
        .size:           4
        .value_kind:     by_value
      - .offset:         8
        .size:           8
        .value_kind:     by_value
      - .address_space:  global
        .offset:         16
        .size:           8
        .value_kind:     global_buffer
      - .address_space:  global
        .offset:         24
        .size:           8
        .value_kind:     global_buffer
      - .offset:         32
        .size:           8
        .value_kind:     by_value
      - .offset:         40
        .size:           8
        .value_kind:     by_value
      - .address_space:  global
        .offset:         48
        .size:           8
        .value_kind:     global_buffer
      - .offset:         56
        .size:           8
        .value_kind:     by_value
      - .offset:         64
        .size:           8
        .value_kind:     by_value
      - .address_space:  global
        .offset:         72
        .size:           8
        .value_kind:     global_buffer
      - .address_space:  global
        .offset:         80
        .size:           8
        .value_kind:     global_buffer
      - .offset:         88
        .size:           8
        .value_kind:     by_value
      - .offset:         96
        .size:           8
        .value_kind:     by_value
      - .offset:         104
        .size:           4
        .value_kind:     by_value
    .group_segment_fixed_size: 4096
    .kernarg_segment_align: 8
    .kernarg_segment_size: 108
    .language:       OpenCL C
    .language_version:
      - 2
      - 0
    .max_flat_workgroup_size: 256
    .name:           _ZL29rocblas_internal_gemmt_kernelIlLi16ELi32ELi8ELc84ELc84ELc76ELb0ELb0EdPKdS1_PdEviT_T9_T10_S3_lS5_S3_lS4_T11_S3_li
    .private_segment_fixed_size: 0
    .sgpr_count:     46
    .sgpr_spill_count: 0
    .symbol:         _ZL29rocblas_internal_gemmt_kernelIlLi16ELi32ELi8ELc84ELc84ELc76ELb0ELb0EdPKdS1_PdEviT_T9_T10_S3_lS5_S3_lS4_T11_S3_li.kd
    .uniform_work_group_size: 1
    .uses_dynamic_stack: false
    .vgpr_count:     46
    .vgpr_spill_count: 0
    .wavefront_size: 32
    .workgroup_processor_mode: 1
  - .args:
      - .offset:         0
        .size:           4
        .value_kind:     by_value
      - .offset:         8
        .size:           8
        .value_kind:     by_value
      - .address_space:  global
        .offset:         16
        .size:           8
        .value_kind:     global_buffer
      - .address_space:  global
        .offset:         24
        .size:           8
        .value_kind:     global_buffer
      - .offset:         32
        .size:           8
        .value_kind:     by_value
      - .offset:         40
        .size:           8
        .value_kind:     by_value
      - .address_space:  global
        .offset:         48
        .size:           8
        .value_kind:     global_buffer
      - .offset:         56
        .size:           8
        .value_kind:     by_value
      - .offset:         64
        .size:           8
        .value_kind:     by_value
      - .address_space:  global
        .offset:         72
        .size:           8
        .value_kind:     global_buffer
      - .address_space:  global
        .offset:         80
        .size:           8
        .value_kind:     global_buffer
      - .offset:         88
        .size:           8
        .value_kind:     by_value
      - .offset:         96
        .size:           8
        .value_kind:     by_value
      - .offset:         104
        .size:           4
        .value_kind:     by_value
    .group_segment_fixed_size: 4096
    .kernarg_segment_align: 8
    .kernarg_segment_size: 108
    .language:       OpenCL C
    .language_version:
      - 2
      - 0
    .max_flat_workgroup_size: 256
    .name:           _ZL29rocblas_internal_gemmt_kernelIlLi16ELi32ELi8ELc84ELc67ELc76ELb0ELb0EdPKdS1_PdEviT_T9_T10_S3_lS5_S3_lS4_T11_S3_li
    .private_segment_fixed_size: 0
    .sgpr_count:     46
    .sgpr_spill_count: 0
    .symbol:         _ZL29rocblas_internal_gemmt_kernelIlLi16ELi32ELi8ELc84ELc67ELc76ELb0ELb0EdPKdS1_PdEviT_T9_T10_S3_lS5_S3_lS4_T11_S3_li.kd
    .uniform_work_group_size: 1
    .uses_dynamic_stack: false
    .vgpr_count:     46
    .vgpr_spill_count: 0
    .wavefront_size: 32
    .workgroup_processor_mode: 1
  - .args:
      - .offset:         0
        .size:           4
        .value_kind:     by_value
      - .offset:         8
        .size:           8
        .value_kind:     by_value
      - .address_space:  global
        .offset:         16
        .size:           8
        .value_kind:     global_buffer
      - .address_space:  global
        .offset:         24
        .size:           8
        .value_kind:     global_buffer
      - .offset:         32
        .size:           8
        .value_kind:     by_value
      - .offset:         40
        .size:           8
        .value_kind:     by_value
      - .address_space:  global
        .offset:         48
        .size:           8
        .value_kind:     global_buffer
      - .offset:         56
        .size:           8
        .value_kind:     by_value
      - .offset:         64
        .size:           8
        .value_kind:     by_value
      - .address_space:  global
        .offset:         72
        .size:           8
        .value_kind:     global_buffer
      - .address_space:  global
        .offset:         80
        .size:           8
        .value_kind:     global_buffer
      - .offset:         88
        .size:           8
        .value_kind:     by_value
      - .offset:         96
        .size:           8
        .value_kind:     by_value
      - .offset:         104
        .size:           4
        .value_kind:     by_value
    .group_segment_fixed_size: 4096
    .kernarg_segment_align: 8
    .kernarg_segment_size: 108
    .language:       OpenCL C
    .language_version:
      - 2
      - 0
    .max_flat_workgroup_size: 256
    .name:           _ZL29rocblas_internal_gemmt_kernelIlLi16ELi32ELi8ELc67ELc78ELc76ELb0ELb0EdPKdS1_PdEviT_T9_T10_S3_lS5_S3_lS4_T11_S3_li
    .private_segment_fixed_size: 0
    .sgpr_count:     46
    .sgpr_spill_count: 0
    .symbol:         _ZL29rocblas_internal_gemmt_kernelIlLi16ELi32ELi8ELc67ELc78ELc76ELb0ELb0EdPKdS1_PdEviT_T9_T10_S3_lS5_S3_lS4_T11_S3_li.kd
    .uniform_work_group_size: 1
    .uses_dynamic_stack: false
    .vgpr_count:     46
    .vgpr_spill_count: 0
    .wavefront_size: 32
    .workgroup_processor_mode: 1
  - .args:
      - .offset:         0
        .size:           4
        .value_kind:     by_value
      - .offset:         8
        .size:           8
        .value_kind:     by_value
      - .address_space:  global
        .offset:         16
        .size:           8
        .value_kind:     global_buffer
      - .address_space:  global
        .offset:         24
        .size:           8
        .value_kind:     global_buffer
      - .offset:         32
        .size:           8
        .value_kind:     by_value
      - .offset:         40
        .size:           8
        .value_kind:     by_value
      - .address_space:  global
        .offset:         48
        .size:           8
        .value_kind:     global_buffer
      - .offset:         56
        .size:           8
        .value_kind:     by_value
      - .offset:         64
        .size:           8
        .value_kind:     by_value
      - .address_space:  global
        .offset:         72
        .size:           8
        .value_kind:     global_buffer
      - .address_space:  global
        .offset:         80
        .size:           8
        .value_kind:     global_buffer
      - .offset:         88
        .size:           8
        .value_kind:     by_value
      - .offset:         96
        .size:           8
        .value_kind:     by_value
      - .offset:         104
        .size:           4
        .value_kind:     by_value
    .group_segment_fixed_size: 4096
    .kernarg_segment_align: 8
    .kernarg_segment_size: 108
    .language:       OpenCL C
    .language_version:
      - 2
      - 0
    .max_flat_workgroup_size: 256
    .name:           _ZL29rocblas_internal_gemmt_kernelIlLi16ELi32ELi8ELc67ELc84ELc76ELb0ELb0EdPKdS1_PdEviT_T9_T10_S3_lS5_S3_lS4_T11_S3_li
    .private_segment_fixed_size: 0
    .sgpr_count:     46
    .sgpr_spill_count: 0
    .symbol:         _ZL29rocblas_internal_gemmt_kernelIlLi16ELi32ELi8ELc67ELc84ELc76ELb0ELb0EdPKdS1_PdEviT_T9_T10_S3_lS5_S3_lS4_T11_S3_li.kd
    .uniform_work_group_size: 1
    .uses_dynamic_stack: false
    .vgpr_count:     46
    .vgpr_spill_count: 0
    .wavefront_size: 32
    .workgroup_processor_mode: 1
  - .args:
      - .offset:         0
        .size:           4
        .value_kind:     by_value
      - .offset:         8
        .size:           8
        .value_kind:     by_value
      - .address_space:  global
        .offset:         16
        .size:           8
        .value_kind:     global_buffer
      - .address_space:  global
        .offset:         24
        .size:           8
        .value_kind:     global_buffer
      - .offset:         32
        .size:           8
        .value_kind:     by_value
      - .offset:         40
        .size:           8
        .value_kind:     by_value
      - .address_space:  global
        .offset:         48
        .size:           8
        .value_kind:     global_buffer
      - .offset:         56
        .size:           8
        .value_kind:     by_value
      - .offset:         64
        .size:           8
        .value_kind:     by_value
      - .address_space:  global
        .offset:         72
        .size:           8
        .value_kind:     global_buffer
      - .address_space:  global
        .offset:         80
        .size:           8
        .value_kind:     global_buffer
      - .offset:         88
        .size:           8
        .value_kind:     by_value
      - .offset:         96
        .size:           8
        .value_kind:     by_value
      - .offset:         104
        .size:           4
        .value_kind:     by_value
    .group_segment_fixed_size: 4096
    .kernarg_segment_align: 8
    .kernarg_segment_size: 108
    .language:       OpenCL C
    .language_version:
      - 2
      - 0
    .max_flat_workgroup_size: 256
    .name:           _ZL29rocblas_internal_gemmt_kernelIlLi16ELi32ELi8ELc67ELc67ELc76ELb0ELb0EdPKdS1_PdEviT_T9_T10_S3_lS5_S3_lS4_T11_S3_li
    .private_segment_fixed_size: 0
    .sgpr_count:     46
    .sgpr_spill_count: 0
    .symbol:         _ZL29rocblas_internal_gemmt_kernelIlLi16ELi32ELi8ELc67ELc67ELc76ELb0ELb0EdPKdS1_PdEviT_T9_T10_S3_lS5_S3_lS4_T11_S3_li.kd
    .uniform_work_group_size: 1
    .uses_dynamic_stack: false
    .vgpr_count:     46
    .vgpr_spill_count: 0
    .wavefront_size: 32
    .workgroup_processor_mode: 1
  - .args:
      - .offset:         0
        .size:           4
        .value_kind:     by_value
      - .offset:         8
        .size:           8
        .value_kind:     by_value
      - .offset:         16
        .size:           8
        .value_kind:     by_value
      - .address_space:  global
        .offset:         24
        .size:           8
        .value_kind:     global_buffer
      - .offset:         32
        .size:           8
        .value_kind:     by_value
      - .offset:         40
        .size:           8
        .value_kind:     by_value
      - .address_space:  global
        .offset:         48
        .size:           8
        .value_kind:     global_buffer
      - .offset:         56
        .size:           8
        .value_kind:     by_value
      - .offset:         64
        .size:           8
        .value_kind:     by_value
      - .offset:         72
        .size:           8
        .value_kind:     by_value
      - .address_space:  global
        .offset:         80
        .size:           8
        .value_kind:     global_buffer
      - .offset:         88
        .size:           8
        .value_kind:     by_value
      - .offset:         96
        .size:           8
        .value_kind:     by_value
      - .offset:         104
        .size:           4
        .value_kind:     by_value
    .group_segment_fixed_size: 4096
    .kernarg_segment_align: 8
    .kernarg_segment_size: 108
    .language:       OpenCL C
    .language_version:
      - 2
      - 0
    .max_flat_workgroup_size: 256
    .name:           _ZL29rocblas_internal_gemmt_kernelIlLi16ELi32ELi8ELc78ELc78ELc85ELb0ELb0EddPKdPdEviT_T9_T10_S3_lS5_S3_lS4_T11_S3_li
    .private_segment_fixed_size: 0
    .sgpr_count:     46
    .sgpr_spill_count: 0
    .symbol:         _ZL29rocblas_internal_gemmt_kernelIlLi16ELi32ELi8ELc78ELc78ELc85ELb0ELb0EddPKdPdEviT_T9_T10_S3_lS5_S3_lS4_T11_S3_li.kd
    .uniform_work_group_size: 1
    .uses_dynamic_stack: false
    .vgpr_count:     46
    .vgpr_spill_count: 0
    .wavefront_size: 32
    .workgroup_processor_mode: 1
  - .args:
      - .offset:         0
        .size:           4
        .value_kind:     by_value
      - .offset:         8
        .size:           8
        .value_kind:     by_value
      - .offset:         16
        .size:           8
        .value_kind:     by_value
      - .address_space:  global
        .offset:         24
        .size:           8
        .value_kind:     global_buffer
      - .offset:         32
        .size:           8
        .value_kind:     by_value
      - .offset:         40
        .size:           8
        .value_kind:     by_value
      - .address_space:  global
        .offset:         48
        .size:           8
        .value_kind:     global_buffer
      - .offset:         56
        .size:           8
        .value_kind:     by_value
      - .offset:         64
        .size:           8
        .value_kind:     by_value
      - .offset:         72
        .size:           8
        .value_kind:     by_value
      - .address_space:  global
        .offset:         80
        .size:           8
        .value_kind:     global_buffer
      - .offset:         88
        .size:           8
        .value_kind:     by_value
      - .offset:         96
        .size:           8
        .value_kind:     by_value
      - .offset:         104
        .size:           4
        .value_kind:     by_value
    .group_segment_fixed_size: 4096
    .kernarg_segment_align: 8
    .kernarg_segment_size: 108
    .language:       OpenCL C
    .language_version:
      - 2
      - 0
    .max_flat_workgroup_size: 256
    .name:           _ZL29rocblas_internal_gemmt_kernelIlLi16ELi32ELi8ELc78ELc84ELc85ELb0ELb0EddPKdPdEviT_T9_T10_S3_lS5_S3_lS4_T11_S3_li
    .private_segment_fixed_size: 0
    .sgpr_count:     46
    .sgpr_spill_count: 0
    .symbol:         _ZL29rocblas_internal_gemmt_kernelIlLi16ELi32ELi8ELc78ELc84ELc85ELb0ELb0EddPKdPdEviT_T9_T10_S3_lS5_S3_lS4_T11_S3_li.kd
    .uniform_work_group_size: 1
    .uses_dynamic_stack: false
    .vgpr_count:     46
    .vgpr_spill_count: 0
    .wavefront_size: 32
    .workgroup_processor_mode: 1
  - .args:
      - .offset:         0
        .size:           4
        .value_kind:     by_value
      - .offset:         8
        .size:           8
        .value_kind:     by_value
      - .offset:         16
        .size:           8
        .value_kind:     by_value
      - .address_space:  global
        .offset:         24
        .size:           8
        .value_kind:     global_buffer
      - .offset:         32
        .size:           8
        .value_kind:     by_value
      - .offset:         40
        .size:           8
        .value_kind:     by_value
      - .address_space:  global
        .offset:         48
        .size:           8
        .value_kind:     global_buffer
      - .offset:         56
        .size:           8
        .value_kind:     by_value
      - .offset:         64
        .size:           8
        .value_kind:     by_value
      - .offset:         72
        .size:           8
        .value_kind:     by_value
      - .address_space:  global
        .offset:         80
        .size:           8
        .value_kind:     global_buffer
      - .offset:         88
        .size:           8
        .value_kind:     by_value
      - .offset:         96
        .size:           8
        .value_kind:     by_value
      - .offset:         104
        .size:           4
        .value_kind:     by_value
    .group_segment_fixed_size: 4096
    .kernarg_segment_align: 8
    .kernarg_segment_size: 108
    .language:       OpenCL C
    .language_version:
      - 2
      - 0
    .max_flat_workgroup_size: 256
    .name:           _ZL29rocblas_internal_gemmt_kernelIlLi16ELi32ELi8ELc78ELc67ELc85ELb0ELb0EddPKdPdEviT_T9_T10_S3_lS5_S3_lS4_T11_S3_li
    .private_segment_fixed_size: 0
    .sgpr_count:     46
    .sgpr_spill_count: 0
    .symbol:         _ZL29rocblas_internal_gemmt_kernelIlLi16ELi32ELi8ELc78ELc67ELc85ELb0ELb0EddPKdPdEviT_T9_T10_S3_lS5_S3_lS4_T11_S3_li.kd
    .uniform_work_group_size: 1
    .uses_dynamic_stack: false
    .vgpr_count:     46
    .vgpr_spill_count: 0
    .wavefront_size: 32
    .workgroup_processor_mode: 1
  - .args:
      - .offset:         0
        .size:           4
        .value_kind:     by_value
      - .offset:         8
        .size:           8
        .value_kind:     by_value
      - .offset:         16
        .size:           8
        .value_kind:     by_value
      - .address_space:  global
        .offset:         24
        .size:           8
        .value_kind:     global_buffer
      - .offset:         32
        .size:           8
        .value_kind:     by_value
      - .offset:         40
        .size:           8
        .value_kind:     by_value
      - .address_space:  global
        .offset:         48
        .size:           8
        .value_kind:     global_buffer
      - .offset:         56
        .size:           8
        .value_kind:     by_value
      - .offset:         64
        .size:           8
        .value_kind:     by_value
      - .offset:         72
        .size:           8
        .value_kind:     by_value
      - .address_space:  global
        .offset:         80
        .size:           8
        .value_kind:     global_buffer
      - .offset:         88
        .size:           8
        .value_kind:     by_value
      - .offset:         96
        .size:           8
        .value_kind:     by_value
      - .offset:         104
        .size:           4
        .value_kind:     by_value
    .group_segment_fixed_size: 4096
    .kernarg_segment_align: 8
    .kernarg_segment_size: 108
    .language:       OpenCL C
    .language_version:
      - 2
      - 0
    .max_flat_workgroup_size: 256
    .name:           _ZL29rocblas_internal_gemmt_kernelIlLi16ELi32ELi8ELc84ELc78ELc85ELb0ELb0EddPKdPdEviT_T9_T10_S3_lS5_S3_lS4_T11_S3_li
    .private_segment_fixed_size: 0
    .sgpr_count:     46
    .sgpr_spill_count: 0
    .symbol:         _ZL29rocblas_internal_gemmt_kernelIlLi16ELi32ELi8ELc84ELc78ELc85ELb0ELb0EddPKdPdEviT_T9_T10_S3_lS5_S3_lS4_T11_S3_li.kd
    .uniform_work_group_size: 1
    .uses_dynamic_stack: false
    .vgpr_count:     46
    .vgpr_spill_count: 0
    .wavefront_size: 32
    .workgroup_processor_mode: 1
  - .args:
      - .offset:         0
        .size:           4
        .value_kind:     by_value
      - .offset:         8
        .size:           8
        .value_kind:     by_value
      - .offset:         16
        .size:           8
        .value_kind:     by_value
      - .address_space:  global
        .offset:         24
        .size:           8
        .value_kind:     global_buffer
      - .offset:         32
        .size:           8
        .value_kind:     by_value
      - .offset:         40
        .size:           8
        .value_kind:     by_value
      - .address_space:  global
        .offset:         48
        .size:           8
        .value_kind:     global_buffer
      - .offset:         56
        .size:           8
        .value_kind:     by_value
      - .offset:         64
        .size:           8
        .value_kind:     by_value
      - .offset:         72
        .size:           8
        .value_kind:     by_value
      - .address_space:  global
        .offset:         80
        .size:           8
        .value_kind:     global_buffer
      - .offset:         88
        .size:           8
        .value_kind:     by_value
      - .offset:         96
        .size:           8
        .value_kind:     by_value
      - .offset:         104
        .size:           4
        .value_kind:     by_value
    .group_segment_fixed_size: 4096
    .kernarg_segment_align: 8
    .kernarg_segment_size: 108
    .language:       OpenCL C
    .language_version:
      - 2
      - 0
    .max_flat_workgroup_size: 256
    .name:           _ZL29rocblas_internal_gemmt_kernelIlLi16ELi32ELi8ELc84ELc84ELc85ELb0ELb0EddPKdPdEviT_T9_T10_S3_lS5_S3_lS4_T11_S3_li
    .private_segment_fixed_size: 0
    .sgpr_count:     46
    .sgpr_spill_count: 0
    .symbol:         _ZL29rocblas_internal_gemmt_kernelIlLi16ELi32ELi8ELc84ELc84ELc85ELb0ELb0EddPKdPdEviT_T9_T10_S3_lS5_S3_lS4_T11_S3_li.kd
    .uniform_work_group_size: 1
    .uses_dynamic_stack: false
    .vgpr_count:     46
    .vgpr_spill_count: 0
    .wavefront_size: 32
    .workgroup_processor_mode: 1
  - .args:
      - .offset:         0
        .size:           4
        .value_kind:     by_value
      - .offset:         8
        .size:           8
        .value_kind:     by_value
      - .offset:         16
        .size:           8
        .value_kind:     by_value
      - .address_space:  global
        .offset:         24
        .size:           8
        .value_kind:     global_buffer
      - .offset:         32
        .size:           8
        .value_kind:     by_value
      - .offset:         40
        .size:           8
        .value_kind:     by_value
      - .address_space:  global
        .offset:         48
        .size:           8
        .value_kind:     global_buffer
      - .offset:         56
        .size:           8
        .value_kind:     by_value
      - .offset:         64
        .size:           8
        .value_kind:     by_value
      - .offset:         72
        .size:           8
        .value_kind:     by_value
      - .address_space:  global
        .offset:         80
        .size:           8
        .value_kind:     global_buffer
      - .offset:         88
        .size:           8
        .value_kind:     by_value
      - .offset:         96
        .size:           8
        .value_kind:     by_value
      - .offset:         104
        .size:           4
        .value_kind:     by_value
    .group_segment_fixed_size: 4096
    .kernarg_segment_align: 8
    .kernarg_segment_size: 108
    .language:       OpenCL C
    .language_version:
      - 2
      - 0
    .max_flat_workgroup_size: 256
    .name:           _ZL29rocblas_internal_gemmt_kernelIlLi16ELi32ELi8ELc84ELc67ELc85ELb0ELb0EddPKdPdEviT_T9_T10_S3_lS5_S3_lS4_T11_S3_li
    .private_segment_fixed_size: 0
    .sgpr_count:     46
    .sgpr_spill_count: 0
    .symbol:         _ZL29rocblas_internal_gemmt_kernelIlLi16ELi32ELi8ELc84ELc67ELc85ELb0ELb0EddPKdPdEviT_T9_T10_S3_lS5_S3_lS4_T11_S3_li.kd
    .uniform_work_group_size: 1
    .uses_dynamic_stack: false
    .vgpr_count:     46
    .vgpr_spill_count: 0
    .wavefront_size: 32
    .workgroup_processor_mode: 1
  - .args:
      - .offset:         0
        .size:           4
        .value_kind:     by_value
      - .offset:         8
        .size:           8
        .value_kind:     by_value
      - .offset:         16
        .size:           8
        .value_kind:     by_value
      - .address_space:  global
        .offset:         24
        .size:           8
        .value_kind:     global_buffer
      - .offset:         32
        .size:           8
        .value_kind:     by_value
      - .offset:         40
        .size:           8
        .value_kind:     by_value
      - .address_space:  global
        .offset:         48
        .size:           8
        .value_kind:     global_buffer
      - .offset:         56
        .size:           8
        .value_kind:     by_value
      - .offset:         64
        .size:           8
        .value_kind:     by_value
      - .offset:         72
        .size:           8
        .value_kind:     by_value
      - .address_space:  global
        .offset:         80
        .size:           8
        .value_kind:     global_buffer
      - .offset:         88
        .size:           8
        .value_kind:     by_value
      - .offset:         96
        .size:           8
        .value_kind:     by_value
      - .offset:         104
        .size:           4
        .value_kind:     by_value
    .group_segment_fixed_size: 4096
    .kernarg_segment_align: 8
    .kernarg_segment_size: 108
    .language:       OpenCL C
    .language_version:
      - 2
      - 0
    .max_flat_workgroup_size: 256
    .name:           _ZL29rocblas_internal_gemmt_kernelIlLi16ELi32ELi8ELc67ELc78ELc85ELb0ELb0EddPKdPdEviT_T9_T10_S3_lS5_S3_lS4_T11_S3_li
    .private_segment_fixed_size: 0
    .sgpr_count:     46
    .sgpr_spill_count: 0
    .symbol:         _ZL29rocblas_internal_gemmt_kernelIlLi16ELi32ELi8ELc67ELc78ELc85ELb0ELb0EddPKdPdEviT_T9_T10_S3_lS5_S3_lS4_T11_S3_li.kd
    .uniform_work_group_size: 1
    .uses_dynamic_stack: false
    .vgpr_count:     46
    .vgpr_spill_count: 0
    .wavefront_size: 32
    .workgroup_processor_mode: 1
  - .args:
      - .offset:         0
        .size:           4
        .value_kind:     by_value
      - .offset:         8
        .size:           8
        .value_kind:     by_value
      - .offset:         16
        .size:           8
        .value_kind:     by_value
      - .address_space:  global
        .offset:         24
        .size:           8
        .value_kind:     global_buffer
      - .offset:         32
        .size:           8
        .value_kind:     by_value
      - .offset:         40
        .size:           8
        .value_kind:     by_value
      - .address_space:  global
        .offset:         48
        .size:           8
        .value_kind:     global_buffer
      - .offset:         56
        .size:           8
        .value_kind:     by_value
      - .offset:         64
        .size:           8
        .value_kind:     by_value
      - .offset:         72
        .size:           8
        .value_kind:     by_value
      - .address_space:  global
        .offset:         80
        .size:           8
        .value_kind:     global_buffer
      - .offset:         88
        .size:           8
        .value_kind:     by_value
      - .offset:         96
        .size:           8
        .value_kind:     by_value
      - .offset:         104
        .size:           4
        .value_kind:     by_value
    .group_segment_fixed_size: 4096
    .kernarg_segment_align: 8
    .kernarg_segment_size: 108
    .language:       OpenCL C
    .language_version:
      - 2
      - 0
    .max_flat_workgroup_size: 256
    .name:           _ZL29rocblas_internal_gemmt_kernelIlLi16ELi32ELi8ELc67ELc84ELc85ELb0ELb0EddPKdPdEviT_T9_T10_S3_lS5_S3_lS4_T11_S3_li
    .private_segment_fixed_size: 0
    .sgpr_count:     46
    .sgpr_spill_count: 0
    .symbol:         _ZL29rocblas_internal_gemmt_kernelIlLi16ELi32ELi8ELc67ELc84ELc85ELb0ELb0EddPKdPdEviT_T9_T10_S3_lS5_S3_lS4_T11_S3_li.kd
    .uniform_work_group_size: 1
    .uses_dynamic_stack: false
    .vgpr_count:     46
    .vgpr_spill_count: 0
    .wavefront_size: 32
    .workgroup_processor_mode: 1
  - .args:
      - .offset:         0
        .size:           4
        .value_kind:     by_value
      - .offset:         8
        .size:           8
        .value_kind:     by_value
      - .offset:         16
        .size:           8
        .value_kind:     by_value
      - .address_space:  global
        .offset:         24
        .size:           8
        .value_kind:     global_buffer
      - .offset:         32
        .size:           8
        .value_kind:     by_value
      - .offset:         40
        .size:           8
        .value_kind:     by_value
      - .address_space:  global
        .offset:         48
        .size:           8
        .value_kind:     global_buffer
      - .offset:         56
        .size:           8
        .value_kind:     by_value
      - .offset:         64
        .size:           8
        .value_kind:     by_value
      - .offset:         72
        .size:           8
        .value_kind:     by_value
      - .address_space:  global
        .offset:         80
        .size:           8
        .value_kind:     global_buffer
      - .offset:         88
        .size:           8
        .value_kind:     by_value
      - .offset:         96
        .size:           8
        .value_kind:     by_value
      - .offset:         104
        .size:           4
        .value_kind:     by_value
    .group_segment_fixed_size: 4096
    .kernarg_segment_align: 8
    .kernarg_segment_size: 108
    .language:       OpenCL C
    .language_version:
      - 2
      - 0
    .max_flat_workgroup_size: 256
    .name:           _ZL29rocblas_internal_gemmt_kernelIlLi16ELi32ELi8ELc67ELc67ELc85ELb0ELb0EddPKdPdEviT_T9_T10_S3_lS5_S3_lS4_T11_S3_li
    .private_segment_fixed_size: 0
    .sgpr_count:     46
    .sgpr_spill_count: 0
    .symbol:         _ZL29rocblas_internal_gemmt_kernelIlLi16ELi32ELi8ELc67ELc67ELc85ELb0ELb0EddPKdPdEviT_T9_T10_S3_lS5_S3_lS4_T11_S3_li.kd
    .uniform_work_group_size: 1
    .uses_dynamic_stack: false
    .vgpr_count:     46
    .vgpr_spill_count: 0
    .wavefront_size: 32
    .workgroup_processor_mode: 1
  - .args:
      - .offset:         0
        .size:           4
        .value_kind:     by_value
      - .offset:         8
        .size:           8
        .value_kind:     by_value
      - .offset:         16
        .size:           8
        .value_kind:     by_value
      - .address_space:  global
        .offset:         24
        .size:           8
        .value_kind:     global_buffer
      - .offset:         32
        .size:           8
        .value_kind:     by_value
      - .offset:         40
        .size:           8
        .value_kind:     by_value
      - .address_space:  global
        .offset:         48
        .size:           8
        .value_kind:     global_buffer
      - .offset:         56
        .size:           8
        .value_kind:     by_value
      - .offset:         64
        .size:           8
        .value_kind:     by_value
      - .offset:         72
        .size:           8
        .value_kind:     by_value
      - .address_space:  global
        .offset:         80
        .size:           8
        .value_kind:     global_buffer
      - .offset:         88
        .size:           8
        .value_kind:     by_value
      - .offset:         96
        .size:           8
        .value_kind:     by_value
      - .offset:         104
        .size:           4
        .value_kind:     by_value
    .group_segment_fixed_size: 4096
    .kernarg_segment_align: 8
    .kernarg_segment_size: 108
    .language:       OpenCL C
    .language_version:
      - 2
      - 0
    .max_flat_workgroup_size: 256
    .name:           _ZL29rocblas_internal_gemmt_kernelIlLi16ELi32ELi8ELc78ELc78ELc76ELb0ELb0EddPKdPdEviT_T9_T10_S3_lS5_S3_lS4_T11_S3_li
    .private_segment_fixed_size: 0
    .sgpr_count:     46
    .sgpr_spill_count: 0
    .symbol:         _ZL29rocblas_internal_gemmt_kernelIlLi16ELi32ELi8ELc78ELc78ELc76ELb0ELb0EddPKdPdEviT_T9_T10_S3_lS5_S3_lS4_T11_S3_li.kd
    .uniform_work_group_size: 1
    .uses_dynamic_stack: false
    .vgpr_count:     46
    .vgpr_spill_count: 0
    .wavefront_size: 32
    .workgroup_processor_mode: 1
  - .args:
      - .offset:         0
        .size:           4
        .value_kind:     by_value
      - .offset:         8
        .size:           8
        .value_kind:     by_value
      - .offset:         16
        .size:           8
        .value_kind:     by_value
      - .address_space:  global
        .offset:         24
        .size:           8
        .value_kind:     global_buffer
      - .offset:         32
        .size:           8
        .value_kind:     by_value
      - .offset:         40
        .size:           8
        .value_kind:     by_value
      - .address_space:  global
        .offset:         48
        .size:           8
        .value_kind:     global_buffer
      - .offset:         56
        .size:           8
        .value_kind:     by_value
      - .offset:         64
        .size:           8
        .value_kind:     by_value
      - .offset:         72
        .size:           8
        .value_kind:     by_value
      - .address_space:  global
        .offset:         80
        .size:           8
        .value_kind:     global_buffer
      - .offset:         88
        .size:           8
        .value_kind:     by_value
      - .offset:         96
        .size:           8
        .value_kind:     by_value
      - .offset:         104
        .size:           4
        .value_kind:     by_value
    .group_segment_fixed_size: 4096
    .kernarg_segment_align: 8
    .kernarg_segment_size: 108
    .language:       OpenCL C
    .language_version:
      - 2
      - 0
    .max_flat_workgroup_size: 256
    .name:           _ZL29rocblas_internal_gemmt_kernelIlLi16ELi32ELi8ELc78ELc84ELc76ELb0ELb0EddPKdPdEviT_T9_T10_S3_lS5_S3_lS4_T11_S3_li
    .private_segment_fixed_size: 0
    .sgpr_count:     46
    .sgpr_spill_count: 0
    .symbol:         _ZL29rocblas_internal_gemmt_kernelIlLi16ELi32ELi8ELc78ELc84ELc76ELb0ELb0EddPKdPdEviT_T9_T10_S3_lS5_S3_lS4_T11_S3_li.kd
    .uniform_work_group_size: 1
    .uses_dynamic_stack: false
    .vgpr_count:     46
    .vgpr_spill_count: 0
    .wavefront_size: 32
    .workgroup_processor_mode: 1
  - .args:
      - .offset:         0
        .size:           4
        .value_kind:     by_value
      - .offset:         8
        .size:           8
        .value_kind:     by_value
      - .offset:         16
        .size:           8
        .value_kind:     by_value
      - .address_space:  global
        .offset:         24
        .size:           8
        .value_kind:     global_buffer
      - .offset:         32
        .size:           8
        .value_kind:     by_value
      - .offset:         40
        .size:           8
        .value_kind:     by_value
      - .address_space:  global
        .offset:         48
        .size:           8
        .value_kind:     global_buffer
      - .offset:         56
        .size:           8
        .value_kind:     by_value
      - .offset:         64
        .size:           8
        .value_kind:     by_value
      - .offset:         72
        .size:           8
        .value_kind:     by_value
      - .address_space:  global
        .offset:         80
        .size:           8
        .value_kind:     global_buffer
      - .offset:         88
        .size:           8
        .value_kind:     by_value
      - .offset:         96
        .size:           8
        .value_kind:     by_value
      - .offset:         104
        .size:           4
        .value_kind:     by_value
    .group_segment_fixed_size: 4096
    .kernarg_segment_align: 8
    .kernarg_segment_size: 108
    .language:       OpenCL C
    .language_version:
      - 2
      - 0
    .max_flat_workgroup_size: 256
    .name:           _ZL29rocblas_internal_gemmt_kernelIlLi16ELi32ELi8ELc78ELc67ELc76ELb0ELb0EddPKdPdEviT_T9_T10_S3_lS5_S3_lS4_T11_S3_li
    .private_segment_fixed_size: 0
    .sgpr_count:     46
    .sgpr_spill_count: 0
    .symbol:         _ZL29rocblas_internal_gemmt_kernelIlLi16ELi32ELi8ELc78ELc67ELc76ELb0ELb0EddPKdPdEviT_T9_T10_S3_lS5_S3_lS4_T11_S3_li.kd
    .uniform_work_group_size: 1
    .uses_dynamic_stack: false
    .vgpr_count:     46
    .vgpr_spill_count: 0
    .wavefront_size: 32
    .workgroup_processor_mode: 1
  - .args:
      - .offset:         0
        .size:           4
        .value_kind:     by_value
      - .offset:         8
        .size:           8
        .value_kind:     by_value
      - .offset:         16
        .size:           8
        .value_kind:     by_value
      - .address_space:  global
        .offset:         24
        .size:           8
        .value_kind:     global_buffer
      - .offset:         32
        .size:           8
        .value_kind:     by_value
      - .offset:         40
        .size:           8
        .value_kind:     by_value
      - .address_space:  global
        .offset:         48
        .size:           8
        .value_kind:     global_buffer
      - .offset:         56
        .size:           8
        .value_kind:     by_value
      - .offset:         64
        .size:           8
        .value_kind:     by_value
      - .offset:         72
        .size:           8
        .value_kind:     by_value
      - .address_space:  global
        .offset:         80
        .size:           8
        .value_kind:     global_buffer
      - .offset:         88
        .size:           8
        .value_kind:     by_value
      - .offset:         96
        .size:           8
        .value_kind:     by_value
      - .offset:         104
        .size:           4
        .value_kind:     by_value
    .group_segment_fixed_size: 4096
    .kernarg_segment_align: 8
    .kernarg_segment_size: 108
    .language:       OpenCL C
    .language_version:
      - 2
      - 0
    .max_flat_workgroup_size: 256
    .name:           _ZL29rocblas_internal_gemmt_kernelIlLi16ELi32ELi8ELc84ELc78ELc76ELb0ELb0EddPKdPdEviT_T9_T10_S3_lS5_S3_lS4_T11_S3_li
    .private_segment_fixed_size: 0
    .sgpr_count:     46
    .sgpr_spill_count: 0
    .symbol:         _ZL29rocblas_internal_gemmt_kernelIlLi16ELi32ELi8ELc84ELc78ELc76ELb0ELb0EddPKdPdEviT_T9_T10_S3_lS5_S3_lS4_T11_S3_li.kd
    .uniform_work_group_size: 1
    .uses_dynamic_stack: false
    .vgpr_count:     46
    .vgpr_spill_count: 0
    .wavefront_size: 32
    .workgroup_processor_mode: 1
  - .args:
      - .offset:         0
        .size:           4
        .value_kind:     by_value
      - .offset:         8
        .size:           8
        .value_kind:     by_value
      - .offset:         16
        .size:           8
        .value_kind:     by_value
      - .address_space:  global
        .offset:         24
        .size:           8
        .value_kind:     global_buffer
      - .offset:         32
        .size:           8
        .value_kind:     by_value
      - .offset:         40
        .size:           8
        .value_kind:     by_value
      - .address_space:  global
        .offset:         48
        .size:           8
        .value_kind:     global_buffer
      - .offset:         56
        .size:           8
        .value_kind:     by_value
      - .offset:         64
        .size:           8
        .value_kind:     by_value
      - .offset:         72
        .size:           8
        .value_kind:     by_value
      - .address_space:  global
        .offset:         80
        .size:           8
        .value_kind:     global_buffer
      - .offset:         88
        .size:           8
        .value_kind:     by_value
      - .offset:         96
        .size:           8
        .value_kind:     by_value
      - .offset:         104
        .size:           4
        .value_kind:     by_value
    .group_segment_fixed_size: 4096
    .kernarg_segment_align: 8
    .kernarg_segment_size: 108
    .language:       OpenCL C
    .language_version:
      - 2
      - 0
    .max_flat_workgroup_size: 256
    .name:           _ZL29rocblas_internal_gemmt_kernelIlLi16ELi32ELi8ELc84ELc84ELc76ELb0ELb0EddPKdPdEviT_T9_T10_S3_lS5_S3_lS4_T11_S3_li
    .private_segment_fixed_size: 0
    .sgpr_count:     46
    .sgpr_spill_count: 0
    .symbol:         _ZL29rocblas_internal_gemmt_kernelIlLi16ELi32ELi8ELc84ELc84ELc76ELb0ELb0EddPKdPdEviT_T9_T10_S3_lS5_S3_lS4_T11_S3_li.kd
    .uniform_work_group_size: 1
    .uses_dynamic_stack: false
    .vgpr_count:     46
    .vgpr_spill_count: 0
    .wavefront_size: 32
    .workgroup_processor_mode: 1
  - .args:
      - .offset:         0
        .size:           4
        .value_kind:     by_value
      - .offset:         8
        .size:           8
        .value_kind:     by_value
      - .offset:         16
        .size:           8
        .value_kind:     by_value
      - .address_space:  global
        .offset:         24
        .size:           8
        .value_kind:     global_buffer
      - .offset:         32
        .size:           8
        .value_kind:     by_value
      - .offset:         40
        .size:           8
        .value_kind:     by_value
      - .address_space:  global
        .offset:         48
        .size:           8
        .value_kind:     global_buffer
      - .offset:         56
        .size:           8
        .value_kind:     by_value
      - .offset:         64
        .size:           8
        .value_kind:     by_value
      - .offset:         72
        .size:           8
        .value_kind:     by_value
      - .address_space:  global
        .offset:         80
        .size:           8
        .value_kind:     global_buffer
      - .offset:         88
        .size:           8
        .value_kind:     by_value
      - .offset:         96
        .size:           8
        .value_kind:     by_value
      - .offset:         104
        .size:           4
        .value_kind:     by_value
    .group_segment_fixed_size: 4096
    .kernarg_segment_align: 8
    .kernarg_segment_size: 108
    .language:       OpenCL C
    .language_version:
      - 2
      - 0
    .max_flat_workgroup_size: 256
    .name:           _ZL29rocblas_internal_gemmt_kernelIlLi16ELi32ELi8ELc84ELc67ELc76ELb0ELb0EddPKdPdEviT_T9_T10_S3_lS5_S3_lS4_T11_S3_li
    .private_segment_fixed_size: 0
    .sgpr_count:     46
    .sgpr_spill_count: 0
    .symbol:         _ZL29rocblas_internal_gemmt_kernelIlLi16ELi32ELi8ELc84ELc67ELc76ELb0ELb0EddPKdPdEviT_T9_T10_S3_lS5_S3_lS4_T11_S3_li.kd
    .uniform_work_group_size: 1
    .uses_dynamic_stack: false
    .vgpr_count:     46
    .vgpr_spill_count: 0
    .wavefront_size: 32
    .workgroup_processor_mode: 1
  - .args:
      - .offset:         0
        .size:           4
        .value_kind:     by_value
      - .offset:         8
        .size:           8
        .value_kind:     by_value
      - .offset:         16
        .size:           8
        .value_kind:     by_value
      - .address_space:  global
        .offset:         24
        .size:           8
        .value_kind:     global_buffer
      - .offset:         32
        .size:           8
        .value_kind:     by_value
      - .offset:         40
        .size:           8
        .value_kind:     by_value
      - .address_space:  global
        .offset:         48
        .size:           8
        .value_kind:     global_buffer
      - .offset:         56
        .size:           8
        .value_kind:     by_value
      - .offset:         64
        .size:           8
        .value_kind:     by_value
      - .offset:         72
        .size:           8
        .value_kind:     by_value
      - .address_space:  global
        .offset:         80
        .size:           8
        .value_kind:     global_buffer
      - .offset:         88
        .size:           8
        .value_kind:     by_value
      - .offset:         96
        .size:           8
        .value_kind:     by_value
      - .offset:         104
        .size:           4
        .value_kind:     by_value
    .group_segment_fixed_size: 4096
    .kernarg_segment_align: 8
    .kernarg_segment_size: 108
    .language:       OpenCL C
    .language_version:
      - 2
      - 0
    .max_flat_workgroup_size: 256
    .name:           _ZL29rocblas_internal_gemmt_kernelIlLi16ELi32ELi8ELc67ELc78ELc76ELb0ELb0EddPKdPdEviT_T9_T10_S3_lS5_S3_lS4_T11_S3_li
    .private_segment_fixed_size: 0
    .sgpr_count:     46
    .sgpr_spill_count: 0
    .symbol:         _ZL29rocblas_internal_gemmt_kernelIlLi16ELi32ELi8ELc67ELc78ELc76ELb0ELb0EddPKdPdEviT_T9_T10_S3_lS5_S3_lS4_T11_S3_li.kd
    .uniform_work_group_size: 1
    .uses_dynamic_stack: false
    .vgpr_count:     46
    .vgpr_spill_count: 0
    .wavefront_size: 32
    .workgroup_processor_mode: 1
  - .args:
      - .offset:         0
        .size:           4
        .value_kind:     by_value
      - .offset:         8
        .size:           8
        .value_kind:     by_value
      - .offset:         16
        .size:           8
        .value_kind:     by_value
      - .address_space:  global
        .offset:         24
        .size:           8
        .value_kind:     global_buffer
      - .offset:         32
        .size:           8
        .value_kind:     by_value
      - .offset:         40
        .size:           8
        .value_kind:     by_value
      - .address_space:  global
        .offset:         48
        .size:           8
        .value_kind:     global_buffer
      - .offset:         56
        .size:           8
        .value_kind:     by_value
      - .offset:         64
        .size:           8
        .value_kind:     by_value
      - .offset:         72
        .size:           8
        .value_kind:     by_value
      - .address_space:  global
        .offset:         80
        .size:           8
        .value_kind:     global_buffer
      - .offset:         88
        .size:           8
        .value_kind:     by_value
      - .offset:         96
        .size:           8
        .value_kind:     by_value
      - .offset:         104
        .size:           4
        .value_kind:     by_value
    .group_segment_fixed_size: 4096
    .kernarg_segment_align: 8
    .kernarg_segment_size: 108
    .language:       OpenCL C
    .language_version:
      - 2
      - 0
    .max_flat_workgroup_size: 256
    .name:           _ZL29rocblas_internal_gemmt_kernelIlLi16ELi32ELi8ELc67ELc84ELc76ELb0ELb0EddPKdPdEviT_T9_T10_S3_lS5_S3_lS4_T11_S3_li
    .private_segment_fixed_size: 0
    .sgpr_count:     46
    .sgpr_spill_count: 0
    .symbol:         _ZL29rocblas_internal_gemmt_kernelIlLi16ELi32ELi8ELc67ELc84ELc76ELb0ELb0EddPKdPdEviT_T9_T10_S3_lS5_S3_lS4_T11_S3_li.kd
    .uniform_work_group_size: 1
    .uses_dynamic_stack: false
    .vgpr_count:     46
    .vgpr_spill_count: 0
    .wavefront_size: 32
    .workgroup_processor_mode: 1
  - .args:
      - .offset:         0
        .size:           4
        .value_kind:     by_value
      - .offset:         8
        .size:           8
        .value_kind:     by_value
      - .offset:         16
        .size:           8
        .value_kind:     by_value
      - .address_space:  global
        .offset:         24
        .size:           8
        .value_kind:     global_buffer
      - .offset:         32
        .size:           8
        .value_kind:     by_value
      - .offset:         40
        .size:           8
        .value_kind:     by_value
      - .address_space:  global
        .offset:         48
        .size:           8
        .value_kind:     global_buffer
      - .offset:         56
        .size:           8
        .value_kind:     by_value
      - .offset:         64
        .size:           8
        .value_kind:     by_value
      - .offset:         72
        .size:           8
        .value_kind:     by_value
      - .address_space:  global
        .offset:         80
        .size:           8
        .value_kind:     global_buffer
      - .offset:         88
        .size:           8
        .value_kind:     by_value
      - .offset:         96
        .size:           8
        .value_kind:     by_value
      - .offset:         104
        .size:           4
        .value_kind:     by_value
    .group_segment_fixed_size: 4096
    .kernarg_segment_align: 8
    .kernarg_segment_size: 108
    .language:       OpenCL C
    .language_version:
      - 2
      - 0
    .max_flat_workgroup_size: 256
    .name:           _ZL29rocblas_internal_gemmt_kernelIlLi16ELi32ELi8ELc67ELc67ELc76ELb0ELb0EddPKdPdEviT_T9_T10_S3_lS5_S3_lS4_T11_S3_li
    .private_segment_fixed_size: 0
    .sgpr_count:     46
    .sgpr_spill_count: 0
    .symbol:         _ZL29rocblas_internal_gemmt_kernelIlLi16ELi32ELi8ELc67ELc67ELc76ELb0ELb0EddPKdPdEviT_T9_T10_S3_lS5_S3_lS4_T11_S3_li.kd
    .uniform_work_group_size: 1
    .uses_dynamic_stack: false
    .vgpr_count:     46
    .vgpr_spill_count: 0
    .wavefront_size: 32
    .workgroup_processor_mode: 1
  - .args:
      - .offset:         0
        .size:           4
        .value_kind:     by_value
      - .offset:         8
        .size:           8
        .value_kind:     by_value
      - .address_space:  global
        .offset:         16
        .size:           8
        .value_kind:     global_buffer
      - .address_space:  global
        .offset:         24
        .size:           8
        .value_kind:     global_buffer
      - .offset:         32
        .size:           8
        .value_kind:     by_value
      - .offset:         40
        .size:           8
        .value_kind:     by_value
      - .address_space:  global
        .offset:         48
        .size:           8
        .value_kind:     global_buffer
      - .offset:         56
        .size:           8
        .value_kind:     by_value
      - .offset:         64
        .size:           8
        .value_kind:     by_value
      - .address_space:  global
        .offset:         72
        .size:           8
        .value_kind:     global_buffer
      - .address_space:  global
        .offset:         80
        .size:           8
        .value_kind:     global_buffer
      - .offset:         88
        .size:           8
        .value_kind:     by_value
      - .offset:         96
        .size:           8
        .value_kind:     by_value
      - .offset:         104
        .size:           4
        .value_kind:     by_value
    .group_segment_fixed_size: 4096
    .kernarg_segment_align: 8
    .kernarg_segment_size: 108
    .language:       OpenCL C
    .language_version:
      - 2
      - 0
    .max_flat_workgroup_size: 256
    .name:           _ZL29rocblas_internal_gemmt_kernelIlLi16ELi32ELi8ELc78ELc78ELc85ELb0ELb0E19rocblas_complex_numIfEPKS1_S3_PS1_EviT_T9_T10_S5_lS7_S5_lS6_T11_S5_li
    .private_segment_fixed_size: 0
    .sgpr_count:     46
    .sgpr_spill_count: 0
    .symbol:         _ZL29rocblas_internal_gemmt_kernelIlLi16ELi32ELi8ELc78ELc78ELc85ELb0ELb0E19rocblas_complex_numIfEPKS1_S3_PS1_EviT_T9_T10_S5_lS7_S5_lS6_T11_S5_li.kd
    .uniform_work_group_size: 1
    .uses_dynamic_stack: false
    .vgpr_count:     61
    .vgpr_spill_count: 0
    .wavefront_size: 32
    .workgroup_processor_mode: 1
  - .args:
      - .offset:         0
        .size:           4
        .value_kind:     by_value
      - .offset:         8
        .size:           8
        .value_kind:     by_value
      - .address_space:  global
        .offset:         16
        .size:           8
        .value_kind:     global_buffer
      - .address_space:  global
        .offset:         24
        .size:           8
        .value_kind:     global_buffer
      - .offset:         32
        .size:           8
        .value_kind:     by_value
      - .offset:         40
        .size:           8
        .value_kind:     by_value
      - .address_space:  global
        .offset:         48
        .size:           8
        .value_kind:     global_buffer
      - .offset:         56
        .size:           8
        .value_kind:     by_value
      - .offset:         64
        .size:           8
        .value_kind:     by_value
      - .address_space:  global
        .offset:         72
        .size:           8
        .value_kind:     global_buffer
      - .address_space:  global
        .offset:         80
        .size:           8
        .value_kind:     global_buffer
      - .offset:         88
        .size:           8
        .value_kind:     by_value
      - .offset:         96
        .size:           8
        .value_kind:     by_value
      - .offset:         104
        .size:           4
        .value_kind:     by_value
    .group_segment_fixed_size: 4096
    .kernarg_segment_align: 8
    .kernarg_segment_size: 108
    .language:       OpenCL C
    .language_version:
      - 2
      - 0
    .max_flat_workgroup_size: 256
    .name:           _ZL29rocblas_internal_gemmt_kernelIlLi16ELi32ELi8ELc78ELc84ELc85ELb0ELb0E19rocblas_complex_numIfEPKS1_S3_PS1_EviT_T9_T10_S5_lS7_S5_lS6_T11_S5_li
    .private_segment_fixed_size: 0
    .sgpr_count:     46
    .sgpr_spill_count: 0
    .symbol:         _ZL29rocblas_internal_gemmt_kernelIlLi16ELi32ELi8ELc78ELc84ELc85ELb0ELb0E19rocblas_complex_numIfEPKS1_S3_PS1_EviT_T9_T10_S5_lS7_S5_lS6_T11_S5_li.kd
    .uniform_work_group_size: 1
    .uses_dynamic_stack: false
    .vgpr_count:     61
    .vgpr_spill_count: 0
    .wavefront_size: 32
    .workgroup_processor_mode: 1
  - .args:
      - .offset:         0
        .size:           4
        .value_kind:     by_value
      - .offset:         8
        .size:           8
        .value_kind:     by_value
      - .address_space:  global
        .offset:         16
        .size:           8
        .value_kind:     global_buffer
      - .address_space:  global
        .offset:         24
        .size:           8
        .value_kind:     global_buffer
      - .offset:         32
        .size:           8
        .value_kind:     by_value
      - .offset:         40
        .size:           8
        .value_kind:     by_value
      - .address_space:  global
        .offset:         48
        .size:           8
        .value_kind:     global_buffer
      - .offset:         56
        .size:           8
        .value_kind:     by_value
      - .offset:         64
        .size:           8
        .value_kind:     by_value
      - .address_space:  global
        .offset:         72
        .size:           8
        .value_kind:     global_buffer
      - .address_space:  global
        .offset:         80
        .size:           8
        .value_kind:     global_buffer
      - .offset:         88
        .size:           8
        .value_kind:     by_value
      - .offset:         96
        .size:           8
        .value_kind:     by_value
      - .offset:         104
        .size:           4
        .value_kind:     by_value
    .group_segment_fixed_size: 4096
    .kernarg_segment_align: 8
    .kernarg_segment_size: 108
    .language:       OpenCL C
    .language_version:
      - 2
      - 0
    .max_flat_workgroup_size: 256
    .name:           _ZL29rocblas_internal_gemmt_kernelIlLi16ELi32ELi8ELc78ELc67ELc85ELb0ELb1E19rocblas_complex_numIfEPKS1_S3_PS1_EviT_T9_T10_S5_lS7_S5_lS6_T11_S5_li
    .private_segment_fixed_size: 0
    .sgpr_count:     46
    .sgpr_spill_count: 0
    .symbol:         _ZL29rocblas_internal_gemmt_kernelIlLi16ELi32ELi8ELc78ELc67ELc85ELb0ELb1E19rocblas_complex_numIfEPKS1_S3_PS1_EviT_T9_T10_S5_lS7_S5_lS6_T11_S5_li.kd
    .uniform_work_group_size: 1
    .uses_dynamic_stack: false
    .vgpr_count:     61
    .vgpr_spill_count: 0
    .wavefront_size: 32
    .workgroup_processor_mode: 1
  - .args:
      - .offset:         0
        .size:           4
        .value_kind:     by_value
      - .offset:         8
        .size:           8
        .value_kind:     by_value
      - .address_space:  global
        .offset:         16
        .size:           8
        .value_kind:     global_buffer
      - .address_space:  global
        .offset:         24
        .size:           8
        .value_kind:     global_buffer
      - .offset:         32
        .size:           8
        .value_kind:     by_value
      - .offset:         40
        .size:           8
        .value_kind:     by_value
      - .address_space:  global
        .offset:         48
        .size:           8
        .value_kind:     global_buffer
      - .offset:         56
        .size:           8
        .value_kind:     by_value
      - .offset:         64
        .size:           8
        .value_kind:     by_value
      - .address_space:  global
        .offset:         72
        .size:           8
        .value_kind:     global_buffer
      - .address_space:  global
        .offset:         80
        .size:           8
        .value_kind:     global_buffer
      - .offset:         88
        .size:           8
        .value_kind:     by_value
      - .offset:         96
        .size:           8
        .value_kind:     by_value
      - .offset:         104
        .size:           4
        .value_kind:     by_value
    .group_segment_fixed_size: 4096
    .kernarg_segment_align: 8
    .kernarg_segment_size: 108
    .language:       OpenCL C
    .language_version:
      - 2
      - 0
    .max_flat_workgroup_size: 256
    .name:           _ZL29rocblas_internal_gemmt_kernelIlLi16ELi32ELi8ELc84ELc78ELc85ELb0ELb0E19rocblas_complex_numIfEPKS1_S3_PS1_EviT_T9_T10_S5_lS7_S5_lS6_T11_S5_li
    .private_segment_fixed_size: 0
    .sgpr_count:     46
    .sgpr_spill_count: 0
    .symbol:         _ZL29rocblas_internal_gemmt_kernelIlLi16ELi32ELi8ELc84ELc78ELc85ELb0ELb0E19rocblas_complex_numIfEPKS1_S3_PS1_EviT_T9_T10_S5_lS7_S5_lS6_T11_S5_li.kd
    .uniform_work_group_size: 1
    .uses_dynamic_stack: false
    .vgpr_count:     61
    .vgpr_spill_count: 0
    .wavefront_size: 32
    .workgroup_processor_mode: 1
  - .args:
      - .offset:         0
        .size:           4
        .value_kind:     by_value
      - .offset:         8
        .size:           8
        .value_kind:     by_value
      - .address_space:  global
        .offset:         16
        .size:           8
        .value_kind:     global_buffer
      - .address_space:  global
        .offset:         24
        .size:           8
        .value_kind:     global_buffer
      - .offset:         32
        .size:           8
        .value_kind:     by_value
      - .offset:         40
        .size:           8
        .value_kind:     by_value
      - .address_space:  global
        .offset:         48
        .size:           8
        .value_kind:     global_buffer
      - .offset:         56
        .size:           8
        .value_kind:     by_value
      - .offset:         64
        .size:           8
        .value_kind:     by_value
      - .address_space:  global
        .offset:         72
        .size:           8
        .value_kind:     global_buffer
      - .address_space:  global
        .offset:         80
        .size:           8
        .value_kind:     global_buffer
      - .offset:         88
        .size:           8
        .value_kind:     by_value
      - .offset:         96
        .size:           8
        .value_kind:     by_value
      - .offset:         104
        .size:           4
        .value_kind:     by_value
    .group_segment_fixed_size: 4096
    .kernarg_segment_align: 8
    .kernarg_segment_size: 108
    .language:       OpenCL C
    .language_version:
      - 2
      - 0
    .max_flat_workgroup_size: 256
    .name:           _ZL29rocblas_internal_gemmt_kernelIlLi16ELi32ELi8ELc84ELc84ELc85ELb0ELb0E19rocblas_complex_numIfEPKS1_S3_PS1_EviT_T9_T10_S5_lS7_S5_lS6_T11_S5_li
    .private_segment_fixed_size: 0
    .sgpr_count:     46
    .sgpr_spill_count: 0
    .symbol:         _ZL29rocblas_internal_gemmt_kernelIlLi16ELi32ELi8ELc84ELc84ELc85ELb0ELb0E19rocblas_complex_numIfEPKS1_S3_PS1_EviT_T9_T10_S5_lS7_S5_lS6_T11_S5_li.kd
    .uniform_work_group_size: 1
    .uses_dynamic_stack: false
    .vgpr_count:     61
    .vgpr_spill_count: 0
    .wavefront_size: 32
    .workgroup_processor_mode: 1
  - .args:
      - .offset:         0
        .size:           4
        .value_kind:     by_value
      - .offset:         8
        .size:           8
        .value_kind:     by_value
      - .address_space:  global
        .offset:         16
        .size:           8
        .value_kind:     global_buffer
      - .address_space:  global
        .offset:         24
        .size:           8
        .value_kind:     global_buffer
      - .offset:         32
        .size:           8
        .value_kind:     by_value
      - .offset:         40
        .size:           8
        .value_kind:     by_value
      - .address_space:  global
        .offset:         48
        .size:           8
        .value_kind:     global_buffer
      - .offset:         56
        .size:           8
        .value_kind:     by_value
      - .offset:         64
        .size:           8
        .value_kind:     by_value
      - .address_space:  global
        .offset:         72
        .size:           8
        .value_kind:     global_buffer
      - .address_space:  global
        .offset:         80
        .size:           8
        .value_kind:     global_buffer
      - .offset:         88
        .size:           8
        .value_kind:     by_value
      - .offset:         96
        .size:           8
        .value_kind:     by_value
      - .offset:         104
        .size:           4
        .value_kind:     by_value
    .group_segment_fixed_size: 4096
    .kernarg_segment_align: 8
    .kernarg_segment_size: 108
    .language:       OpenCL C
    .language_version:
      - 2
      - 0
    .max_flat_workgroup_size: 256
    .name:           _ZL29rocblas_internal_gemmt_kernelIlLi16ELi32ELi8ELc84ELc67ELc85ELb0ELb1E19rocblas_complex_numIfEPKS1_S3_PS1_EviT_T9_T10_S5_lS7_S5_lS6_T11_S5_li
    .private_segment_fixed_size: 0
    .sgpr_count:     46
    .sgpr_spill_count: 0
    .symbol:         _ZL29rocblas_internal_gemmt_kernelIlLi16ELi32ELi8ELc84ELc67ELc85ELb0ELb1E19rocblas_complex_numIfEPKS1_S3_PS1_EviT_T9_T10_S5_lS7_S5_lS6_T11_S5_li.kd
    .uniform_work_group_size: 1
    .uses_dynamic_stack: false
    .vgpr_count:     61
    .vgpr_spill_count: 0
    .wavefront_size: 32
    .workgroup_processor_mode: 1
  - .args:
      - .offset:         0
        .size:           4
        .value_kind:     by_value
      - .offset:         8
        .size:           8
        .value_kind:     by_value
      - .address_space:  global
        .offset:         16
        .size:           8
        .value_kind:     global_buffer
      - .address_space:  global
        .offset:         24
        .size:           8
        .value_kind:     global_buffer
      - .offset:         32
        .size:           8
        .value_kind:     by_value
      - .offset:         40
        .size:           8
        .value_kind:     by_value
      - .address_space:  global
        .offset:         48
        .size:           8
        .value_kind:     global_buffer
      - .offset:         56
        .size:           8
        .value_kind:     by_value
      - .offset:         64
        .size:           8
        .value_kind:     by_value
      - .address_space:  global
        .offset:         72
        .size:           8
        .value_kind:     global_buffer
      - .address_space:  global
        .offset:         80
        .size:           8
        .value_kind:     global_buffer
      - .offset:         88
        .size:           8
        .value_kind:     by_value
      - .offset:         96
        .size:           8
        .value_kind:     by_value
      - .offset:         104
        .size:           4
        .value_kind:     by_value
    .group_segment_fixed_size: 4096
    .kernarg_segment_align: 8
    .kernarg_segment_size: 108
    .language:       OpenCL C
    .language_version:
      - 2
      - 0
    .max_flat_workgroup_size: 256
    .name:           _ZL29rocblas_internal_gemmt_kernelIlLi16ELi32ELi8ELc67ELc78ELc85ELb1ELb0E19rocblas_complex_numIfEPKS1_S3_PS1_EviT_T9_T10_S5_lS7_S5_lS6_T11_S5_li
    .private_segment_fixed_size: 0
    .sgpr_count:     46
    .sgpr_spill_count: 0
    .symbol:         _ZL29rocblas_internal_gemmt_kernelIlLi16ELi32ELi8ELc67ELc78ELc85ELb1ELb0E19rocblas_complex_numIfEPKS1_S3_PS1_EviT_T9_T10_S5_lS7_S5_lS6_T11_S5_li.kd
    .uniform_work_group_size: 1
    .uses_dynamic_stack: false
    .vgpr_count:     61
    .vgpr_spill_count: 0
    .wavefront_size: 32
    .workgroup_processor_mode: 1
  - .args:
      - .offset:         0
        .size:           4
        .value_kind:     by_value
      - .offset:         8
        .size:           8
        .value_kind:     by_value
      - .address_space:  global
        .offset:         16
        .size:           8
        .value_kind:     global_buffer
      - .address_space:  global
        .offset:         24
        .size:           8
        .value_kind:     global_buffer
      - .offset:         32
        .size:           8
        .value_kind:     by_value
      - .offset:         40
        .size:           8
        .value_kind:     by_value
      - .address_space:  global
        .offset:         48
        .size:           8
        .value_kind:     global_buffer
      - .offset:         56
        .size:           8
        .value_kind:     by_value
      - .offset:         64
        .size:           8
        .value_kind:     by_value
      - .address_space:  global
        .offset:         72
        .size:           8
        .value_kind:     global_buffer
      - .address_space:  global
        .offset:         80
        .size:           8
        .value_kind:     global_buffer
      - .offset:         88
        .size:           8
        .value_kind:     by_value
      - .offset:         96
        .size:           8
        .value_kind:     by_value
      - .offset:         104
        .size:           4
        .value_kind:     by_value
    .group_segment_fixed_size: 4096
    .kernarg_segment_align: 8
    .kernarg_segment_size: 108
    .language:       OpenCL C
    .language_version:
      - 2
      - 0
    .max_flat_workgroup_size: 256
    .name:           _ZL29rocblas_internal_gemmt_kernelIlLi16ELi32ELi8ELc67ELc84ELc85ELb1ELb0E19rocblas_complex_numIfEPKS1_S3_PS1_EviT_T9_T10_S5_lS7_S5_lS6_T11_S5_li
    .private_segment_fixed_size: 0
    .sgpr_count:     46
    .sgpr_spill_count: 0
    .symbol:         _ZL29rocblas_internal_gemmt_kernelIlLi16ELi32ELi8ELc67ELc84ELc85ELb1ELb0E19rocblas_complex_numIfEPKS1_S3_PS1_EviT_T9_T10_S5_lS7_S5_lS6_T11_S5_li.kd
    .uniform_work_group_size: 1
    .uses_dynamic_stack: false
    .vgpr_count:     61
    .vgpr_spill_count: 0
    .wavefront_size: 32
    .workgroup_processor_mode: 1
  - .args:
      - .offset:         0
        .size:           4
        .value_kind:     by_value
      - .offset:         8
        .size:           8
        .value_kind:     by_value
      - .address_space:  global
        .offset:         16
        .size:           8
        .value_kind:     global_buffer
      - .address_space:  global
        .offset:         24
        .size:           8
        .value_kind:     global_buffer
      - .offset:         32
        .size:           8
        .value_kind:     by_value
      - .offset:         40
        .size:           8
        .value_kind:     by_value
      - .address_space:  global
        .offset:         48
        .size:           8
        .value_kind:     global_buffer
      - .offset:         56
        .size:           8
        .value_kind:     by_value
      - .offset:         64
        .size:           8
        .value_kind:     by_value
      - .address_space:  global
        .offset:         72
        .size:           8
        .value_kind:     global_buffer
      - .address_space:  global
        .offset:         80
        .size:           8
        .value_kind:     global_buffer
      - .offset:         88
        .size:           8
        .value_kind:     by_value
      - .offset:         96
        .size:           8
        .value_kind:     by_value
      - .offset:         104
        .size:           4
        .value_kind:     by_value
    .group_segment_fixed_size: 4096
    .kernarg_segment_align: 8
    .kernarg_segment_size: 108
    .language:       OpenCL C
    .language_version:
      - 2
      - 0
    .max_flat_workgroup_size: 256
    .name:           _ZL29rocblas_internal_gemmt_kernelIlLi16ELi32ELi8ELc67ELc67ELc85ELb1ELb1E19rocblas_complex_numIfEPKS1_S3_PS1_EviT_T9_T10_S5_lS7_S5_lS6_T11_S5_li
    .private_segment_fixed_size: 0
    .sgpr_count:     46
    .sgpr_spill_count: 0
    .symbol:         _ZL29rocblas_internal_gemmt_kernelIlLi16ELi32ELi8ELc67ELc67ELc85ELb1ELb1E19rocblas_complex_numIfEPKS1_S3_PS1_EviT_T9_T10_S5_lS7_S5_lS6_T11_S5_li.kd
    .uniform_work_group_size: 1
    .uses_dynamic_stack: false
    .vgpr_count:     61
    .vgpr_spill_count: 0
    .wavefront_size: 32
    .workgroup_processor_mode: 1
  - .args:
      - .offset:         0
        .size:           4
        .value_kind:     by_value
      - .offset:         8
        .size:           8
        .value_kind:     by_value
      - .address_space:  global
        .offset:         16
        .size:           8
        .value_kind:     global_buffer
      - .address_space:  global
        .offset:         24
        .size:           8
        .value_kind:     global_buffer
      - .offset:         32
        .size:           8
        .value_kind:     by_value
      - .offset:         40
        .size:           8
        .value_kind:     by_value
      - .address_space:  global
        .offset:         48
        .size:           8
        .value_kind:     global_buffer
      - .offset:         56
        .size:           8
        .value_kind:     by_value
      - .offset:         64
        .size:           8
        .value_kind:     by_value
      - .address_space:  global
        .offset:         72
        .size:           8
        .value_kind:     global_buffer
      - .address_space:  global
        .offset:         80
        .size:           8
        .value_kind:     global_buffer
      - .offset:         88
        .size:           8
        .value_kind:     by_value
      - .offset:         96
        .size:           8
        .value_kind:     by_value
      - .offset:         104
        .size:           4
        .value_kind:     by_value
    .group_segment_fixed_size: 4096
    .kernarg_segment_align: 8
    .kernarg_segment_size: 108
    .language:       OpenCL C
    .language_version:
      - 2
      - 0
    .max_flat_workgroup_size: 256
    .name:           _ZL29rocblas_internal_gemmt_kernelIlLi16ELi32ELi8ELc78ELc78ELc76ELb0ELb0E19rocblas_complex_numIfEPKS1_S3_PS1_EviT_T9_T10_S5_lS7_S5_lS6_T11_S5_li
    .private_segment_fixed_size: 0
    .sgpr_count:     46
    .sgpr_spill_count: 0
    .symbol:         _ZL29rocblas_internal_gemmt_kernelIlLi16ELi32ELi8ELc78ELc78ELc76ELb0ELb0E19rocblas_complex_numIfEPKS1_S3_PS1_EviT_T9_T10_S5_lS7_S5_lS6_T11_S5_li.kd
    .uniform_work_group_size: 1
    .uses_dynamic_stack: false
    .vgpr_count:     61
    .vgpr_spill_count: 0
    .wavefront_size: 32
    .workgroup_processor_mode: 1
  - .args:
      - .offset:         0
        .size:           4
        .value_kind:     by_value
      - .offset:         8
        .size:           8
        .value_kind:     by_value
      - .address_space:  global
        .offset:         16
        .size:           8
        .value_kind:     global_buffer
      - .address_space:  global
        .offset:         24
        .size:           8
        .value_kind:     global_buffer
      - .offset:         32
        .size:           8
        .value_kind:     by_value
      - .offset:         40
        .size:           8
        .value_kind:     by_value
      - .address_space:  global
        .offset:         48
        .size:           8
        .value_kind:     global_buffer
      - .offset:         56
        .size:           8
        .value_kind:     by_value
      - .offset:         64
        .size:           8
        .value_kind:     by_value
      - .address_space:  global
        .offset:         72
        .size:           8
        .value_kind:     global_buffer
      - .address_space:  global
        .offset:         80
        .size:           8
        .value_kind:     global_buffer
      - .offset:         88
        .size:           8
        .value_kind:     by_value
      - .offset:         96
        .size:           8
        .value_kind:     by_value
      - .offset:         104
        .size:           4
        .value_kind:     by_value
    .group_segment_fixed_size: 4096
    .kernarg_segment_align: 8
    .kernarg_segment_size: 108
    .language:       OpenCL C
    .language_version:
      - 2
      - 0
    .max_flat_workgroup_size: 256
    .name:           _ZL29rocblas_internal_gemmt_kernelIlLi16ELi32ELi8ELc78ELc84ELc76ELb0ELb0E19rocblas_complex_numIfEPKS1_S3_PS1_EviT_T9_T10_S5_lS7_S5_lS6_T11_S5_li
    .private_segment_fixed_size: 0
    .sgpr_count:     46
    .sgpr_spill_count: 0
    .symbol:         _ZL29rocblas_internal_gemmt_kernelIlLi16ELi32ELi8ELc78ELc84ELc76ELb0ELb0E19rocblas_complex_numIfEPKS1_S3_PS1_EviT_T9_T10_S5_lS7_S5_lS6_T11_S5_li.kd
    .uniform_work_group_size: 1
    .uses_dynamic_stack: false
    .vgpr_count:     61
    .vgpr_spill_count: 0
    .wavefront_size: 32
    .workgroup_processor_mode: 1
  - .args:
      - .offset:         0
        .size:           4
        .value_kind:     by_value
      - .offset:         8
        .size:           8
        .value_kind:     by_value
      - .address_space:  global
        .offset:         16
        .size:           8
        .value_kind:     global_buffer
      - .address_space:  global
        .offset:         24
        .size:           8
        .value_kind:     global_buffer
      - .offset:         32
        .size:           8
        .value_kind:     by_value
      - .offset:         40
        .size:           8
        .value_kind:     by_value
      - .address_space:  global
        .offset:         48
        .size:           8
        .value_kind:     global_buffer
      - .offset:         56
        .size:           8
        .value_kind:     by_value
      - .offset:         64
        .size:           8
        .value_kind:     by_value
      - .address_space:  global
        .offset:         72
        .size:           8
        .value_kind:     global_buffer
      - .address_space:  global
        .offset:         80
        .size:           8
        .value_kind:     global_buffer
      - .offset:         88
        .size:           8
        .value_kind:     by_value
      - .offset:         96
        .size:           8
        .value_kind:     by_value
      - .offset:         104
        .size:           4
        .value_kind:     by_value
    .group_segment_fixed_size: 4096
    .kernarg_segment_align: 8
    .kernarg_segment_size: 108
    .language:       OpenCL C
    .language_version:
      - 2
      - 0
    .max_flat_workgroup_size: 256
    .name:           _ZL29rocblas_internal_gemmt_kernelIlLi16ELi32ELi8ELc78ELc67ELc76ELb0ELb1E19rocblas_complex_numIfEPKS1_S3_PS1_EviT_T9_T10_S5_lS7_S5_lS6_T11_S5_li
    .private_segment_fixed_size: 0
    .sgpr_count:     46
    .sgpr_spill_count: 0
    .symbol:         _ZL29rocblas_internal_gemmt_kernelIlLi16ELi32ELi8ELc78ELc67ELc76ELb0ELb1E19rocblas_complex_numIfEPKS1_S3_PS1_EviT_T9_T10_S5_lS7_S5_lS6_T11_S5_li.kd
    .uniform_work_group_size: 1
    .uses_dynamic_stack: false
    .vgpr_count:     61
    .vgpr_spill_count: 0
    .wavefront_size: 32
    .workgroup_processor_mode: 1
  - .args:
      - .offset:         0
        .size:           4
        .value_kind:     by_value
      - .offset:         8
        .size:           8
        .value_kind:     by_value
      - .address_space:  global
        .offset:         16
        .size:           8
        .value_kind:     global_buffer
      - .address_space:  global
        .offset:         24
        .size:           8
        .value_kind:     global_buffer
      - .offset:         32
        .size:           8
        .value_kind:     by_value
      - .offset:         40
        .size:           8
        .value_kind:     by_value
      - .address_space:  global
        .offset:         48
        .size:           8
        .value_kind:     global_buffer
      - .offset:         56
        .size:           8
        .value_kind:     by_value
      - .offset:         64
        .size:           8
        .value_kind:     by_value
      - .address_space:  global
        .offset:         72
        .size:           8
        .value_kind:     global_buffer
      - .address_space:  global
        .offset:         80
        .size:           8
        .value_kind:     global_buffer
      - .offset:         88
        .size:           8
        .value_kind:     by_value
      - .offset:         96
        .size:           8
        .value_kind:     by_value
      - .offset:         104
        .size:           4
        .value_kind:     by_value
    .group_segment_fixed_size: 4096
    .kernarg_segment_align: 8
    .kernarg_segment_size: 108
    .language:       OpenCL C
    .language_version:
      - 2
      - 0
    .max_flat_workgroup_size: 256
    .name:           _ZL29rocblas_internal_gemmt_kernelIlLi16ELi32ELi8ELc84ELc78ELc76ELb0ELb0E19rocblas_complex_numIfEPKS1_S3_PS1_EviT_T9_T10_S5_lS7_S5_lS6_T11_S5_li
    .private_segment_fixed_size: 0
    .sgpr_count:     46
    .sgpr_spill_count: 0
    .symbol:         _ZL29rocblas_internal_gemmt_kernelIlLi16ELi32ELi8ELc84ELc78ELc76ELb0ELb0E19rocblas_complex_numIfEPKS1_S3_PS1_EviT_T9_T10_S5_lS7_S5_lS6_T11_S5_li.kd
    .uniform_work_group_size: 1
    .uses_dynamic_stack: false
    .vgpr_count:     61
    .vgpr_spill_count: 0
    .wavefront_size: 32
    .workgroup_processor_mode: 1
  - .args:
      - .offset:         0
        .size:           4
        .value_kind:     by_value
      - .offset:         8
        .size:           8
        .value_kind:     by_value
      - .address_space:  global
        .offset:         16
        .size:           8
        .value_kind:     global_buffer
      - .address_space:  global
        .offset:         24
        .size:           8
        .value_kind:     global_buffer
      - .offset:         32
        .size:           8
        .value_kind:     by_value
      - .offset:         40
        .size:           8
        .value_kind:     by_value
      - .address_space:  global
        .offset:         48
        .size:           8
        .value_kind:     global_buffer
      - .offset:         56
        .size:           8
        .value_kind:     by_value
      - .offset:         64
        .size:           8
        .value_kind:     by_value
      - .address_space:  global
        .offset:         72
        .size:           8
        .value_kind:     global_buffer
      - .address_space:  global
        .offset:         80
        .size:           8
        .value_kind:     global_buffer
      - .offset:         88
        .size:           8
        .value_kind:     by_value
      - .offset:         96
        .size:           8
        .value_kind:     by_value
      - .offset:         104
        .size:           4
        .value_kind:     by_value
    .group_segment_fixed_size: 4096
    .kernarg_segment_align: 8
    .kernarg_segment_size: 108
    .language:       OpenCL C
    .language_version:
      - 2
      - 0
    .max_flat_workgroup_size: 256
    .name:           _ZL29rocblas_internal_gemmt_kernelIlLi16ELi32ELi8ELc84ELc84ELc76ELb0ELb0E19rocblas_complex_numIfEPKS1_S3_PS1_EviT_T9_T10_S5_lS7_S5_lS6_T11_S5_li
    .private_segment_fixed_size: 0
    .sgpr_count:     46
    .sgpr_spill_count: 0
    .symbol:         _ZL29rocblas_internal_gemmt_kernelIlLi16ELi32ELi8ELc84ELc84ELc76ELb0ELb0E19rocblas_complex_numIfEPKS1_S3_PS1_EviT_T9_T10_S5_lS7_S5_lS6_T11_S5_li.kd
    .uniform_work_group_size: 1
    .uses_dynamic_stack: false
    .vgpr_count:     61
    .vgpr_spill_count: 0
    .wavefront_size: 32
    .workgroup_processor_mode: 1
  - .args:
      - .offset:         0
        .size:           4
        .value_kind:     by_value
      - .offset:         8
        .size:           8
        .value_kind:     by_value
      - .address_space:  global
        .offset:         16
        .size:           8
        .value_kind:     global_buffer
      - .address_space:  global
        .offset:         24
        .size:           8
        .value_kind:     global_buffer
      - .offset:         32
        .size:           8
        .value_kind:     by_value
      - .offset:         40
        .size:           8
        .value_kind:     by_value
      - .address_space:  global
        .offset:         48
        .size:           8
        .value_kind:     global_buffer
      - .offset:         56
        .size:           8
        .value_kind:     by_value
      - .offset:         64
        .size:           8
        .value_kind:     by_value
      - .address_space:  global
        .offset:         72
        .size:           8
        .value_kind:     global_buffer
      - .address_space:  global
        .offset:         80
        .size:           8
        .value_kind:     global_buffer
      - .offset:         88
        .size:           8
        .value_kind:     by_value
      - .offset:         96
        .size:           8
        .value_kind:     by_value
      - .offset:         104
        .size:           4
        .value_kind:     by_value
    .group_segment_fixed_size: 4096
    .kernarg_segment_align: 8
    .kernarg_segment_size: 108
    .language:       OpenCL C
    .language_version:
      - 2
      - 0
    .max_flat_workgroup_size: 256
    .name:           _ZL29rocblas_internal_gemmt_kernelIlLi16ELi32ELi8ELc84ELc67ELc76ELb0ELb1E19rocblas_complex_numIfEPKS1_S3_PS1_EviT_T9_T10_S5_lS7_S5_lS6_T11_S5_li
    .private_segment_fixed_size: 0
    .sgpr_count:     46
    .sgpr_spill_count: 0
    .symbol:         _ZL29rocblas_internal_gemmt_kernelIlLi16ELi32ELi8ELc84ELc67ELc76ELb0ELb1E19rocblas_complex_numIfEPKS1_S3_PS1_EviT_T9_T10_S5_lS7_S5_lS6_T11_S5_li.kd
    .uniform_work_group_size: 1
    .uses_dynamic_stack: false
    .vgpr_count:     61
    .vgpr_spill_count: 0
    .wavefront_size: 32
    .workgroup_processor_mode: 1
  - .args:
      - .offset:         0
        .size:           4
        .value_kind:     by_value
      - .offset:         8
        .size:           8
        .value_kind:     by_value
      - .address_space:  global
        .offset:         16
        .size:           8
        .value_kind:     global_buffer
      - .address_space:  global
        .offset:         24
        .size:           8
        .value_kind:     global_buffer
      - .offset:         32
        .size:           8
        .value_kind:     by_value
      - .offset:         40
        .size:           8
        .value_kind:     by_value
      - .address_space:  global
        .offset:         48
        .size:           8
        .value_kind:     global_buffer
      - .offset:         56
        .size:           8
        .value_kind:     by_value
      - .offset:         64
        .size:           8
        .value_kind:     by_value
      - .address_space:  global
        .offset:         72
        .size:           8
        .value_kind:     global_buffer
      - .address_space:  global
        .offset:         80
        .size:           8
        .value_kind:     global_buffer
      - .offset:         88
        .size:           8
        .value_kind:     by_value
      - .offset:         96
        .size:           8
        .value_kind:     by_value
      - .offset:         104
        .size:           4
        .value_kind:     by_value
    .group_segment_fixed_size: 4096
    .kernarg_segment_align: 8
    .kernarg_segment_size: 108
    .language:       OpenCL C
    .language_version:
      - 2
      - 0
    .max_flat_workgroup_size: 256
    .name:           _ZL29rocblas_internal_gemmt_kernelIlLi16ELi32ELi8ELc67ELc78ELc76ELb1ELb0E19rocblas_complex_numIfEPKS1_S3_PS1_EviT_T9_T10_S5_lS7_S5_lS6_T11_S5_li
    .private_segment_fixed_size: 0
    .sgpr_count:     46
    .sgpr_spill_count: 0
    .symbol:         _ZL29rocblas_internal_gemmt_kernelIlLi16ELi32ELi8ELc67ELc78ELc76ELb1ELb0E19rocblas_complex_numIfEPKS1_S3_PS1_EviT_T9_T10_S5_lS7_S5_lS6_T11_S5_li.kd
    .uniform_work_group_size: 1
    .uses_dynamic_stack: false
    .vgpr_count:     61
    .vgpr_spill_count: 0
    .wavefront_size: 32
    .workgroup_processor_mode: 1
  - .args:
      - .offset:         0
        .size:           4
        .value_kind:     by_value
      - .offset:         8
        .size:           8
        .value_kind:     by_value
      - .address_space:  global
        .offset:         16
        .size:           8
        .value_kind:     global_buffer
      - .address_space:  global
        .offset:         24
        .size:           8
        .value_kind:     global_buffer
      - .offset:         32
        .size:           8
        .value_kind:     by_value
      - .offset:         40
        .size:           8
        .value_kind:     by_value
      - .address_space:  global
        .offset:         48
        .size:           8
        .value_kind:     global_buffer
      - .offset:         56
        .size:           8
        .value_kind:     by_value
      - .offset:         64
        .size:           8
        .value_kind:     by_value
      - .address_space:  global
        .offset:         72
        .size:           8
        .value_kind:     global_buffer
      - .address_space:  global
        .offset:         80
        .size:           8
        .value_kind:     global_buffer
      - .offset:         88
        .size:           8
        .value_kind:     by_value
      - .offset:         96
        .size:           8
        .value_kind:     by_value
      - .offset:         104
        .size:           4
        .value_kind:     by_value
    .group_segment_fixed_size: 4096
    .kernarg_segment_align: 8
    .kernarg_segment_size: 108
    .language:       OpenCL C
    .language_version:
      - 2
      - 0
    .max_flat_workgroup_size: 256
    .name:           _ZL29rocblas_internal_gemmt_kernelIlLi16ELi32ELi8ELc67ELc84ELc76ELb1ELb0E19rocblas_complex_numIfEPKS1_S3_PS1_EviT_T9_T10_S5_lS7_S5_lS6_T11_S5_li
    .private_segment_fixed_size: 0
    .sgpr_count:     46
    .sgpr_spill_count: 0
    .symbol:         _ZL29rocblas_internal_gemmt_kernelIlLi16ELi32ELi8ELc67ELc84ELc76ELb1ELb0E19rocblas_complex_numIfEPKS1_S3_PS1_EviT_T9_T10_S5_lS7_S5_lS6_T11_S5_li.kd
    .uniform_work_group_size: 1
    .uses_dynamic_stack: false
    .vgpr_count:     61
    .vgpr_spill_count: 0
    .wavefront_size: 32
    .workgroup_processor_mode: 1
  - .args:
      - .offset:         0
        .size:           4
        .value_kind:     by_value
      - .offset:         8
        .size:           8
        .value_kind:     by_value
      - .address_space:  global
        .offset:         16
        .size:           8
        .value_kind:     global_buffer
      - .address_space:  global
        .offset:         24
        .size:           8
        .value_kind:     global_buffer
      - .offset:         32
        .size:           8
        .value_kind:     by_value
      - .offset:         40
        .size:           8
        .value_kind:     by_value
      - .address_space:  global
        .offset:         48
        .size:           8
        .value_kind:     global_buffer
      - .offset:         56
        .size:           8
        .value_kind:     by_value
      - .offset:         64
        .size:           8
        .value_kind:     by_value
      - .address_space:  global
        .offset:         72
        .size:           8
        .value_kind:     global_buffer
      - .address_space:  global
        .offset:         80
        .size:           8
        .value_kind:     global_buffer
      - .offset:         88
        .size:           8
        .value_kind:     by_value
      - .offset:         96
        .size:           8
        .value_kind:     by_value
      - .offset:         104
        .size:           4
        .value_kind:     by_value
    .group_segment_fixed_size: 4096
    .kernarg_segment_align: 8
    .kernarg_segment_size: 108
    .language:       OpenCL C
    .language_version:
      - 2
      - 0
    .max_flat_workgroup_size: 256
    .name:           _ZL29rocblas_internal_gemmt_kernelIlLi16ELi32ELi8ELc67ELc67ELc76ELb1ELb1E19rocblas_complex_numIfEPKS1_S3_PS1_EviT_T9_T10_S5_lS7_S5_lS6_T11_S5_li
    .private_segment_fixed_size: 0
    .sgpr_count:     46
    .sgpr_spill_count: 0
    .symbol:         _ZL29rocblas_internal_gemmt_kernelIlLi16ELi32ELi8ELc67ELc67ELc76ELb1ELb1E19rocblas_complex_numIfEPKS1_S3_PS1_EviT_T9_T10_S5_lS7_S5_lS6_T11_S5_li.kd
    .uniform_work_group_size: 1
    .uses_dynamic_stack: false
    .vgpr_count:     61
    .vgpr_spill_count: 0
    .wavefront_size: 32
    .workgroup_processor_mode: 1
  - .args:
      - .offset:         0
        .size:           4
        .value_kind:     by_value
      - .offset:         8
        .size:           8
        .value_kind:     by_value
      - .offset:         16
        .size:           8
        .value_kind:     by_value
      - .address_space:  global
        .offset:         24
        .size:           8
        .value_kind:     global_buffer
      - .offset:         32
        .size:           8
        .value_kind:     by_value
      - .offset:         40
        .size:           8
        .value_kind:     by_value
      - .address_space:  global
        .offset:         48
        .size:           8
        .value_kind:     global_buffer
      - .offset:         56
        .size:           8
        .value_kind:     by_value
      - .offset:         64
        .size:           8
        .value_kind:     by_value
      - .offset:         72
        .size:           8
        .value_kind:     by_value
      - .address_space:  global
        .offset:         80
        .size:           8
        .value_kind:     global_buffer
      - .offset:         88
        .size:           8
        .value_kind:     by_value
      - .offset:         96
        .size:           8
        .value_kind:     by_value
      - .offset:         104
        .size:           4
        .value_kind:     by_value
    .group_segment_fixed_size: 4096
    .kernarg_segment_align: 8
    .kernarg_segment_size: 108
    .language:       OpenCL C
    .language_version:
      - 2
      - 0
    .max_flat_workgroup_size: 256
    .name:           _ZL29rocblas_internal_gemmt_kernelIlLi16ELi32ELi8ELc78ELc78ELc85ELb0ELb0E19rocblas_complex_numIfES1_PKS1_PS1_EviT_T9_T10_S5_lS7_S5_lS6_T11_S5_li
    .private_segment_fixed_size: 0
    .sgpr_count:     31
    .sgpr_spill_count: 0
    .symbol:         _ZL29rocblas_internal_gemmt_kernelIlLi16ELi32ELi8ELc78ELc78ELc85ELb0ELb0E19rocblas_complex_numIfES1_PKS1_PS1_EviT_T9_T10_S5_lS7_S5_lS6_T11_S5_li.kd
    .uniform_work_group_size: 1
    .uses_dynamic_stack: false
    .vgpr_count:     61
    .vgpr_spill_count: 0
    .wavefront_size: 32
    .workgroup_processor_mode: 1
  - .args:
      - .offset:         0
        .size:           4
        .value_kind:     by_value
      - .offset:         8
        .size:           8
        .value_kind:     by_value
      - .offset:         16
        .size:           8
        .value_kind:     by_value
      - .address_space:  global
        .offset:         24
        .size:           8
        .value_kind:     global_buffer
      - .offset:         32
        .size:           8
        .value_kind:     by_value
      - .offset:         40
        .size:           8
        .value_kind:     by_value
      - .address_space:  global
        .offset:         48
        .size:           8
        .value_kind:     global_buffer
      - .offset:         56
        .size:           8
        .value_kind:     by_value
      - .offset:         64
        .size:           8
        .value_kind:     by_value
      - .offset:         72
        .size:           8
        .value_kind:     by_value
      - .address_space:  global
        .offset:         80
        .size:           8
        .value_kind:     global_buffer
      - .offset:         88
        .size:           8
        .value_kind:     by_value
      - .offset:         96
        .size:           8
        .value_kind:     by_value
      - .offset:         104
        .size:           4
        .value_kind:     by_value
    .group_segment_fixed_size: 4096
    .kernarg_segment_align: 8
    .kernarg_segment_size: 108
    .language:       OpenCL C
    .language_version:
      - 2
      - 0
    .max_flat_workgroup_size: 256
    .name:           _ZL29rocblas_internal_gemmt_kernelIlLi16ELi32ELi8ELc78ELc84ELc85ELb0ELb0E19rocblas_complex_numIfES1_PKS1_PS1_EviT_T9_T10_S5_lS7_S5_lS6_T11_S5_li
    .private_segment_fixed_size: 0
    .sgpr_count:     32
    .sgpr_spill_count: 0
    .symbol:         _ZL29rocblas_internal_gemmt_kernelIlLi16ELi32ELi8ELc78ELc84ELc85ELb0ELb0E19rocblas_complex_numIfES1_PKS1_PS1_EviT_T9_T10_S5_lS7_S5_lS6_T11_S5_li.kd
    .uniform_work_group_size: 1
    .uses_dynamic_stack: false
    .vgpr_count:     61
    .vgpr_spill_count: 0
    .wavefront_size: 32
    .workgroup_processor_mode: 1
  - .args:
      - .offset:         0
        .size:           4
        .value_kind:     by_value
      - .offset:         8
        .size:           8
        .value_kind:     by_value
      - .offset:         16
        .size:           8
        .value_kind:     by_value
      - .address_space:  global
        .offset:         24
        .size:           8
        .value_kind:     global_buffer
      - .offset:         32
        .size:           8
        .value_kind:     by_value
      - .offset:         40
        .size:           8
        .value_kind:     by_value
      - .address_space:  global
        .offset:         48
        .size:           8
        .value_kind:     global_buffer
      - .offset:         56
        .size:           8
        .value_kind:     by_value
      - .offset:         64
        .size:           8
        .value_kind:     by_value
      - .offset:         72
        .size:           8
        .value_kind:     by_value
      - .address_space:  global
        .offset:         80
        .size:           8
        .value_kind:     global_buffer
      - .offset:         88
        .size:           8
        .value_kind:     by_value
      - .offset:         96
        .size:           8
        .value_kind:     by_value
      - .offset:         104
        .size:           4
        .value_kind:     by_value
    .group_segment_fixed_size: 4096
    .kernarg_segment_align: 8
    .kernarg_segment_size: 108
    .language:       OpenCL C
    .language_version:
      - 2
      - 0
    .max_flat_workgroup_size: 256
    .name:           _ZL29rocblas_internal_gemmt_kernelIlLi16ELi32ELi8ELc78ELc67ELc85ELb0ELb1E19rocblas_complex_numIfES1_PKS1_PS1_EviT_T9_T10_S5_lS7_S5_lS6_T11_S5_li
    .private_segment_fixed_size: 0
    .sgpr_count:     32
    .sgpr_spill_count: 0
    .symbol:         _ZL29rocblas_internal_gemmt_kernelIlLi16ELi32ELi8ELc78ELc67ELc85ELb0ELb1E19rocblas_complex_numIfES1_PKS1_PS1_EviT_T9_T10_S5_lS7_S5_lS6_T11_S5_li.kd
    .uniform_work_group_size: 1
    .uses_dynamic_stack: false
    .vgpr_count:     61
    .vgpr_spill_count: 0
    .wavefront_size: 32
    .workgroup_processor_mode: 1
  - .args:
      - .offset:         0
        .size:           4
        .value_kind:     by_value
      - .offset:         8
        .size:           8
        .value_kind:     by_value
      - .offset:         16
        .size:           8
        .value_kind:     by_value
      - .address_space:  global
        .offset:         24
        .size:           8
        .value_kind:     global_buffer
      - .offset:         32
        .size:           8
        .value_kind:     by_value
      - .offset:         40
        .size:           8
        .value_kind:     by_value
      - .address_space:  global
        .offset:         48
        .size:           8
        .value_kind:     global_buffer
      - .offset:         56
        .size:           8
        .value_kind:     by_value
      - .offset:         64
        .size:           8
        .value_kind:     by_value
      - .offset:         72
        .size:           8
        .value_kind:     by_value
      - .address_space:  global
        .offset:         80
        .size:           8
        .value_kind:     global_buffer
      - .offset:         88
        .size:           8
        .value_kind:     by_value
      - .offset:         96
        .size:           8
        .value_kind:     by_value
      - .offset:         104
        .size:           4
        .value_kind:     by_value
    .group_segment_fixed_size: 4096
    .kernarg_segment_align: 8
    .kernarg_segment_size: 108
    .language:       OpenCL C
    .language_version:
      - 2
      - 0
    .max_flat_workgroup_size: 256
    .name:           _ZL29rocblas_internal_gemmt_kernelIlLi16ELi32ELi8ELc84ELc78ELc85ELb0ELb0E19rocblas_complex_numIfES1_PKS1_PS1_EviT_T9_T10_S5_lS7_S5_lS6_T11_S5_li
    .private_segment_fixed_size: 0
    .sgpr_count:     29
    .sgpr_spill_count: 0
    .symbol:         _ZL29rocblas_internal_gemmt_kernelIlLi16ELi32ELi8ELc84ELc78ELc85ELb0ELb0E19rocblas_complex_numIfES1_PKS1_PS1_EviT_T9_T10_S5_lS7_S5_lS6_T11_S5_li.kd
    .uniform_work_group_size: 1
    .uses_dynamic_stack: false
    .vgpr_count:     61
    .vgpr_spill_count: 0
    .wavefront_size: 32
    .workgroup_processor_mode: 1
  - .args:
      - .offset:         0
        .size:           4
        .value_kind:     by_value
      - .offset:         8
        .size:           8
        .value_kind:     by_value
      - .offset:         16
        .size:           8
        .value_kind:     by_value
      - .address_space:  global
        .offset:         24
        .size:           8
        .value_kind:     global_buffer
      - .offset:         32
        .size:           8
        .value_kind:     by_value
      - .offset:         40
        .size:           8
        .value_kind:     by_value
      - .address_space:  global
        .offset:         48
        .size:           8
        .value_kind:     global_buffer
      - .offset:         56
        .size:           8
        .value_kind:     by_value
      - .offset:         64
        .size:           8
        .value_kind:     by_value
      - .offset:         72
        .size:           8
        .value_kind:     by_value
      - .address_space:  global
        .offset:         80
        .size:           8
        .value_kind:     global_buffer
      - .offset:         88
        .size:           8
        .value_kind:     by_value
      - .offset:         96
        .size:           8
        .value_kind:     by_value
      - .offset:         104
        .size:           4
        .value_kind:     by_value
    .group_segment_fixed_size: 4096
    .kernarg_segment_align: 8
    .kernarg_segment_size: 108
    .language:       OpenCL C
    .language_version:
      - 2
      - 0
    .max_flat_workgroup_size: 256
    .name:           _ZL29rocblas_internal_gemmt_kernelIlLi16ELi32ELi8ELc84ELc84ELc85ELb0ELb0E19rocblas_complex_numIfES1_PKS1_PS1_EviT_T9_T10_S5_lS7_S5_lS6_T11_S5_li
    .private_segment_fixed_size: 0
    .sgpr_count:     31
    .sgpr_spill_count: 0
    .symbol:         _ZL29rocblas_internal_gemmt_kernelIlLi16ELi32ELi8ELc84ELc84ELc85ELb0ELb0E19rocblas_complex_numIfES1_PKS1_PS1_EviT_T9_T10_S5_lS7_S5_lS6_T11_S5_li.kd
    .uniform_work_group_size: 1
    .uses_dynamic_stack: false
    .vgpr_count:     61
    .vgpr_spill_count: 0
    .wavefront_size: 32
    .workgroup_processor_mode: 1
  - .args:
      - .offset:         0
        .size:           4
        .value_kind:     by_value
      - .offset:         8
        .size:           8
        .value_kind:     by_value
      - .offset:         16
        .size:           8
        .value_kind:     by_value
      - .address_space:  global
        .offset:         24
        .size:           8
        .value_kind:     global_buffer
      - .offset:         32
        .size:           8
        .value_kind:     by_value
      - .offset:         40
        .size:           8
        .value_kind:     by_value
      - .address_space:  global
        .offset:         48
        .size:           8
        .value_kind:     global_buffer
      - .offset:         56
        .size:           8
        .value_kind:     by_value
      - .offset:         64
        .size:           8
        .value_kind:     by_value
      - .offset:         72
        .size:           8
        .value_kind:     by_value
      - .address_space:  global
        .offset:         80
        .size:           8
        .value_kind:     global_buffer
      - .offset:         88
        .size:           8
        .value_kind:     by_value
      - .offset:         96
        .size:           8
        .value_kind:     by_value
      - .offset:         104
        .size:           4
        .value_kind:     by_value
    .group_segment_fixed_size: 4096
    .kernarg_segment_align: 8
    .kernarg_segment_size: 108
    .language:       OpenCL C
    .language_version:
      - 2
      - 0
    .max_flat_workgroup_size: 256
    .name:           _ZL29rocblas_internal_gemmt_kernelIlLi16ELi32ELi8ELc84ELc67ELc85ELb0ELb1E19rocblas_complex_numIfES1_PKS1_PS1_EviT_T9_T10_S5_lS7_S5_lS6_T11_S5_li
    .private_segment_fixed_size: 0
    .sgpr_count:     31
    .sgpr_spill_count: 0
    .symbol:         _ZL29rocblas_internal_gemmt_kernelIlLi16ELi32ELi8ELc84ELc67ELc85ELb0ELb1E19rocblas_complex_numIfES1_PKS1_PS1_EviT_T9_T10_S5_lS7_S5_lS6_T11_S5_li.kd
    .uniform_work_group_size: 1
    .uses_dynamic_stack: false
    .vgpr_count:     61
    .vgpr_spill_count: 0
    .wavefront_size: 32
    .workgroup_processor_mode: 1
  - .args:
      - .offset:         0
        .size:           4
        .value_kind:     by_value
      - .offset:         8
        .size:           8
        .value_kind:     by_value
      - .offset:         16
        .size:           8
        .value_kind:     by_value
      - .address_space:  global
        .offset:         24
        .size:           8
        .value_kind:     global_buffer
      - .offset:         32
        .size:           8
        .value_kind:     by_value
      - .offset:         40
        .size:           8
        .value_kind:     by_value
      - .address_space:  global
        .offset:         48
        .size:           8
        .value_kind:     global_buffer
      - .offset:         56
        .size:           8
        .value_kind:     by_value
      - .offset:         64
        .size:           8
        .value_kind:     by_value
      - .offset:         72
        .size:           8
        .value_kind:     by_value
      - .address_space:  global
        .offset:         80
        .size:           8
        .value_kind:     global_buffer
      - .offset:         88
        .size:           8
        .value_kind:     by_value
      - .offset:         96
        .size:           8
        .value_kind:     by_value
      - .offset:         104
        .size:           4
        .value_kind:     by_value
    .group_segment_fixed_size: 4096
    .kernarg_segment_align: 8
    .kernarg_segment_size: 108
    .language:       OpenCL C
    .language_version:
      - 2
      - 0
    .max_flat_workgroup_size: 256
    .name:           _ZL29rocblas_internal_gemmt_kernelIlLi16ELi32ELi8ELc67ELc78ELc85ELb1ELb0E19rocblas_complex_numIfES1_PKS1_PS1_EviT_T9_T10_S5_lS7_S5_lS6_T11_S5_li
    .private_segment_fixed_size: 0
    .sgpr_count:     29
    .sgpr_spill_count: 0
    .symbol:         _ZL29rocblas_internal_gemmt_kernelIlLi16ELi32ELi8ELc67ELc78ELc85ELb1ELb0E19rocblas_complex_numIfES1_PKS1_PS1_EviT_T9_T10_S5_lS7_S5_lS6_T11_S5_li.kd
    .uniform_work_group_size: 1
    .uses_dynamic_stack: false
    .vgpr_count:     61
    .vgpr_spill_count: 0
    .wavefront_size: 32
    .workgroup_processor_mode: 1
  - .args:
      - .offset:         0
        .size:           4
        .value_kind:     by_value
      - .offset:         8
        .size:           8
        .value_kind:     by_value
      - .offset:         16
        .size:           8
        .value_kind:     by_value
      - .address_space:  global
        .offset:         24
        .size:           8
        .value_kind:     global_buffer
      - .offset:         32
        .size:           8
        .value_kind:     by_value
      - .offset:         40
        .size:           8
        .value_kind:     by_value
      - .address_space:  global
        .offset:         48
        .size:           8
        .value_kind:     global_buffer
      - .offset:         56
        .size:           8
        .value_kind:     by_value
      - .offset:         64
        .size:           8
        .value_kind:     by_value
      - .offset:         72
        .size:           8
        .value_kind:     by_value
      - .address_space:  global
        .offset:         80
        .size:           8
        .value_kind:     global_buffer
      - .offset:         88
        .size:           8
        .value_kind:     by_value
      - .offset:         96
        .size:           8
        .value_kind:     by_value
      - .offset:         104
        .size:           4
        .value_kind:     by_value
    .group_segment_fixed_size: 4096
    .kernarg_segment_align: 8
    .kernarg_segment_size: 108
    .language:       OpenCL C
    .language_version:
      - 2
      - 0
    .max_flat_workgroup_size: 256
    .name:           _ZL29rocblas_internal_gemmt_kernelIlLi16ELi32ELi8ELc67ELc84ELc85ELb1ELb0E19rocblas_complex_numIfES1_PKS1_PS1_EviT_T9_T10_S5_lS7_S5_lS6_T11_S5_li
    .private_segment_fixed_size: 0
    .sgpr_count:     31
    .sgpr_spill_count: 0
    .symbol:         _ZL29rocblas_internal_gemmt_kernelIlLi16ELi32ELi8ELc67ELc84ELc85ELb1ELb0E19rocblas_complex_numIfES1_PKS1_PS1_EviT_T9_T10_S5_lS7_S5_lS6_T11_S5_li.kd
    .uniform_work_group_size: 1
    .uses_dynamic_stack: false
    .vgpr_count:     61
    .vgpr_spill_count: 0
    .wavefront_size: 32
    .workgroup_processor_mode: 1
  - .args:
      - .offset:         0
        .size:           4
        .value_kind:     by_value
      - .offset:         8
        .size:           8
        .value_kind:     by_value
      - .offset:         16
        .size:           8
        .value_kind:     by_value
      - .address_space:  global
        .offset:         24
        .size:           8
        .value_kind:     global_buffer
      - .offset:         32
        .size:           8
        .value_kind:     by_value
      - .offset:         40
        .size:           8
        .value_kind:     by_value
      - .address_space:  global
        .offset:         48
        .size:           8
        .value_kind:     global_buffer
      - .offset:         56
        .size:           8
        .value_kind:     by_value
      - .offset:         64
        .size:           8
        .value_kind:     by_value
      - .offset:         72
        .size:           8
        .value_kind:     by_value
      - .address_space:  global
        .offset:         80
        .size:           8
        .value_kind:     global_buffer
      - .offset:         88
        .size:           8
        .value_kind:     by_value
      - .offset:         96
        .size:           8
        .value_kind:     by_value
      - .offset:         104
        .size:           4
        .value_kind:     by_value
    .group_segment_fixed_size: 4096
    .kernarg_segment_align: 8
    .kernarg_segment_size: 108
    .language:       OpenCL C
    .language_version:
      - 2
      - 0
    .max_flat_workgroup_size: 256
    .name:           _ZL29rocblas_internal_gemmt_kernelIlLi16ELi32ELi8ELc67ELc67ELc85ELb1ELb1E19rocblas_complex_numIfES1_PKS1_PS1_EviT_T9_T10_S5_lS7_S5_lS6_T11_S5_li
    .private_segment_fixed_size: 0
    .sgpr_count:     31
    .sgpr_spill_count: 0
    .symbol:         _ZL29rocblas_internal_gemmt_kernelIlLi16ELi32ELi8ELc67ELc67ELc85ELb1ELb1E19rocblas_complex_numIfES1_PKS1_PS1_EviT_T9_T10_S5_lS7_S5_lS6_T11_S5_li.kd
    .uniform_work_group_size: 1
    .uses_dynamic_stack: false
    .vgpr_count:     61
    .vgpr_spill_count: 0
    .wavefront_size: 32
    .workgroup_processor_mode: 1
  - .args:
      - .offset:         0
        .size:           4
        .value_kind:     by_value
      - .offset:         8
        .size:           8
        .value_kind:     by_value
      - .offset:         16
        .size:           8
        .value_kind:     by_value
      - .address_space:  global
        .offset:         24
        .size:           8
        .value_kind:     global_buffer
      - .offset:         32
        .size:           8
        .value_kind:     by_value
      - .offset:         40
        .size:           8
        .value_kind:     by_value
      - .address_space:  global
        .offset:         48
        .size:           8
        .value_kind:     global_buffer
      - .offset:         56
        .size:           8
        .value_kind:     by_value
      - .offset:         64
        .size:           8
        .value_kind:     by_value
      - .offset:         72
        .size:           8
        .value_kind:     by_value
      - .address_space:  global
        .offset:         80
        .size:           8
        .value_kind:     global_buffer
      - .offset:         88
        .size:           8
        .value_kind:     by_value
      - .offset:         96
        .size:           8
        .value_kind:     by_value
      - .offset:         104
        .size:           4
        .value_kind:     by_value
    .group_segment_fixed_size: 4096
    .kernarg_segment_align: 8
    .kernarg_segment_size: 108
    .language:       OpenCL C
    .language_version:
      - 2
      - 0
    .max_flat_workgroup_size: 256
    .name:           _ZL29rocblas_internal_gemmt_kernelIlLi16ELi32ELi8ELc78ELc78ELc76ELb0ELb0E19rocblas_complex_numIfES1_PKS1_PS1_EviT_T9_T10_S5_lS7_S5_lS6_T11_S5_li
    .private_segment_fixed_size: 0
    .sgpr_count:     31
    .sgpr_spill_count: 0
    .symbol:         _ZL29rocblas_internal_gemmt_kernelIlLi16ELi32ELi8ELc78ELc78ELc76ELb0ELb0E19rocblas_complex_numIfES1_PKS1_PS1_EviT_T9_T10_S5_lS7_S5_lS6_T11_S5_li.kd
    .uniform_work_group_size: 1
    .uses_dynamic_stack: false
    .vgpr_count:     61
    .vgpr_spill_count: 0
    .wavefront_size: 32
    .workgroup_processor_mode: 1
  - .args:
      - .offset:         0
        .size:           4
        .value_kind:     by_value
      - .offset:         8
        .size:           8
        .value_kind:     by_value
      - .offset:         16
        .size:           8
        .value_kind:     by_value
      - .address_space:  global
        .offset:         24
        .size:           8
        .value_kind:     global_buffer
      - .offset:         32
        .size:           8
        .value_kind:     by_value
      - .offset:         40
        .size:           8
        .value_kind:     by_value
      - .address_space:  global
        .offset:         48
        .size:           8
        .value_kind:     global_buffer
      - .offset:         56
        .size:           8
        .value_kind:     by_value
      - .offset:         64
        .size:           8
        .value_kind:     by_value
      - .offset:         72
        .size:           8
        .value_kind:     by_value
      - .address_space:  global
        .offset:         80
        .size:           8
        .value_kind:     global_buffer
      - .offset:         88
        .size:           8
        .value_kind:     by_value
      - .offset:         96
        .size:           8
        .value_kind:     by_value
      - .offset:         104
        .size:           4
        .value_kind:     by_value
    .group_segment_fixed_size: 4096
    .kernarg_segment_align: 8
    .kernarg_segment_size: 108
    .language:       OpenCL C
    .language_version:
      - 2
      - 0
    .max_flat_workgroup_size: 256
    .name:           _ZL29rocblas_internal_gemmt_kernelIlLi16ELi32ELi8ELc78ELc84ELc76ELb0ELb0E19rocblas_complex_numIfES1_PKS1_PS1_EviT_T9_T10_S5_lS7_S5_lS6_T11_S5_li
    .private_segment_fixed_size: 0
    .sgpr_count:     32
    .sgpr_spill_count: 0
    .symbol:         _ZL29rocblas_internal_gemmt_kernelIlLi16ELi32ELi8ELc78ELc84ELc76ELb0ELb0E19rocblas_complex_numIfES1_PKS1_PS1_EviT_T9_T10_S5_lS7_S5_lS6_T11_S5_li.kd
    .uniform_work_group_size: 1
    .uses_dynamic_stack: false
    .vgpr_count:     61
    .vgpr_spill_count: 0
    .wavefront_size: 32
    .workgroup_processor_mode: 1
  - .args:
      - .offset:         0
        .size:           4
        .value_kind:     by_value
      - .offset:         8
        .size:           8
        .value_kind:     by_value
      - .offset:         16
        .size:           8
        .value_kind:     by_value
      - .address_space:  global
        .offset:         24
        .size:           8
        .value_kind:     global_buffer
      - .offset:         32
        .size:           8
        .value_kind:     by_value
      - .offset:         40
        .size:           8
        .value_kind:     by_value
      - .address_space:  global
        .offset:         48
        .size:           8
        .value_kind:     global_buffer
      - .offset:         56
        .size:           8
        .value_kind:     by_value
      - .offset:         64
        .size:           8
        .value_kind:     by_value
      - .offset:         72
        .size:           8
        .value_kind:     by_value
      - .address_space:  global
        .offset:         80
        .size:           8
        .value_kind:     global_buffer
      - .offset:         88
        .size:           8
        .value_kind:     by_value
      - .offset:         96
        .size:           8
        .value_kind:     by_value
      - .offset:         104
        .size:           4
        .value_kind:     by_value
    .group_segment_fixed_size: 4096
    .kernarg_segment_align: 8
    .kernarg_segment_size: 108
    .language:       OpenCL C
    .language_version:
      - 2
      - 0
    .max_flat_workgroup_size: 256
    .name:           _ZL29rocblas_internal_gemmt_kernelIlLi16ELi32ELi8ELc78ELc67ELc76ELb0ELb1E19rocblas_complex_numIfES1_PKS1_PS1_EviT_T9_T10_S5_lS7_S5_lS6_T11_S5_li
    .private_segment_fixed_size: 0
    .sgpr_count:     32
    .sgpr_spill_count: 0
    .symbol:         _ZL29rocblas_internal_gemmt_kernelIlLi16ELi32ELi8ELc78ELc67ELc76ELb0ELb1E19rocblas_complex_numIfES1_PKS1_PS1_EviT_T9_T10_S5_lS7_S5_lS6_T11_S5_li.kd
    .uniform_work_group_size: 1
    .uses_dynamic_stack: false
    .vgpr_count:     61
    .vgpr_spill_count: 0
    .wavefront_size: 32
    .workgroup_processor_mode: 1
  - .args:
      - .offset:         0
        .size:           4
        .value_kind:     by_value
      - .offset:         8
        .size:           8
        .value_kind:     by_value
      - .offset:         16
        .size:           8
        .value_kind:     by_value
      - .address_space:  global
        .offset:         24
        .size:           8
        .value_kind:     global_buffer
      - .offset:         32
        .size:           8
        .value_kind:     by_value
      - .offset:         40
        .size:           8
        .value_kind:     by_value
      - .address_space:  global
        .offset:         48
        .size:           8
        .value_kind:     global_buffer
      - .offset:         56
        .size:           8
        .value_kind:     by_value
      - .offset:         64
        .size:           8
        .value_kind:     by_value
      - .offset:         72
        .size:           8
        .value_kind:     by_value
      - .address_space:  global
        .offset:         80
        .size:           8
        .value_kind:     global_buffer
      - .offset:         88
        .size:           8
        .value_kind:     by_value
      - .offset:         96
        .size:           8
        .value_kind:     by_value
      - .offset:         104
        .size:           4
        .value_kind:     by_value
    .group_segment_fixed_size: 4096
    .kernarg_segment_align: 8
    .kernarg_segment_size: 108
    .language:       OpenCL C
    .language_version:
      - 2
      - 0
    .max_flat_workgroup_size: 256
    .name:           _ZL29rocblas_internal_gemmt_kernelIlLi16ELi32ELi8ELc84ELc78ELc76ELb0ELb0E19rocblas_complex_numIfES1_PKS1_PS1_EviT_T9_T10_S5_lS7_S5_lS6_T11_S5_li
    .private_segment_fixed_size: 0
    .sgpr_count:     29
    .sgpr_spill_count: 0
    .symbol:         _ZL29rocblas_internal_gemmt_kernelIlLi16ELi32ELi8ELc84ELc78ELc76ELb0ELb0E19rocblas_complex_numIfES1_PKS1_PS1_EviT_T9_T10_S5_lS7_S5_lS6_T11_S5_li.kd
    .uniform_work_group_size: 1
    .uses_dynamic_stack: false
    .vgpr_count:     61
    .vgpr_spill_count: 0
    .wavefront_size: 32
    .workgroup_processor_mode: 1
  - .args:
      - .offset:         0
        .size:           4
        .value_kind:     by_value
      - .offset:         8
        .size:           8
        .value_kind:     by_value
      - .offset:         16
        .size:           8
        .value_kind:     by_value
      - .address_space:  global
        .offset:         24
        .size:           8
        .value_kind:     global_buffer
      - .offset:         32
        .size:           8
        .value_kind:     by_value
      - .offset:         40
        .size:           8
        .value_kind:     by_value
      - .address_space:  global
        .offset:         48
        .size:           8
        .value_kind:     global_buffer
      - .offset:         56
        .size:           8
        .value_kind:     by_value
      - .offset:         64
        .size:           8
        .value_kind:     by_value
      - .offset:         72
        .size:           8
        .value_kind:     by_value
      - .address_space:  global
        .offset:         80
        .size:           8
        .value_kind:     global_buffer
      - .offset:         88
        .size:           8
        .value_kind:     by_value
      - .offset:         96
        .size:           8
        .value_kind:     by_value
      - .offset:         104
        .size:           4
        .value_kind:     by_value
    .group_segment_fixed_size: 4096
    .kernarg_segment_align: 8
    .kernarg_segment_size: 108
    .language:       OpenCL C
    .language_version:
      - 2
      - 0
    .max_flat_workgroup_size: 256
    .name:           _ZL29rocblas_internal_gemmt_kernelIlLi16ELi32ELi8ELc84ELc84ELc76ELb0ELb0E19rocblas_complex_numIfES1_PKS1_PS1_EviT_T9_T10_S5_lS7_S5_lS6_T11_S5_li
    .private_segment_fixed_size: 0
    .sgpr_count:     31
    .sgpr_spill_count: 0
    .symbol:         _ZL29rocblas_internal_gemmt_kernelIlLi16ELi32ELi8ELc84ELc84ELc76ELb0ELb0E19rocblas_complex_numIfES1_PKS1_PS1_EviT_T9_T10_S5_lS7_S5_lS6_T11_S5_li.kd
    .uniform_work_group_size: 1
    .uses_dynamic_stack: false
    .vgpr_count:     61
    .vgpr_spill_count: 0
    .wavefront_size: 32
    .workgroup_processor_mode: 1
  - .args:
      - .offset:         0
        .size:           4
        .value_kind:     by_value
      - .offset:         8
        .size:           8
        .value_kind:     by_value
      - .offset:         16
        .size:           8
        .value_kind:     by_value
      - .address_space:  global
        .offset:         24
        .size:           8
        .value_kind:     global_buffer
      - .offset:         32
        .size:           8
        .value_kind:     by_value
      - .offset:         40
        .size:           8
        .value_kind:     by_value
      - .address_space:  global
        .offset:         48
        .size:           8
        .value_kind:     global_buffer
      - .offset:         56
        .size:           8
        .value_kind:     by_value
      - .offset:         64
        .size:           8
        .value_kind:     by_value
      - .offset:         72
        .size:           8
        .value_kind:     by_value
      - .address_space:  global
        .offset:         80
        .size:           8
        .value_kind:     global_buffer
      - .offset:         88
        .size:           8
        .value_kind:     by_value
      - .offset:         96
        .size:           8
        .value_kind:     by_value
      - .offset:         104
        .size:           4
        .value_kind:     by_value
    .group_segment_fixed_size: 4096
    .kernarg_segment_align: 8
    .kernarg_segment_size: 108
    .language:       OpenCL C
    .language_version:
      - 2
      - 0
    .max_flat_workgroup_size: 256
    .name:           _ZL29rocblas_internal_gemmt_kernelIlLi16ELi32ELi8ELc84ELc67ELc76ELb0ELb1E19rocblas_complex_numIfES1_PKS1_PS1_EviT_T9_T10_S5_lS7_S5_lS6_T11_S5_li
    .private_segment_fixed_size: 0
    .sgpr_count:     31
    .sgpr_spill_count: 0
    .symbol:         _ZL29rocblas_internal_gemmt_kernelIlLi16ELi32ELi8ELc84ELc67ELc76ELb0ELb1E19rocblas_complex_numIfES1_PKS1_PS1_EviT_T9_T10_S5_lS7_S5_lS6_T11_S5_li.kd
    .uniform_work_group_size: 1
    .uses_dynamic_stack: false
    .vgpr_count:     61
    .vgpr_spill_count: 0
    .wavefront_size: 32
    .workgroup_processor_mode: 1
  - .args:
      - .offset:         0
        .size:           4
        .value_kind:     by_value
      - .offset:         8
        .size:           8
        .value_kind:     by_value
      - .offset:         16
        .size:           8
        .value_kind:     by_value
      - .address_space:  global
        .offset:         24
        .size:           8
        .value_kind:     global_buffer
      - .offset:         32
        .size:           8
        .value_kind:     by_value
      - .offset:         40
        .size:           8
        .value_kind:     by_value
      - .address_space:  global
        .offset:         48
        .size:           8
        .value_kind:     global_buffer
      - .offset:         56
        .size:           8
        .value_kind:     by_value
      - .offset:         64
        .size:           8
        .value_kind:     by_value
      - .offset:         72
        .size:           8
        .value_kind:     by_value
      - .address_space:  global
        .offset:         80
        .size:           8
        .value_kind:     global_buffer
      - .offset:         88
        .size:           8
        .value_kind:     by_value
      - .offset:         96
        .size:           8
        .value_kind:     by_value
      - .offset:         104
        .size:           4
        .value_kind:     by_value
    .group_segment_fixed_size: 4096
    .kernarg_segment_align: 8
    .kernarg_segment_size: 108
    .language:       OpenCL C
    .language_version:
      - 2
      - 0
    .max_flat_workgroup_size: 256
    .name:           _ZL29rocblas_internal_gemmt_kernelIlLi16ELi32ELi8ELc67ELc78ELc76ELb1ELb0E19rocblas_complex_numIfES1_PKS1_PS1_EviT_T9_T10_S5_lS7_S5_lS6_T11_S5_li
    .private_segment_fixed_size: 0
    .sgpr_count:     29
    .sgpr_spill_count: 0
    .symbol:         _ZL29rocblas_internal_gemmt_kernelIlLi16ELi32ELi8ELc67ELc78ELc76ELb1ELb0E19rocblas_complex_numIfES1_PKS1_PS1_EviT_T9_T10_S5_lS7_S5_lS6_T11_S5_li.kd
    .uniform_work_group_size: 1
    .uses_dynamic_stack: false
    .vgpr_count:     61
    .vgpr_spill_count: 0
    .wavefront_size: 32
    .workgroup_processor_mode: 1
  - .args:
      - .offset:         0
        .size:           4
        .value_kind:     by_value
      - .offset:         8
        .size:           8
        .value_kind:     by_value
      - .offset:         16
        .size:           8
        .value_kind:     by_value
      - .address_space:  global
        .offset:         24
        .size:           8
        .value_kind:     global_buffer
      - .offset:         32
        .size:           8
        .value_kind:     by_value
      - .offset:         40
        .size:           8
        .value_kind:     by_value
      - .address_space:  global
        .offset:         48
        .size:           8
        .value_kind:     global_buffer
      - .offset:         56
        .size:           8
        .value_kind:     by_value
      - .offset:         64
        .size:           8
        .value_kind:     by_value
      - .offset:         72
        .size:           8
        .value_kind:     by_value
      - .address_space:  global
        .offset:         80
        .size:           8
        .value_kind:     global_buffer
      - .offset:         88
        .size:           8
        .value_kind:     by_value
      - .offset:         96
        .size:           8
        .value_kind:     by_value
      - .offset:         104
        .size:           4
        .value_kind:     by_value
    .group_segment_fixed_size: 4096
    .kernarg_segment_align: 8
    .kernarg_segment_size: 108
    .language:       OpenCL C
    .language_version:
      - 2
      - 0
    .max_flat_workgroup_size: 256
    .name:           _ZL29rocblas_internal_gemmt_kernelIlLi16ELi32ELi8ELc67ELc84ELc76ELb1ELb0E19rocblas_complex_numIfES1_PKS1_PS1_EviT_T9_T10_S5_lS7_S5_lS6_T11_S5_li
    .private_segment_fixed_size: 0
    .sgpr_count:     31
    .sgpr_spill_count: 0
    .symbol:         _ZL29rocblas_internal_gemmt_kernelIlLi16ELi32ELi8ELc67ELc84ELc76ELb1ELb0E19rocblas_complex_numIfES1_PKS1_PS1_EviT_T9_T10_S5_lS7_S5_lS6_T11_S5_li.kd
    .uniform_work_group_size: 1
    .uses_dynamic_stack: false
    .vgpr_count:     61
    .vgpr_spill_count: 0
    .wavefront_size: 32
    .workgroup_processor_mode: 1
  - .args:
      - .offset:         0
        .size:           4
        .value_kind:     by_value
      - .offset:         8
        .size:           8
        .value_kind:     by_value
      - .offset:         16
        .size:           8
        .value_kind:     by_value
      - .address_space:  global
        .offset:         24
        .size:           8
        .value_kind:     global_buffer
      - .offset:         32
        .size:           8
        .value_kind:     by_value
      - .offset:         40
        .size:           8
        .value_kind:     by_value
      - .address_space:  global
        .offset:         48
        .size:           8
        .value_kind:     global_buffer
      - .offset:         56
        .size:           8
        .value_kind:     by_value
      - .offset:         64
        .size:           8
        .value_kind:     by_value
      - .offset:         72
        .size:           8
        .value_kind:     by_value
      - .address_space:  global
        .offset:         80
        .size:           8
        .value_kind:     global_buffer
      - .offset:         88
        .size:           8
        .value_kind:     by_value
      - .offset:         96
        .size:           8
        .value_kind:     by_value
      - .offset:         104
        .size:           4
        .value_kind:     by_value
    .group_segment_fixed_size: 4096
    .kernarg_segment_align: 8
    .kernarg_segment_size: 108
    .language:       OpenCL C
    .language_version:
      - 2
      - 0
    .max_flat_workgroup_size: 256
    .name:           _ZL29rocblas_internal_gemmt_kernelIlLi16ELi32ELi8ELc67ELc67ELc76ELb1ELb1E19rocblas_complex_numIfES1_PKS1_PS1_EviT_T9_T10_S5_lS7_S5_lS6_T11_S5_li
    .private_segment_fixed_size: 0
    .sgpr_count:     31
    .sgpr_spill_count: 0
    .symbol:         _ZL29rocblas_internal_gemmt_kernelIlLi16ELi32ELi8ELc67ELc67ELc76ELb1ELb1E19rocblas_complex_numIfES1_PKS1_PS1_EviT_T9_T10_S5_lS7_S5_lS6_T11_S5_li.kd
    .uniform_work_group_size: 1
    .uses_dynamic_stack: false
    .vgpr_count:     61
    .vgpr_spill_count: 0
    .wavefront_size: 32
    .workgroup_processor_mode: 1
  - .args:
      - .offset:         0
        .size:           4
        .value_kind:     by_value
      - .offset:         8
        .size:           8
        .value_kind:     by_value
      - .address_space:  global
        .offset:         16
        .size:           8
        .value_kind:     global_buffer
      - .address_space:  global
        .offset:         24
        .size:           8
        .value_kind:     global_buffer
      - .offset:         32
        .size:           8
        .value_kind:     by_value
      - .offset:         40
        .size:           8
        .value_kind:     by_value
      - .address_space:  global
        .offset:         48
        .size:           8
        .value_kind:     global_buffer
      - .offset:         56
        .size:           8
        .value_kind:     by_value
      - .offset:         64
        .size:           8
        .value_kind:     by_value
      - .address_space:  global
        .offset:         72
        .size:           8
        .value_kind:     global_buffer
      - .address_space:  global
        .offset:         80
        .size:           8
        .value_kind:     global_buffer
      - .offset:         88
        .size:           8
        .value_kind:     by_value
      - .offset:         96
        .size:           8
        .value_kind:     by_value
      - .offset:         104
        .size:           4
        .value_kind:     by_value
    .group_segment_fixed_size: 8192
    .kernarg_segment_align: 8
    .kernarg_segment_size: 108
    .language:       OpenCL C
    .language_version:
      - 2
      - 0
    .max_flat_workgroup_size: 256
    .name:           _ZL29rocblas_internal_gemmt_kernelIlLi16ELi32ELi8ELc78ELc78ELc85ELb0ELb0E19rocblas_complex_numIdEPKS1_S3_PS1_EviT_T9_T10_S5_lS7_S5_lS6_T11_S5_li
    .private_segment_fixed_size: 0
    .sgpr_count:     50
    .sgpr_spill_count: 0
    .symbol:         _ZL29rocblas_internal_gemmt_kernelIlLi16ELi32ELi8ELc78ELc78ELc85ELb0ELb0E19rocblas_complex_numIdEPKS1_S3_PS1_EviT_T9_T10_S5_lS7_S5_lS6_T11_S5_li.kd
    .uniform_work_group_size: 1
    .uses_dynamic_stack: false
    .vgpr_count:     58
    .vgpr_spill_count: 0
    .wavefront_size: 32
    .workgroup_processor_mode: 1
  - .args:
      - .offset:         0
        .size:           4
        .value_kind:     by_value
      - .offset:         8
        .size:           8
        .value_kind:     by_value
      - .address_space:  global
        .offset:         16
        .size:           8
        .value_kind:     global_buffer
      - .address_space:  global
        .offset:         24
        .size:           8
        .value_kind:     global_buffer
      - .offset:         32
        .size:           8
        .value_kind:     by_value
      - .offset:         40
        .size:           8
        .value_kind:     by_value
      - .address_space:  global
        .offset:         48
        .size:           8
        .value_kind:     global_buffer
      - .offset:         56
        .size:           8
        .value_kind:     by_value
      - .offset:         64
        .size:           8
        .value_kind:     by_value
      - .address_space:  global
        .offset:         72
        .size:           8
        .value_kind:     global_buffer
      - .address_space:  global
        .offset:         80
        .size:           8
        .value_kind:     global_buffer
      - .offset:         88
        .size:           8
        .value_kind:     by_value
      - .offset:         96
        .size:           8
        .value_kind:     by_value
      - .offset:         104
        .size:           4
        .value_kind:     by_value
    .group_segment_fixed_size: 8192
    .kernarg_segment_align: 8
    .kernarg_segment_size: 108
    .language:       OpenCL C
    .language_version:
      - 2
      - 0
    .max_flat_workgroup_size: 256
    .name:           _ZL29rocblas_internal_gemmt_kernelIlLi16ELi32ELi8ELc78ELc84ELc85ELb0ELb0E19rocblas_complex_numIdEPKS1_S3_PS1_EviT_T9_T10_S5_lS7_S5_lS6_T11_S5_li
    .private_segment_fixed_size: 0
    .sgpr_count:     50
    .sgpr_spill_count: 0
    .symbol:         _ZL29rocblas_internal_gemmt_kernelIlLi16ELi32ELi8ELc78ELc84ELc85ELb0ELb0E19rocblas_complex_numIdEPKS1_S3_PS1_EviT_T9_T10_S5_lS7_S5_lS6_T11_S5_li.kd
    .uniform_work_group_size: 1
    .uses_dynamic_stack: false
    .vgpr_count:     58
    .vgpr_spill_count: 0
    .wavefront_size: 32
    .workgroup_processor_mode: 1
  - .args:
      - .offset:         0
        .size:           4
        .value_kind:     by_value
      - .offset:         8
        .size:           8
        .value_kind:     by_value
      - .address_space:  global
        .offset:         16
        .size:           8
        .value_kind:     global_buffer
      - .address_space:  global
        .offset:         24
        .size:           8
        .value_kind:     global_buffer
      - .offset:         32
        .size:           8
        .value_kind:     by_value
      - .offset:         40
        .size:           8
        .value_kind:     by_value
      - .address_space:  global
        .offset:         48
        .size:           8
        .value_kind:     global_buffer
      - .offset:         56
        .size:           8
        .value_kind:     by_value
      - .offset:         64
        .size:           8
        .value_kind:     by_value
      - .address_space:  global
        .offset:         72
        .size:           8
        .value_kind:     global_buffer
      - .address_space:  global
        .offset:         80
        .size:           8
        .value_kind:     global_buffer
      - .offset:         88
        .size:           8
        .value_kind:     by_value
      - .offset:         96
        .size:           8
        .value_kind:     by_value
      - .offset:         104
        .size:           4
        .value_kind:     by_value
    .group_segment_fixed_size: 8192
    .kernarg_segment_align: 8
    .kernarg_segment_size: 108
    .language:       OpenCL C
    .language_version:
      - 2
      - 0
    .max_flat_workgroup_size: 256
    .name:           _ZL29rocblas_internal_gemmt_kernelIlLi16ELi32ELi8ELc78ELc67ELc85ELb0ELb1E19rocblas_complex_numIdEPKS1_S3_PS1_EviT_T9_T10_S5_lS7_S5_lS6_T11_S5_li
    .private_segment_fixed_size: 0
    .sgpr_count:     50
    .sgpr_spill_count: 0
    .symbol:         _ZL29rocblas_internal_gemmt_kernelIlLi16ELi32ELi8ELc78ELc67ELc85ELb0ELb1E19rocblas_complex_numIdEPKS1_S3_PS1_EviT_T9_T10_S5_lS7_S5_lS6_T11_S5_li.kd
    .uniform_work_group_size: 1
    .uses_dynamic_stack: false
    .vgpr_count:     120
    .vgpr_spill_count: 0
    .wavefront_size: 32
    .workgroup_processor_mode: 1
  - .args:
      - .offset:         0
        .size:           4
        .value_kind:     by_value
      - .offset:         8
        .size:           8
        .value_kind:     by_value
      - .address_space:  global
        .offset:         16
        .size:           8
        .value_kind:     global_buffer
      - .address_space:  global
        .offset:         24
        .size:           8
        .value_kind:     global_buffer
      - .offset:         32
        .size:           8
        .value_kind:     by_value
      - .offset:         40
        .size:           8
        .value_kind:     by_value
      - .address_space:  global
        .offset:         48
        .size:           8
        .value_kind:     global_buffer
      - .offset:         56
        .size:           8
        .value_kind:     by_value
      - .offset:         64
        .size:           8
        .value_kind:     by_value
      - .address_space:  global
        .offset:         72
        .size:           8
        .value_kind:     global_buffer
      - .address_space:  global
        .offset:         80
        .size:           8
        .value_kind:     global_buffer
      - .offset:         88
        .size:           8
        .value_kind:     by_value
      - .offset:         96
        .size:           8
        .value_kind:     by_value
      - .offset:         104
        .size:           4
        .value_kind:     by_value
    .group_segment_fixed_size: 8192
    .kernarg_segment_align: 8
    .kernarg_segment_size: 108
    .language:       OpenCL C
    .language_version:
      - 2
      - 0
    .max_flat_workgroup_size: 256
    .name:           _ZL29rocblas_internal_gemmt_kernelIlLi16ELi32ELi8ELc84ELc78ELc85ELb0ELb0E19rocblas_complex_numIdEPKS1_S3_PS1_EviT_T9_T10_S5_lS7_S5_lS6_T11_S5_li
    .private_segment_fixed_size: 0
    .sgpr_count:     50
    .sgpr_spill_count: 0
    .symbol:         _ZL29rocblas_internal_gemmt_kernelIlLi16ELi32ELi8ELc84ELc78ELc85ELb0ELb0E19rocblas_complex_numIdEPKS1_S3_PS1_EviT_T9_T10_S5_lS7_S5_lS6_T11_S5_li.kd
    .uniform_work_group_size: 1
    .uses_dynamic_stack: false
    .vgpr_count:     58
    .vgpr_spill_count: 0
    .wavefront_size: 32
    .workgroup_processor_mode: 1
  - .args:
      - .offset:         0
        .size:           4
        .value_kind:     by_value
      - .offset:         8
        .size:           8
        .value_kind:     by_value
      - .address_space:  global
        .offset:         16
        .size:           8
        .value_kind:     global_buffer
      - .address_space:  global
        .offset:         24
        .size:           8
        .value_kind:     global_buffer
      - .offset:         32
        .size:           8
        .value_kind:     by_value
      - .offset:         40
        .size:           8
        .value_kind:     by_value
      - .address_space:  global
        .offset:         48
        .size:           8
        .value_kind:     global_buffer
      - .offset:         56
        .size:           8
        .value_kind:     by_value
      - .offset:         64
        .size:           8
        .value_kind:     by_value
      - .address_space:  global
        .offset:         72
        .size:           8
        .value_kind:     global_buffer
      - .address_space:  global
        .offset:         80
        .size:           8
        .value_kind:     global_buffer
      - .offset:         88
        .size:           8
        .value_kind:     by_value
      - .offset:         96
        .size:           8
        .value_kind:     by_value
      - .offset:         104
        .size:           4
        .value_kind:     by_value
    .group_segment_fixed_size: 8192
    .kernarg_segment_align: 8
    .kernarg_segment_size: 108
    .language:       OpenCL C
    .language_version:
      - 2
      - 0
    .max_flat_workgroup_size: 256
    .name:           _ZL29rocblas_internal_gemmt_kernelIlLi16ELi32ELi8ELc84ELc84ELc85ELb0ELb0E19rocblas_complex_numIdEPKS1_S3_PS1_EviT_T9_T10_S5_lS7_S5_lS6_T11_S5_li
    .private_segment_fixed_size: 0
    .sgpr_count:     50
    .sgpr_spill_count: 0
    .symbol:         _ZL29rocblas_internal_gemmt_kernelIlLi16ELi32ELi8ELc84ELc84ELc85ELb0ELb0E19rocblas_complex_numIdEPKS1_S3_PS1_EviT_T9_T10_S5_lS7_S5_lS6_T11_S5_li.kd
    .uniform_work_group_size: 1
    .uses_dynamic_stack: false
    .vgpr_count:     58
    .vgpr_spill_count: 0
    .wavefront_size: 32
    .workgroup_processor_mode: 1
  - .args:
      - .offset:         0
        .size:           4
        .value_kind:     by_value
      - .offset:         8
        .size:           8
        .value_kind:     by_value
      - .address_space:  global
        .offset:         16
        .size:           8
        .value_kind:     global_buffer
      - .address_space:  global
        .offset:         24
        .size:           8
        .value_kind:     global_buffer
      - .offset:         32
        .size:           8
        .value_kind:     by_value
      - .offset:         40
        .size:           8
        .value_kind:     by_value
      - .address_space:  global
        .offset:         48
        .size:           8
        .value_kind:     global_buffer
      - .offset:         56
        .size:           8
        .value_kind:     by_value
      - .offset:         64
        .size:           8
        .value_kind:     by_value
      - .address_space:  global
        .offset:         72
        .size:           8
        .value_kind:     global_buffer
      - .address_space:  global
        .offset:         80
        .size:           8
        .value_kind:     global_buffer
      - .offset:         88
        .size:           8
        .value_kind:     by_value
      - .offset:         96
        .size:           8
        .value_kind:     by_value
      - .offset:         104
        .size:           4
        .value_kind:     by_value
    .group_segment_fixed_size: 8192
    .kernarg_segment_align: 8
    .kernarg_segment_size: 108
    .language:       OpenCL C
    .language_version:
      - 2
      - 0
    .max_flat_workgroup_size: 256
    .name:           _ZL29rocblas_internal_gemmt_kernelIlLi16ELi32ELi8ELc84ELc67ELc85ELb0ELb1E19rocblas_complex_numIdEPKS1_S3_PS1_EviT_T9_T10_S5_lS7_S5_lS6_T11_S5_li
    .private_segment_fixed_size: 0
    .sgpr_count:     50
    .sgpr_spill_count: 0
    .symbol:         _ZL29rocblas_internal_gemmt_kernelIlLi16ELi32ELi8ELc84ELc67ELc85ELb0ELb1E19rocblas_complex_numIdEPKS1_S3_PS1_EviT_T9_T10_S5_lS7_S5_lS6_T11_S5_li.kd
    .uniform_work_group_size: 1
    .uses_dynamic_stack: false
    .vgpr_count:     120
    .vgpr_spill_count: 0
    .wavefront_size: 32
    .workgroup_processor_mode: 1
  - .args:
      - .offset:         0
        .size:           4
        .value_kind:     by_value
      - .offset:         8
        .size:           8
        .value_kind:     by_value
      - .address_space:  global
        .offset:         16
        .size:           8
        .value_kind:     global_buffer
      - .address_space:  global
        .offset:         24
        .size:           8
        .value_kind:     global_buffer
      - .offset:         32
        .size:           8
        .value_kind:     by_value
      - .offset:         40
        .size:           8
        .value_kind:     by_value
      - .address_space:  global
        .offset:         48
        .size:           8
        .value_kind:     global_buffer
      - .offset:         56
        .size:           8
        .value_kind:     by_value
      - .offset:         64
        .size:           8
        .value_kind:     by_value
      - .address_space:  global
        .offset:         72
        .size:           8
        .value_kind:     global_buffer
      - .address_space:  global
        .offset:         80
        .size:           8
        .value_kind:     global_buffer
      - .offset:         88
        .size:           8
        .value_kind:     by_value
      - .offset:         96
        .size:           8
        .value_kind:     by_value
      - .offset:         104
        .size:           4
        .value_kind:     by_value
    .group_segment_fixed_size: 8192
    .kernarg_segment_align: 8
    .kernarg_segment_size: 108
    .language:       OpenCL C
    .language_version:
      - 2
      - 0
    .max_flat_workgroup_size: 256
    .name:           _ZL29rocblas_internal_gemmt_kernelIlLi16ELi32ELi8ELc67ELc78ELc85ELb1ELb0E19rocblas_complex_numIdEPKS1_S3_PS1_EviT_T9_T10_S5_lS7_S5_lS6_T11_S5_li
    .private_segment_fixed_size: 0
    .sgpr_count:     50
    .sgpr_spill_count: 0
    .symbol:         _ZL29rocblas_internal_gemmt_kernelIlLi16ELi32ELi8ELc67ELc78ELc85ELb1ELb0E19rocblas_complex_numIdEPKS1_S3_PS1_EviT_T9_T10_S5_lS7_S5_lS6_T11_S5_li.kd
    .uniform_work_group_size: 1
    .uses_dynamic_stack: false
    .vgpr_count:     126
    .vgpr_spill_count: 0
    .wavefront_size: 32
    .workgroup_processor_mode: 1
  - .args:
      - .offset:         0
        .size:           4
        .value_kind:     by_value
      - .offset:         8
        .size:           8
        .value_kind:     by_value
      - .address_space:  global
        .offset:         16
        .size:           8
        .value_kind:     global_buffer
      - .address_space:  global
        .offset:         24
        .size:           8
        .value_kind:     global_buffer
      - .offset:         32
        .size:           8
        .value_kind:     by_value
      - .offset:         40
        .size:           8
        .value_kind:     by_value
      - .address_space:  global
        .offset:         48
        .size:           8
        .value_kind:     global_buffer
      - .offset:         56
        .size:           8
        .value_kind:     by_value
      - .offset:         64
        .size:           8
        .value_kind:     by_value
      - .address_space:  global
        .offset:         72
        .size:           8
        .value_kind:     global_buffer
      - .address_space:  global
        .offset:         80
        .size:           8
        .value_kind:     global_buffer
      - .offset:         88
        .size:           8
        .value_kind:     by_value
      - .offset:         96
        .size:           8
        .value_kind:     by_value
      - .offset:         104
        .size:           4
        .value_kind:     by_value
    .group_segment_fixed_size: 8192
    .kernarg_segment_align: 8
    .kernarg_segment_size: 108
    .language:       OpenCL C
    .language_version:
      - 2
      - 0
    .max_flat_workgroup_size: 256
    .name:           _ZL29rocblas_internal_gemmt_kernelIlLi16ELi32ELi8ELc67ELc84ELc85ELb1ELb0E19rocblas_complex_numIdEPKS1_S3_PS1_EviT_T9_T10_S5_lS7_S5_lS6_T11_S5_li
    .private_segment_fixed_size: 0
    .sgpr_count:     50
    .sgpr_spill_count: 0
    .symbol:         _ZL29rocblas_internal_gemmt_kernelIlLi16ELi32ELi8ELc67ELc84ELc85ELb1ELb0E19rocblas_complex_numIdEPKS1_S3_PS1_EviT_T9_T10_S5_lS7_S5_lS6_T11_S5_li.kd
    .uniform_work_group_size: 1
    .uses_dynamic_stack: false
    .vgpr_count:     126
    .vgpr_spill_count: 0
    .wavefront_size: 32
    .workgroup_processor_mode: 1
  - .args:
      - .offset:         0
        .size:           4
        .value_kind:     by_value
      - .offset:         8
        .size:           8
        .value_kind:     by_value
      - .address_space:  global
        .offset:         16
        .size:           8
        .value_kind:     global_buffer
      - .address_space:  global
        .offset:         24
        .size:           8
        .value_kind:     global_buffer
      - .offset:         32
        .size:           8
        .value_kind:     by_value
      - .offset:         40
        .size:           8
        .value_kind:     by_value
      - .address_space:  global
        .offset:         48
        .size:           8
        .value_kind:     global_buffer
      - .offset:         56
        .size:           8
        .value_kind:     by_value
      - .offset:         64
        .size:           8
        .value_kind:     by_value
      - .address_space:  global
        .offset:         72
        .size:           8
        .value_kind:     global_buffer
      - .address_space:  global
        .offset:         80
        .size:           8
        .value_kind:     global_buffer
      - .offset:         88
        .size:           8
        .value_kind:     by_value
      - .offset:         96
        .size:           8
        .value_kind:     by_value
      - .offset:         104
        .size:           4
        .value_kind:     by_value
    .group_segment_fixed_size: 8192
    .kernarg_segment_align: 8
    .kernarg_segment_size: 108
    .language:       OpenCL C
    .language_version:
      - 2
      - 0
    .max_flat_workgroup_size: 256
    .name:           _ZL29rocblas_internal_gemmt_kernelIlLi16ELi32ELi8ELc67ELc67ELc85ELb1ELb1E19rocblas_complex_numIdEPKS1_S3_PS1_EviT_T9_T10_S5_lS7_S5_lS6_T11_S5_li
    .private_segment_fixed_size: 0
    .sgpr_count:     50
    .sgpr_spill_count: 0
    .symbol:         _ZL29rocblas_internal_gemmt_kernelIlLi16ELi32ELi8ELc67ELc67ELc85ELb1ELb1E19rocblas_complex_numIdEPKS1_S3_PS1_EviT_T9_T10_S5_lS7_S5_lS6_T11_S5_li.kd
    .uniform_work_group_size: 1
    .uses_dynamic_stack: false
    .vgpr_count:     118
    .vgpr_spill_count: 0
    .wavefront_size: 32
    .workgroup_processor_mode: 1
  - .args:
      - .offset:         0
        .size:           4
        .value_kind:     by_value
      - .offset:         8
        .size:           8
        .value_kind:     by_value
      - .address_space:  global
        .offset:         16
        .size:           8
        .value_kind:     global_buffer
      - .address_space:  global
        .offset:         24
        .size:           8
        .value_kind:     global_buffer
      - .offset:         32
        .size:           8
        .value_kind:     by_value
      - .offset:         40
        .size:           8
        .value_kind:     by_value
      - .address_space:  global
        .offset:         48
        .size:           8
        .value_kind:     global_buffer
      - .offset:         56
        .size:           8
        .value_kind:     by_value
      - .offset:         64
        .size:           8
        .value_kind:     by_value
      - .address_space:  global
        .offset:         72
        .size:           8
        .value_kind:     global_buffer
      - .address_space:  global
        .offset:         80
        .size:           8
        .value_kind:     global_buffer
      - .offset:         88
        .size:           8
        .value_kind:     by_value
      - .offset:         96
        .size:           8
        .value_kind:     by_value
      - .offset:         104
        .size:           4
        .value_kind:     by_value
    .group_segment_fixed_size: 8192
    .kernarg_segment_align: 8
    .kernarg_segment_size: 108
    .language:       OpenCL C
    .language_version:
      - 2
      - 0
    .max_flat_workgroup_size: 256
    .name:           _ZL29rocblas_internal_gemmt_kernelIlLi16ELi32ELi8ELc78ELc78ELc76ELb0ELb0E19rocblas_complex_numIdEPKS1_S3_PS1_EviT_T9_T10_S5_lS7_S5_lS6_T11_S5_li
    .private_segment_fixed_size: 0
    .sgpr_count:     50
    .sgpr_spill_count: 0
    .symbol:         _ZL29rocblas_internal_gemmt_kernelIlLi16ELi32ELi8ELc78ELc78ELc76ELb0ELb0E19rocblas_complex_numIdEPKS1_S3_PS1_EviT_T9_T10_S5_lS7_S5_lS6_T11_S5_li.kd
    .uniform_work_group_size: 1
    .uses_dynamic_stack: false
    .vgpr_count:     58
    .vgpr_spill_count: 0
    .wavefront_size: 32
    .workgroup_processor_mode: 1
  - .args:
      - .offset:         0
        .size:           4
        .value_kind:     by_value
      - .offset:         8
        .size:           8
        .value_kind:     by_value
      - .address_space:  global
        .offset:         16
        .size:           8
        .value_kind:     global_buffer
      - .address_space:  global
        .offset:         24
        .size:           8
        .value_kind:     global_buffer
      - .offset:         32
        .size:           8
        .value_kind:     by_value
      - .offset:         40
        .size:           8
        .value_kind:     by_value
      - .address_space:  global
        .offset:         48
        .size:           8
        .value_kind:     global_buffer
      - .offset:         56
        .size:           8
        .value_kind:     by_value
      - .offset:         64
        .size:           8
        .value_kind:     by_value
      - .address_space:  global
        .offset:         72
        .size:           8
        .value_kind:     global_buffer
      - .address_space:  global
        .offset:         80
        .size:           8
        .value_kind:     global_buffer
      - .offset:         88
        .size:           8
        .value_kind:     by_value
      - .offset:         96
        .size:           8
        .value_kind:     by_value
      - .offset:         104
        .size:           4
        .value_kind:     by_value
    .group_segment_fixed_size: 8192
    .kernarg_segment_align: 8
    .kernarg_segment_size: 108
    .language:       OpenCL C
    .language_version:
      - 2
      - 0
    .max_flat_workgroup_size: 256
    .name:           _ZL29rocblas_internal_gemmt_kernelIlLi16ELi32ELi8ELc78ELc84ELc76ELb0ELb0E19rocblas_complex_numIdEPKS1_S3_PS1_EviT_T9_T10_S5_lS7_S5_lS6_T11_S5_li
    .private_segment_fixed_size: 0
    .sgpr_count:     50
    .sgpr_spill_count: 0
    .symbol:         _ZL29rocblas_internal_gemmt_kernelIlLi16ELi32ELi8ELc78ELc84ELc76ELb0ELb0E19rocblas_complex_numIdEPKS1_S3_PS1_EviT_T9_T10_S5_lS7_S5_lS6_T11_S5_li.kd
    .uniform_work_group_size: 1
    .uses_dynamic_stack: false
    .vgpr_count:     58
    .vgpr_spill_count: 0
    .wavefront_size: 32
    .workgroup_processor_mode: 1
  - .args:
      - .offset:         0
        .size:           4
        .value_kind:     by_value
      - .offset:         8
        .size:           8
        .value_kind:     by_value
      - .address_space:  global
        .offset:         16
        .size:           8
        .value_kind:     global_buffer
      - .address_space:  global
        .offset:         24
        .size:           8
        .value_kind:     global_buffer
      - .offset:         32
        .size:           8
        .value_kind:     by_value
      - .offset:         40
        .size:           8
        .value_kind:     by_value
      - .address_space:  global
        .offset:         48
        .size:           8
        .value_kind:     global_buffer
      - .offset:         56
        .size:           8
        .value_kind:     by_value
      - .offset:         64
        .size:           8
        .value_kind:     by_value
      - .address_space:  global
        .offset:         72
        .size:           8
        .value_kind:     global_buffer
      - .address_space:  global
        .offset:         80
        .size:           8
        .value_kind:     global_buffer
      - .offset:         88
        .size:           8
        .value_kind:     by_value
      - .offset:         96
        .size:           8
        .value_kind:     by_value
      - .offset:         104
        .size:           4
        .value_kind:     by_value
    .group_segment_fixed_size: 8192
    .kernarg_segment_align: 8
    .kernarg_segment_size: 108
    .language:       OpenCL C
    .language_version:
      - 2
      - 0
    .max_flat_workgroup_size: 256
    .name:           _ZL29rocblas_internal_gemmt_kernelIlLi16ELi32ELi8ELc78ELc67ELc76ELb0ELb1E19rocblas_complex_numIdEPKS1_S3_PS1_EviT_T9_T10_S5_lS7_S5_lS6_T11_S5_li
    .private_segment_fixed_size: 0
    .sgpr_count:     50
    .sgpr_spill_count: 0
    .symbol:         _ZL29rocblas_internal_gemmt_kernelIlLi16ELi32ELi8ELc78ELc67ELc76ELb0ELb1E19rocblas_complex_numIdEPKS1_S3_PS1_EviT_T9_T10_S5_lS7_S5_lS6_T11_S5_li.kd
    .uniform_work_group_size: 1
    .uses_dynamic_stack: false
    .vgpr_count:     120
    .vgpr_spill_count: 0
    .wavefront_size: 32
    .workgroup_processor_mode: 1
  - .args:
      - .offset:         0
        .size:           4
        .value_kind:     by_value
      - .offset:         8
        .size:           8
        .value_kind:     by_value
      - .address_space:  global
        .offset:         16
        .size:           8
        .value_kind:     global_buffer
      - .address_space:  global
        .offset:         24
        .size:           8
        .value_kind:     global_buffer
      - .offset:         32
        .size:           8
        .value_kind:     by_value
      - .offset:         40
        .size:           8
        .value_kind:     by_value
      - .address_space:  global
        .offset:         48
        .size:           8
        .value_kind:     global_buffer
      - .offset:         56
        .size:           8
        .value_kind:     by_value
      - .offset:         64
        .size:           8
        .value_kind:     by_value
      - .address_space:  global
        .offset:         72
        .size:           8
        .value_kind:     global_buffer
      - .address_space:  global
        .offset:         80
        .size:           8
        .value_kind:     global_buffer
      - .offset:         88
        .size:           8
        .value_kind:     by_value
      - .offset:         96
        .size:           8
        .value_kind:     by_value
      - .offset:         104
        .size:           4
        .value_kind:     by_value
    .group_segment_fixed_size: 8192
    .kernarg_segment_align: 8
    .kernarg_segment_size: 108
    .language:       OpenCL C
    .language_version:
      - 2
      - 0
    .max_flat_workgroup_size: 256
    .name:           _ZL29rocblas_internal_gemmt_kernelIlLi16ELi32ELi8ELc84ELc78ELc76ELb0ELb0E19rocblas_complex_numIdEPKS1_S3_PS1_EviT_T9_T10_S5_lS7_S5_lS6_T11_S5_li
    .private_segment_fixed_size: 0
    .sgpr_count:     50
    .sgpr_spill_count: 0
    .symbol:         _ZL29rocblas_internal_gemmt_kernelIlLi16ELi32ELi8ELc84ELc78ELc76ELb0ELb0E19rocblas_complex_numIdEPKS1_S3_PS1_EviT_T9_T10_S5_lS7_S5_lS6_T11_S5_li.kd
    .uniform_work_group_size: 1
    .uses_dynamic_stack: false
    .vgpr_count:     58
    .vgpr_spill_count: 0
    .wavefront_size: 32
    .workgroup_processor_mode: 1
  - .args:
      - .offset:         0
        .size:           4
        .value_kind:     by_value
      - .offset:         8
        .size:           8
        .value_kind:     by_value
      - .address_space:  global
        .offset:         16
        .size:           8
        .value_kind:     global_buffer
      - .address_space:  global
        .offset:         24
        .size:           8
        .value_kind:     global_buffer
      - .offset:         32
        .size:           8
        .value_kind:     by_value
      - .offset:         40
        .size:           8
        .value_kind:     by_value
      - .address_space:  global
        .offset:         48
        .size:           8
        .value_kind:     global_buffer
      - .offset:         56
        .size:           8
        .value_kind:     by_value
      - .offset:         64
        .size:           8
        .value_kind:     by_value
      - .address_space:  global
        .offset:         72
        .size:           8
        .value_kind:     global_buffer
      - .address_space:  global
        .offset:         80
        .size:           8
        .value_kind:     global_buffer
      - .offset:         88
        .size:           8
        .value_kind:     by_value
      - .offset:         96
        .size:           8
        .value_kind:     by_value
      - .offset:         104
        .size:           4
        .value_kind:     by_value
    .group_segment_fixed_size: 8192
    .kernarg_segment_align: 8
    .kernarg_segment_size: 108
    .language:       OpenCL C
    .language_version:
      - 2
      - 0
    .max_flat_workgroup_size: 256
    .name:           _ZL29rocblas_internal_gemmt_kernelIlLi16ELi32ELi8ELc84ELc84ELc76ELb0ELb0E19rocblas_complex_numIdEPKS1_S3_PS1_EviT_T9_T10_S5_lS7_S5_lS6_T11_S5_li
    .private_segment_fixed_size: 0
    .sgpr_count:     50
    .sgpr_spill_count: 0
    .symbol:         _ZL29rocblas_internal_gemmt_kernelIlLi16ELi32ELi8ELc84ELc84ELc76ELb0ELb0E19rocblas_complex_numIdEPKS1_S3_PS1_EviT_T9_T10_S5_lS7_S5_lS6_T11_S5_li.kd
    .uniform_work_group_size: 1
    .uses_dynamic_stack: false
    .vgpr_count:     58
    .vgpr_spill_count: 0
    .wavefront_size: 32
    .workgroup_processor_mode: 1
  - .args:
      - .offset:         0
        .size:           4
        .value_kind:     by_value
      - .offset:         8
        .size:           8
        .value_kind:     by_value
      - .address_space:  global
        .offset:         16
        .size:           8
        .value_kind:     global_buffer
      - .address_space:  global
        .offset:         24
        .size:           8
        .value_kind:     global_buffer
      - .offset:         32
        .size:           8
        .value_kind:     by_value
      - .offset:         40
        .size:           8
        .value_kind:     by_value
      - .address_space:  global
        .offset:         48
        .size:           8
        .value_kind:     global_buffer
      - .offset:         56
        .size:           8
        .value_kind:     by_value
      - .offset:         64
        .size:           8
        .value_kind:     by_value
      - .address_space:  global
        .offset:         72
        .size:           8
        .value_kind:     global_buffer
      - .address_space:  global
        .offset:         80
        .size:           8
        .value_kind:     global_buffer
      - .offset:         88
        .size:           8
        .value_kind:     by_value
      - .offset:         96
        .size:           8
        .value_kind:     by_value
      - .offset:         104
        .size:           4
        .value_kind:     by_value
    .group_segment_fixed_size: 8192
    .kernarg_segment_align: 8
    .kernarg_segment_size: 108
    .language:       OpenCL C
    .language_version:
      - 2
      - 0
    .max_flat_workgroup_size: 256
    .name:           _ZL29rocblas_internal_gemmt_kernelIlLi16ELi32ELi8ELc84ELc67ELc76ELb0ELb1E19rocblas_complex_numIdEPKS1_S3_PS1_EviT_T9_T10_S5_lS7_S5_lS6_T11_S5_li
    .private_segment_fixed_size: 0
    .sgpr_count:     50
    .sgpr_spill_count: 0
    .symbol:         _ZL29rocblas_internal_gemmt_kernelIlLi16ELi32ELi8ELc84ELc67ELc76ELb0ELb1E19rocblas_complex_numIdEPKS1_S3_PS1_EviT_T9_T10_S5_lS7_S5_lS6_T11_S5_li.kd
    .uniform_work_group_size: 1
    .uses_dynamic_stack: false
    .vgpr_count:     120
    .vgpr_spill_count: 0
    .wavefront_size: 32
    .workgroup_processor_mode: 1
  - .args:
      - .offset:         0
        .size:           4
        .value_kind:     by_value
      - .offset:         8
        .size:           8
        .value_kind:     by_value
      - .address_space:  global
        .offset:         16
        .size:           8
        .value_kind:     global_buffer
      - .address_space:  global
        .offset:         24
        .size:           8
        .value_kind:     global_buffer
      - .offset:         32
        .size:           8
        .value_kind:     by_value
      - .offset:         40
        .size:           8
        .value_kind:     by_value
      - .address_space:  global
        .offset:         48
        .size:           8
        .value_kind:     global_buffer
      - .offset:         56
        .size:           8
        .value_kind:     by_value
      - .offset:         64
        .size:           8
        .value_kind:     by_value
      - .address_space:  global
        .offset:         72
        .size:           8
        .value_kind:     global_buffer
      - .address_space:  global
        .offset:         80
        .size:           8
        .value_kind:     global_buffer
      - .offset:         88
        .size:           8
        .value_kind:     by_value
      - .offset:         96
        .size:           8
        .value_kind:     by_value
      - .offset:         104
        .size:           4
        .value_kind:     by_value
    .group_segment_fixed_size: 8192
    .kernarg_segment_align: 8
    .kernarg_segment_size: 108
    .language:       OpenCL C
    .language_version:
      - 2
      - 0
    .max_flat_workgroup_size: 256
    .name:           _ZL29rocblas_internal_gemmt_kernelIlLi16ELi32ELi8ELc67ELc78ELc76ELb1ELb0E19rocblas_complex_numIdEPKS1_S3_PS1_EviT_T9_T10_S5_lS7_S5_lS6_T11_S5_li
    .private_segment_fixed_size: 0
    .sgpr_count:     50
    .sgpr_spill_count: 0
    .symbol:         _ZL29rocblas_internal_gemmt_kernelIlLi16ELi32ELi8ELc67ELc78ELc76ELb1ELb0E19rocblas_complex_numIdEPKS1_S3_PS1_EviT_T9_T10_S5_lS7_S5_lS6_T11_S5_li.kd
    .uniform_work_group_size: 1
    .uses_dynamic_stack: false
    .vgpr_count:     126
    .vgpr_spill_count: 0
    .wavefront_size: 32
    .workgroup_processor_mode: 1
  - .args:
      - .offset:         0
        .size:           4
        .value_kind:     by_value
      - .offset:         8
        .size:           8
        .value_kind:     by_value
      - .address_space:  global
        .offset:         16
        .size:           8
        .value_kind:     global_buffer
      - .address_space:  global
        .offset:         24
        .size:           8
        .value_kind:     global_buffer
      - .offset:         32
        .size:           8
        .value_kind:     by_value
      - .offset:         40
        .size:           8
        .value_kind:     by_value
      - .address_space:  global
        .offset:         48
        .size:           8
        .value_kind:     global_buffer
      - .offset:         56
        .size:           8
        .value_kind:     by_value
      - .offset:         64
        .size:           8
        .value_kind:     by_value
      - .address_space:  global
        .offset:         72
        .size:           8
        .value_kind:     global_buffer
      - .address_space:  global
        .offset:         80
        .size:           8
        .value_kind:     global_buffer
      - .offset:         88
        .size:           8
        .value_kind:     by_value
      - .offset:         96
        .size:           8
        .value_kind:     by_value
      - .offset:         104
        .size:           4
        .value_kind:     by_value
    .group_segment_fixed_size: 8192
    .kernarg_segment_align: 8
    .kernarg_segment_size: 108
    .language:       OpenCL C
    .language_version:
      - 2
      - 0
    .max_flat_workgroup_size: 256
    .name:           _ZL29rocblas_internal_gemmt_kernelIlLi16ELi32ELi8ELc67ELc84ELc76ELb1ELb0E19rocblas_complex_numIdEPKS1_S3_PS1_EviT_T9_T10_S5_lS7_S5_lS6_T11_S5_li
    .private_segment_fixed_size: 0
    .sgpr_count:     50
    .sgpr_spill_count: 0
    .symbol:         _ZL29rocblas_internal_gemmt_kernelIlLi16ELi32ELi8ELc67ELc84ELc76ELb1ELb0E19rocblas_complex_numIdEPKS1_S3_PS1_EviT_T9_T10_S5_lS7_S5_lS6_T11_S5_li.kd
    .uniform_work_group_size: 1
    .uses_dynamic_stack: false
    .vgpr_count:     126
    .vgpr_spill_count: 0
    .wavefront_size: 32
    .workgroup_processor_mode: 1
  - .args:
      - .offset:         0
        .size:           4
        .value_kind:     by_value
      - .offset:         8
        .size:           8
        .value_kind:     by_value
      - .address_space:  global
        .offset:         16
        .size:           8
        .value_kind:     global_buffer
      - .address_space:  global
        .offset:         24
        .size:           8
        .value_kind:     global_buffer
      - .offset:         32
        .size:           8
        .value_kind:     by_value
      - .offset:         40
        .size:           8
        .value_kind:     by_value
      - .address_space:  global
        .offset:         48
        .size:           8
        .value_kind:     global_buffer
      - .offset:         56
        .size:           8
        .value_kind:     by_value
      - .offset:         64
        .size:           8
        .value_kind:     by_value
      - .address_space:  global
        .offset:         72
        .size:           8
        .value_kind:     global_buffer
      - .address_space:  global
        .offset:         80
        .size:           8
        .value_kind:     global_buffer
      - .offset:         88
        .size:           8
        .value_kind:     by_value
      - .offset:         96
        .size:           8
        .value_kind:     by_value
      - .offset:         104
        .size:           4
        .value_kind:     by_value
    .group_segment_fixed_size: 8192
    .kernarg_segment_align: 8
    .kernarg_segment_size: 108
    .language:       OpenCL C
    .language_version:
      - 2
      - 0
    .max_flat_workgroup_size: 256
    .name:           _ZL29rocblas_internal_gemmt_kernelIlLi16ELi32ELi8ELc67ELc67ELc76ELb1ELb1E19rocblas_complex_numIdEPKS1_S3_PS1_EviT_T9_T10_S5_lS7_S5_lS6_T11_S5_li
    .private_segment_fixed_size: 0
    .sgpr_count:     50
    .sgpr_spill_count: 0
    .symbol:         _ZL29rocblas_internal_gemmt_kernelIlLi16ELi32ELi8ELc67ELc67ELc76ELb1ELb1E19rocblas_complex_numIdEPKS1_S3_PS1_EviT_T9_T10_S5_lS7_S5_lS6_T11_S5_li.kd
    .uniform_work_group_size: 1
    .uses_dynamic_stack: false
    .vgpr_count:     118
    .vgpr_spill_count: 0
    .wavefront_size: 32
    .workgroup_processor_mode: 1
  - .args:
      - .offset:         0
        .size:           4
        .value_kind:     by_value
      - .offset:         8
        .size:           8
        .value_kind:     by_value
      - .offset:         16
        .size:           16
        .value_kind:     by_value
      - .address_space:  global
        .offset:         32
        .size:           8
        .value_kind:     global_buffer
      - .offset:         40
        .size:           8
        .value_kind:     by_value
      - .offset:         48
        .size:           8
        .value_kind:     by_value
      - .address_space:  global
        .offset:         56
        .size:           8
        .value_kind:     global_buffer
      - .offset:         64
        .size:           8
        .value_kind:     by_value
      - .offset:         72
        .size:           8
        .value_kind:     by_value
      - .offset:         80
        .size:           16
        .value_kind:     by_value
      - .address_space:  global
        .offset:         96
        .size:           8
        .value_kind:     global_buffer
      - .offset:         104
        .size:           8
        .value_kind:     by_value
      - .offset:         112
        .size:           8
        .value_kind:     by_value
      - .offset:         120
        .size:           4
        .value_kind:     by_value
    .group_segment_fixed_size: 8192
    .kernarg_segment_align: 8
    .kernarg_segment_size: 124
    .language:       OpenCL C
    .language_version:
      - 2
      - 0
    .max_flat_workgroup_size: 256
    .name:           _ZL29rocblas_internal_gemmt_kernelIlLi16ELi32ELi8ELc78ELc78ELc85ELb0ELb0E19rocblas_complex_numIdES1_PKS1_PS1_EviT_T9_T10_S5_lS7_S5_lS6_T11_S5_li
    .private_segment_fixed_size: 0
    .sgpr_count:     46
    .sgpr_spill_count: 0
    .symbol:         _ZL29rocblas_internal_gemmt_kernelIlLi16ELi32ELi8ELc78ELc78ELc85ELb0ELb0E19rocblas_complex_numIdES1_PKS1_PS1_EviT_T9_T10_S5_lS7_S5_lS6_T11_S5_li.kd
    .uniform_work_group_size: 1
    .uses_dynamic_stack: false
    .vgpr_count:     58
    .vgpr_spill_count: 0
    .wavefront_size: 32
    .workgroup_processor_mode: 1
  - .args:
      - .offset:         0
        .size:           4
        .value_kind:     by_value
      - .offset:         8
        .size:           8
        .value_kind:     by_value
      - .offset:         16
        .size:           16
        .value_kind:     by_value
      - .address_space:  global
        .offset:         32
        .size:           8
        .value_kind:     global_buffer
      - .offset:         40
        .size:           8
        .value_kind:     by_value
      - .offset:         48
        .size:           8
        .value_kind:     by_value
      - .address_space:  global
        .offset:         56
        .size:           8
        .value_kind:     global_buffer
      - .offset:         64
        .size:           8
        .value_kind:     by_value
      - .offset:         72
        .size:           8
        .value_kind:     by_value
      - .offset:         80
        .size:           16
        .value_kind:     by_value
      - .address_space:  global
        .offset:         96
        .size:           8
        .value_kind:     global_buffer
      - .offset:         104
        .size:           8
        .value_kind:     by_value
      - .offset:         112
        .size:           8
        .value_kind:     by_value
      - .offset:         120
        .size:           4
        .value_kind:     by_value
    .group_segment_fixed_size: 8192
    .kernarg_segment_align: 8
    .kernarg_segment_size: 124
    .language:       OpenCL C
    .language_version:
      - 2
      - 0
    .max_flat_workgroup_size: 256
    .name:           _ZL29rocblas_internal_gemmt_kernelIlLi16ELi32ELi8ELc78ELc84ELc85ELb0ELb0E19rocblas_complex_numIdES1_PKS1_PS1_EviT_T9_T10_S5_lS7_S5_lS6_T11_S5_li
    .private_segment_fixed_size: 0
    .sgpr_count:     46
    .sgpr_spill_count: 0
    .symbol:         _ZL29rocblas_internal_gemmt_kernelIlLi16ELi32ELi8ELc78ELc84ELc85ELb0ELb0E19rocblas_complex_numIdES1_PKS1_PS1_EviT_T9_T10_S5_lS7_S5_lS6_T11_S5_li.kd
    .uniform_work_group_size: 1
    .uses_dynamic_stack: false
    .vgpr_count:     58
    .vgpr_spill_count: 0
    .wavefront_size: 32
    .workgroup_processor_mode: 1
  - .args:
      - .offset:         0
        .size:           4
        .value_kind:     by_value
      - .offset:         8
        .size:           8
        .value_kind:     by_value
      - .offset:         16
        .size:           16
        .value_kind:     by_value
      - .address_space:  global
        .offset:         32
        .size:           8
        .value_kind:     global_buffer
      - .offset:         40
        .size:           8
        .value_kind:     by_value
      - .offset:         48
        .size:           8
        .value_kind:     by_value
      - .address_space:  global
        .offset:         56
        .size:           8
        .value_kind:     global_buffer
      - .offset:         64
        .size:           8
        .value_kind:     by_value
      - .offset:         72
        .size:           8
        .value_kind:     by_value
      - .offset:         80
        .size:           16
        .value_kind:     by_value
      - .address_space:  global
        .offset:         96
        .size:           8
        .value_kind:     global_buffer
      - .offset:         104
        .size:           8
        .value_kind:     by_value
      - .offset:         112
        .size:           8
        .value_kind:     by_value
      - .offset:         120
        .size:           4
        .value_kind:     by_value
    .group_segment_fixed_size: 8192
    .kernarg_segment_align: 8
    .kernarg_segment_size: 124
    .language:       OpenCL C
    .language_version:
      - 2
      - 0
    .max_flat_workgroup_size: 256
    .name:           _ZL29rocblas_internal_gemmt_kernelIlLi16ELi32ELi8ELc78ELc67ELc85ELb0ELb1E19rocblas_complex_numIdES1_PKS1_PS1_EviT_T9_T10_S5_lS7_S5_lS6_T11_S5_li
    .private_segment_fixed_size: 0
    .sgpr_count:     46
    .sgpr_spill_count: 0
    .symbol:         _ZL29rocblas_internal_gemmt_kernelIlLi16ELi32ELi8ELc78ELc67ELc85ELb0ELb1E19rocblas_complex_numIdES1_PKS1_PS1_EviT_T9_T10_S5_lS7_S5_lS6_T11_S5_li.kd
    .uniform_work_group_size: 1
    .uses_dynamic_stack: false
    .vgpr_count:     120
    .vgpr_spill_count: 0
    .wavefront_size: 32
    .workgroup_processor_mode: 1
  - .args:
      - .offset:         0
        .size:           4
        .value_kind:     by_value
      - .offset:         8
        .size:           8
        .value_kind:     by_value
      - .offset:         16
        .size:           16
        .value_kind:     by_value
      - .address_space:  global
        .offset:         32
        .size:           8
        .value_kind:     global_buffer
      - .offset:         40
        .size:           8
        .value_kind:     by_value
      - .offset:         48
        .size:           8
        .value_kind:     by_value
      - .address_space:  global
        .offset:         56
        .size:           8
        .value_kind:     global_buffer
      - .offset:         64
        .size:           8
        .value_kind:     by_value
      - .offset:         72
        .size:           8
        .value_kind:     by_value
      - .offset:         80
        .size:           16
        .value_kind:     by_value
      - .address_space:  global
        .offset:         96
        .size:           8
        .value_kind:     global_buffer
      - .offset:         104
        .size:           8
        .value_kind:     by_value
      - .offset:         112
        .size:           8
        .value_kind:     by_value
      - .offset:         120
        .size:           4
        .value_kind:     by_value
    .group_segment_fixed_size: 8192
    .kernarg_segment_align: 8
    .kernarg_segment_size: 124
    .language:       OpenCL C
    .language_version:
      - 2
      - 0
    .max_flat_workgroup_size: 256
    .name:           _ZL29rocblas_internal_gemmt_kernelIlLi16ELi32ELi8ELc84ELc78ELc85ELb0ELb0E19rocblas_complex_numIdES1_PKS1_PS1_EviT_T9_T10_S5_lS7_S5_lS6_T11_S5_li
    .private_segment_fixed_size: 0
    .sgpr_count:     46
    .sgpr_spill_count: 0
    .symbol:         _ZL29rocblas_internal_gemmt_kernelIlLi16ELi32ELi8ELc84ELc78ELc85ELb0ELb0E19rocblas_complex_numIdES1_PKS1_PS1_EviT_T9_T10_S5_lS7_S5_lS6_T11_S5_li.kd
    .uniform_work_group_size: 1
    .uses_dynamic_stack: false
    .vgpr_count:     58
    .vgpr_spill_count: 0
    .wavefront_size: 32
    .workgroup_processor_mode: 1
  - .args:
      - .offset:         0
        .size:           4
        .value_kind:     by_value
      - .offset:         8
        .size:           8
        .value_kind:     by_value
      - .offset:         16
        .size:           16
        .value_kind:     by_value
      - .address_space:  global
        .offset:         32
        .size:           8
        .value_kind:     global_buffer
      - .offset:         40
        .size:           8
        .value_kind:     by_value
      - .offset:         48
        .size:           8
        .value_kind:     by_value
      - .address_space:  global
        .offset:         56
        .size:           8
        .value_kind:     global_buffer
      - .offset:         64
        .size:           8
        .value_kind:     by_value
      - .offset:         72
        .size:           8
        .value_kind:     by_value
      - .offset:         80
        .size:           16
        .value_kind:     by_value
      - .address_space:  global
        .offset:         96
        .size:           8
        .value_kind:     global_buffer
      - .offset:         104
        .size:           8
        .value_kind:     by_value
      - .offset:         112
        .size:           8
        .value_kind:     by_value
      - .offset:         120
        .size:           4
        .value_kind:     by_value
    .group_segment_fixed_size: 8192
    .kernarg_segment_align: 8
    .kernarg_segment_size: 124
    .language:       OpenCL C
    .language_version:
      - 2
      - 0
    .max_flat_workgroup_size: 256
    .name:           _ZL29rocblas_internal_gemmt_kernelIlLi16ELi32ELi8ELc84ELc84ELc85ELb0ELb0E19rocblas_complex_numIdES1_PKS1_PS1_EviT_T9_T10_S5_lS7_S5_lS6_T11_S5_li
    .private_segment_fixed_size: 0
    .sgpr_count:     46
    .sgpr_spill_count: 0
    .symbol:         _ZL29rocblas_internal_gemmt_kernelIlLi16ELi32ELi8ELc84ELc84ELc85ELb0ELb0E19rocblas_complex_numIdES1_PKS1_PS1_EviT_T9_T10_S5_lS7_S5_lS6_T11_S5_li.kd
    .uniform_work_group_size: 1
    .uses_dynamic_stack: false
    .vgpr_count:     58
    .vgpr_spill_count: 0
    .wavefront_size: 32
    .workgroup_processor_mode: 1
  - .args:
      - .offset:         0
        .size:           4
        .value_kind:     by_value
      - .offset:         8
        .size:           8
        .value_kind:     by_value
      - .offset:         16
        .size:           16
        .value_kind:     by_value
      - .address_space:  global
        .offset:         32
        .size:           8
        .value_kind:     global_buffer
      - .offset:         40
        .size:           8
        .value_kind:     by_value
      - .offset:         48
        .size:           8
        .value_kind:     by_value
      - .address_space:  global
        .offset:         56
        .size:           8
        .value_kind:     global_buffer
      - .offset:         64
        .size:           8
        .value_kind:     by_value
      - .offset:         72
        .size:           8
        .value_kind:     by_value
      - .offset:         80
        .size:           16
        .value_kind:     by_value
      - .address_space:  global
        .offset:         96
        .size:           8
        .value_kind:     global_buffer
      - .offset:         104
        .size:           8
        .value_kind:     by_value
      - .offset:         112
        .size:           8
        .value_kind:     by_value
      - .offset:         120
        .size:           4
        .value_kind:     by_value
    .group_segment_fixed_size: 8192
    .kernarg_segment_align: 8
    .kernarg_segment_size: 124
    .language:       OpenCL C
    .language_version:
      - 2
      - 0
    .max_flat_workgroup_size: 256
    .name:           _ZL29rocblas_internal_gemmt_kernelIlLi16ELi32ELi8ELc84ELc67ELc85ELb0ELb1E19rocblas_complex_numIdES1_PKS1_PS1_EviT_T9_T10_S5_lS7_S5_lS6_T11_S5_li
    .private_segment_fixed_size: 0
    .sgpr_count:     46
    .sgpr_spill_count: 0
    .symbol:         _ZL29rocblas_internal_gemmt_kernelIlLi16ELi32ELi8ELc84ELc67ELc85ELb0ELb1E19rocblas_complex_numIdES1_PKS1_PS1_EviT_T9_T10_S5_lS7_S5_lS6_T11_S5_li.kd
    .uniform_work_group_size: 1
    .uses_dynamic_stack: false
    .vgpr_count:     120
    .vgpr_spill_count: 0
    .wavefront_size: 32
    .workgroup_processor_mode: 1
  - .args:
      - .offset:         0
        .size:           4
        .value_kind:     by_value
      - .offset:         8
        .size:           8
        .value_kind:     by_value
      - .offset:         16
        .size:           16
        .value_kind:     by_value
      - .address_space:  global
        .offset:         32
        .size:           8
        .value_kind:     global_buffer
      - .offset:         40
        .size:           8
        .value_kind:     by_value
      - .offset:         48
        .size:           8
        .value_kind:     by_value
      - .address_space:  global
        .offset:         56
        .size:           8
        .value_kind:     global_buffer
      - .offset:         64
        .size:           8
        .value_kind:     by_value
      - .offset:         72
        .size:           8
        .value_kind:     by_value
      - .offset:         80
        .size:           16
        .value_kind:     by_value
      - .address_space:  global
        .offset:         96
        .size:           8
        .value_kind:     global_buffer
      - .offset:         104
        .size:           8
        .value_kind:     by_value
      - .offset:         112
        .size:           8
        .value_kind:     by_value
      - .offset:         120
        .size:           4
        .value_kind:     by_value
    .group_segment_fixed_size: 8192
    .kernarg_segment_align: 8
    .kernarg_segment_size: 124
    .language:       OpenCL C
    .language_version:
      - 2
      - 0
    .max_flat_workgroup_size: 256
    .name:           _ZL29rocblas_internal_gemmt_kernelIlLi16ELi32ELi8ELc67ELc78ELc85ELb1ELb0E19rocblas_complex_numIdES1_PKS1_PS1_EviT_T9_T10_S5_lS7_S5_lS6_T11_S5_li
    .private_segment_fixed_size: 0
    .sgpr_count:     46
    .sgpr_spill_count: 0
    .symbol:         _ZL29rocblas_internal_gemmt_kernelIlLi16ELi32ELi8ELc67ELc78ELc85ELb1ELb0E19rocblas_complex_numIdES1_PKS1_PS1_EviT_T9_T10_S5_lS7_S5_lS6_T11_S5_li.kd
    .uniform_work_group_size: 1
    .uses_dynamic_stack: false
    .vgpr_count:     126
    .vgpr_spill_count: 0
    .wavefront_size: 32
    .workgroup_processor_mode: 1
  - .args:
      - .offset:         0
        .size:           4
        .value_kind:     by_value
      - .offset:         8
        .size:           8
        .value_kind:     by_value
      - .offset:         16
        .size:           16
        .value_kind:     by_value
      - .address_space:  global
        .offset:         32
        .size:           8
        .value_kind:     global_buffer
      - .offset:         40
        .size:           8
        .value_kind:     by_value
      - .offset:         48
        .size:           8
        .value_kind:     by_value
      - .address_space:  global
        .offset:         56
        .size:           8
        .value_kind:     global_buffer
      - .offset:         64
        .size:           8
        .value_kind:     by_value
      - .offset:         72
        .size:           8
        .value_kind:     by_value
      - .offset:         80
        .size:           16
        .value_kind:     by_value
      - .address_space:  global
        .offset:         96
        .size:           8
        .value_kind:     global_buffer
      - .offset:         104
        .size:           8
        .value_kind:     by_value
      - .offset:         112
        .size:           8
        .value_kind:     by_value
      - .offset:         120
        .size:           4
        .value_kind:     by_value
    .group_segment_fixed_size: 8192
    .kernarg_segment_align: 8
    .kernarg_segment_size: 124
    .language:       OpenCL C
    .language_version:
      - 2
      - 0
    .max_flat_workgroup_size: 256
    .name:           _ZL29rocblas_internal_gemmt_kernelIlLi16ELi32ELi8ELc67ELc84ELc85ELb1ELb0E19rocblas_complex_numIdES1_PKS1_PS1_EviT_T9_T10_S5_lS7_S5_lS6_T11_S5_li
    .private_segment_fixed_size: 0
    .sgpr_count:     46
    .sgpr_spill_count: 0
    .symbol:         _ZL29rocblas_internal_gemmt_kernelIlLi16ELi32ELi8ELc67ELc84ELc85ELb1ELb0E19rocblas_complex_numIdES1_PKS1_PS1_EviT_T9_T10_S5_lS7_S5_lS6_T11_S5_li.kd
    .uniform_work_group_size: 1
    .uses_dynamic_stack: false
    .vgpr_count:     126
    .vgpr_spill_count: 0
    .wavefront_size: 32
    .workgroup_processor_mode: 1
  - .args:
      - .offset:         0
        .size:           4
        .value_kind:     by_value
      - .offset:         8
        .size:           8
        .value_kind:     by_value
      - .offset:         16
        .size:           16
        .value_kind:     by_value
      - .address_space:  global
        .offset:         32
        .size:           8
        .value_kind:     global_buffer
      - .offset:         40
        .size:           8
        .value_kind:     by_value
      - .offset:         48
        .size:           8
        .value_kind:     by_value
      - .address_space:  global
        .offset:         56
        .size:           8
        .value_kind:     global_buffer
      - .offset:         64
        .size:           8
        .value_kind:     by_value
      - .offset:         72
        .size:           8
        .value_kind:     by_value
      - .offset:         80
        .size:           16
        .value_kind:     by_value
      - .address_space:  global
        .offset:         96
        .size:           8
        .value_kind:     global_buffer
      - .offset:         104
        .size:           8
        .value_kind:     by_value
      - .offset:         112
        .size:           8
        .value_kind:     by_value
      - .offset:         120
        .size:           4
        .value_kind:     by_value
    .group_segment_fixed_size: 8192
    .kernarg_segment_align: 8
    .kernarg_segment_size: 124
    .language:       OpenCL C
    .language_version:
      - 2
      - 0
    .max_flat_workgroup_size: 256
    .name:           _ZL29rocblas_internal_gemmt_kernelIlLi16ELi32ELi8ELc67ELc67ELc85ELb1ELb1E19rocblas_complex_numIdES1_PKS1_PS1_EviT_T9_T10_S5_lS7_S5_lS6_T11_S5_li
    .private_segment_fixed_size: 0
    .sgpr_count:     46
    .sgpr_spill_count: 0
    .symbol:         _ZL29rocblas_internal_gemmt_kernelIlLi16ELi32ELi8ELc67ELc67ELc85ELb1ELb1E19rocblas_complex_numIdES1_PKS1_PS1_EviT_T9_T10_S5_lS7_S5_lS6_T11_S5_li.kd
    .uniform_work_group_size: 1
    .uses_dynamic_stack: false
    .vgpr_count:     118
    .vgpr_spill_count: 0
    .wavefront_size: 32
    .workgroup_processor_mode: 1
  - .args:
      - .offset:         0
        .size:           4
        .value_kind:     by_value
      - .offset:         8
        .size:           8
        .value_kind:     by_value
      - .offset:         16
        .size:           16
        .value_kind:     by_value
      - .address_space:  global
        .offset:         32
        .size:           8
        .value_kind:     global_buffer
      - .offset:         40
        .size:           8
        .value_kind:     by_value
      - .offset:         48
        .size:           8
        .value_kind:     by_value
      - .address_space:  global
        .offset:         56
        .size:           8
        .value_kind:     global_buffer
      - .offset:         64
        .size:           8
        .value_kind:     by_value
      - .offset:         72
        .size:           8
        .value_kind:     by_value
      - .offset:         80
        .size:           16
        .value_kind:     by_value
      - .address_space:  global
        .offset:         96
        .size:           8
        .value_kind:     global_buffer
      - .offset:         104
        .size:           8
        .value_kind:     by_value
      - .offset:         112
        .size:           8
        .value_kind:     by_value
      - .offset:         120
        .size:           4
        .value_kind:     by_value
    .group_segment_fixed_size: 8192
    .kernarg_segment_align: 8
    .kernarg_segment_size: 124
    .language:       OpenCL C
    .language_version:
      - 2
      - 0
    .max_flat_workgroup_size: 256
    .name:           _ZL29rocblas_internal_gemmt_kernelIlLi16ELi32ELi8ELc78ELc78ELc76ELb0ELb0E19rocblas_complex_numIdES1_PKS1_PS1_EviT_T9_T10_S5_lS7_S5_lS6_T11_S5_li
    .private_segment_fixed_size: 0
    .sgpr_count:     46
    .sgpr_spill_count: 0
    .symbol:         _ZL29rocblas_internal_gemmt_kernelIlLi16ELi32ELi8ELc78ELc78ELc76ELb0ELb0E19rocblas_complex_numIdES1_PKS1_PS1_EviT_T9_T10_S5_lS7_S5_lS6_T11_S5_li.kd
    .uniform_work_group_size: 1
    .uses_dynamic_stack: false
    .vgpr_count:     58
    .vgpr_spill_count: 0
    .wavefront_size: 32
    .workgroup_processor_mode: 1
  - .args:
      - .offset:         0
        .size:           4
        .value_kind:     by_value
      - .offset:         8
        .size:           8
        .value_kind:     by_value
      - .offset:         16
        .size:           16
        .value_kind:     by_value
      - .address_space:  global
        .offset:         32
        .size:           8
        .value_kind:     global_buffer
      - .offset:         40
        .size:           8
        .value_kind:     by_value
      - .offset:         48
        .size:           8
        .value_kind:     by_value
      - .address_space:  global
        .offset:         56
        .size:           8
        .value_kind:     global_buffer
      - .offset:         64
        .size:           8
        .value_kind:     by_value
      - .offset:         72
        .size:           8
        .value_kind:     by_value
      - .offset:         80
        .size:           16
        .value_kind:     by_value
      - .address_space:  global
        .offset:         96
        .size:           8
        .value_kind:     global_buffer
      - .offset:         104
        .size:           8
        .value_kind:     by_value
      - .offset:         112
        .size:           8
        .value_kind:     by_value
      - .offset:         120
        .size:           4
        .value_kind:     by_value
    .group_segment_fixed_size: 8192
    .kernarg_segment_align: 8
    .kernarg_segment_size: 124
    .language:       OpenCL C
    .language_version:
      - 2
      - 0
    .max_flat_workgroup_size: 256
    .name:           _ZL29rocblas_internal_gemmt_kernelIlLi16ELi32ELi8ELc78ELc84ELc76ELb0ELb0E19rocblas_complex_numIdES1_PKS1_PS1_EviT_T9_T10_S5_lS7_S5_lS6_T11_S5_li
    .private_segment_fixed_size: 0
    .sgpr_count:     46
    .sgpr_spill_count: 0
    .symbol:         _ZL29rocblas_internal_gemmt_kernelIlLi16ELi32ELi8ELc78ELc84ELc76ELb0ELb0E19rocblas_complex_numIdES1_PKS1_PS1_EviT_T9_T10_S5_lS7_S5_lS6_T11_S5_li.kd
    .uniform_work_group_size: 1
    .uses_dynamic_stack: false
    .vgpr_count:     58
    .vgpr_spill_count: 0
    .wavefront_size: 32
    .workgroup_processor_mode: 1
  - .args:
      - .offset:         0
        .size:           4
        .value_kind:     by_value
      - .offset:         8
        .size:           8
        .value_kind:     by_value
      - .offset:         16
        .size:           16
        .value_kind:     by_value
      - .address_space:  global
        .offset:         32
        .size:           8
        .value_kind:     global_buffer
      - .offset:         40
        .size:           8
        .value_kind:     by_value
      - .offset:         48
        .size:           8
        .value_kind:     by_value
      - .address_space:  global
        .offset:         56
        .size:           8
        .value_kind:     global_buffer
      - .offset:         64
        .size:           8
        .value_kind:     by_value
      - .offset:         72
        .size:           8
        .value_kind:     by_value
      - .offset:         80
        .size:           16
        .value_kind:     by_value
      - .address_space:  global
        .offset:         96
        .size:           8
        .value_kind:     global_buffer
      - .offset:         104
        .size:           8
        .value_kind:     by_value
      - .offset:         112
        .size:           8
        .value_kind:     by_value
      - .offset:         120
        .size:           4
        .value_kind:     by_value
    .group_segment_fixed_size: 8192
    .kernarg_segment_align: 8
    .kernarg_segment_size: 124
    .language:       OpenCL C
    .language_version:
      - 2
      - 0
    .max_flat_workgroup_size: 256
    .name:           _ZL29rocblas_internal_gemmt_kernelIlLi16ELi32ELi8ELc78ELc67ELc76ELb0ELb1E19rocblas_complex_numIdES1_PKS1_PS1_EviT_T9_T10_S5_lS7_S5_lS6_T11_S5_li
    .private_segment_fixed_size: 0
    .sgpr_count:     46
    .sgpr_spill_count: 0
    .symbol:         _ZL29rocblas_internal_gemmt_kernelIlLi16ELi32ELi8ELc78ELc67ELc76ELb0ELb1E19rocblas_complex_numIdES1_PKS1_PS1_EviT_T9_T10_S5_lS7_S5_lS6_T11_S5_li.kd
    .uniform_work_group_size: 1
    .uses_dynamic_stack: false
    .vgpr_count:     120
    .vgpr_spill_count: 0
    .wavefront_size: 32
    .workgroup_processor_mode: 1
  - .args:
      - .offset:         0
        .size:           4
        .value_kind:     by_value
      - .offset:         8
        .size:           8
        .value_kind:     by_value
      - .offset:         16
        .size:           16
        .value_kind:     by_value
      - .address_space:  global
        .offset:         32
        .size:           8
        .value_kind:     global_buffer
      - .offset:         40
        .size:           8
        .value_kind:     by_value
      - .offset:         48
        .size:           8
        .value_kind:     by_value
      - .address_space:  global
        .offset:         56
        .size:           8
        .value_kind:     global_buffer
      - .offset:         64
        .size:           8
        .value_kind:     by_value
      - .offset:         72
        .size:           8
        .value_kind:     by_value
      - .offset:         80
        .size:           16
        .value_kind:     by_value
      - .address_space:  global
        .offset:         96
        .size:           8
        .value_kind:     global_buffer
      - .offset:         104
        .size:           8
        .value_kind:     by_value
      - .offset:         112
        .size:           8
        .value_kind:     by_value
      - .offset:         120
        .size:           4
        .value_kind:     by_value
    .group_segment_fixed_size: 8192
    .kernarg_segment_align: 8
    .kernarg_segment_size: 124
    .language:       OpenCL C
    .language_version:
      - 2
      - 0
    .max_flat_workgroup_size: 256
    .name:           _ZL29rocblas_internal_gemmt_kernelIlLi16ELi32ELi8ELc84ELc78ELc76ELb0ELb0E19rocblas_complex_numIdES1_PKS1_PS1_EviT_T9_T10_S5_lS7_S5_lS6_T11_S5_li
    .private_segment_fixed_size: 0
    .sgpr_count:     46
    .sgpr_spill_count: 0
    .symbol:         _ZL29rocblas_internal_gemmt_kernelIlLi16ELi32ELi8ELc84ELc78ELc76ELb0ELb0E19rocblas_complex_numIdES1_PKS1_PS1_EviT_T9_T10_S5_lS7_S5_lS6_T11_S5_li.kd
    .uniform_work_group_size: 1
    .uses_dynamic_stack: false
    .vgpr_count:     58
    .vgpr_spill_count: 0
    .wavefront_size: 32
    .workgroup_processor_mode: 1
  - .args:
      - .offset:         0
        .size:           4
        .value_kind:     by_value
      - .offset:         8
        .size:           8
        .value_kind:     by_value
      - .offset:         16
        .size:           16
        .value_kind:     by_value
      - .address_space:  global
        .offset:         32
        .size:           8
        .value_kind:     global_buffer
      - .offset:         40
        .size:           8
        .value_kind:     by_value
      - .offset:         48
        .size:           8
        .value_kind:     by_value
      - .address_space:  global
        .offset:         56
        .size:           8
        .value_kind:     global_buffer
      - .offset:         64
        .size:           8
        .value_kind:     by_value
      - .offset:         72
        .size:           8
        .value_kind:     by_value
      - .offset:         80
        .size:           16
        .value_kind:     by_value
      - .address_space:  global
        .offset:         96
        .size:           8
        .value_kind:     global_buffer
      - .offset:         104
        .size:           8
        .value_kind:     by_value
      - .offset:         112
        .size:           8
        .value_kind:     by_value
      - .offset:         120
        .size:           4
        .value_kind:     by_value
    .group_segment_fixed_size: 8192
    .kernarg_segment_align: 8
    .kernarg_segment_size: 124
    .language:       OpenCL C
    .language_version:
      - 2
      - 0
    .max_flat_workgroup_size: 256
    .name:           _ZL29rocblas_internal_gemmt_kernelIlLi16ELi32ELi8ELc84ELc84ELc76ELb0ELb0E19rocblas_complex_numIdES1_PKS1_PS1_EviT_T9_T10_S5_lS7_S5_lS6_T11_S5_li
    .private_segment_fixed_size: 0
    .sgpr_count:     46
    .sgpr_spill_count: 0
    .symbol:         _ZL29rocblas_internal_gemmt_kernelIlLi16ELi32ELi8ELc84ELc84ELc76ELb0ELb0E19rocblas_complex_numIdES1_PKS1_PS1_EviT_T9_T10_S5_lS7_S5_lS6_T11_S5_li.kd
    .uniform_work_group_size: 1
    .uses_dynamic_stack: false
    .vgpr_count:     58
    .vgpr_spill_count: 0
    .wavefront_size: 32
    .workgroup_processor_mode: 1
  - .args:
      - .offset:         0
        .size:           4
        .value_kind:     by_value
      - .offset:         8
        .size:           8
        .value_kind:     by_value
      - .offset:         16
        .size:           16
        .value_kind:     by_value
      - .address_space:  global
        .offset:         32
        .size:           8
        .value_kind:     global_buffer
      - .offset:         40
        .size:           8
        .value_kind:     by_value
      - .offset:         48
        .size:           8
        .value_kind:     by_value
      - .address_space:  global
        .offset:         56
        .size:           8
        .value_kind:     global_buffer
      - .offset:         64
        .size:           8
        .value_kind:     by_value
      - .offset:         72
        .size:           8
        .value_kind:     by_value
      - .offset:         80
        .size:           16
        .value_kind:     by_value
      - .address_space:  global
        .offset:         96
        .size:           8
        .value_kind:     global_buffer
      - .offset:         104
        .size:           8
        .value_kind:     by_value
      - .offset:         112
        .size:           8
        .value_kind:     by_value
      - .offset:         120
        .size:           4
        .value_kind:     by_value
    .group_segment_fixed_size: 8192
    .kernarg_segment_align: 8
    .kernarg_segment_size: 124
    .language:       OpenCL C
    .language_version:
      - 2
      - 0
    .max_flat_workgroup_size: 256
    .name:           _ZL29rocblas_internal_gemmt_kernelIlLi16ELi32ELi8ELc84ELc67ELc76ELb0ELb1E19rocblas_complex_numIdES1_PKS1_PS1_EviT_T9_T10_S5_lS7_S5_lS6_T11_S5_li
    .private_segment_fixed_size: 0
    .sgpr_count:     46
    .sgpr_spill_count: 0
    .symbol:         _ZL29rocblas_internal_gemmt_kernelIlLi16ELi32ELi8ELc84ELc67ELc76ELb0ELb1E19rocblas_complex_numIdES1_PKS1_PS1_EviT_T9_T10_S5_lS7_S5_lS6_T11_S5_li.kd
    .uniform_work_group_size: 1
    .uses_dynamic_stack: false
    .vgpr_count:     120
    .vgpr_spill_count: 0
    .wavefront_size: 32
    .workgroup_processor_mode: 1
  - .args:
      - .offset:         0
        .size:           4
        .value_kind:     by_value
      - .offset:         8
        .size:           8
        .value_kind:     by_value
      - .offset:         16
        .size:           16
        .value_kind:     by_value
      - .address_space:  global
        .offset:         32
        .size:           8
        .value_kind:     global_buffer
      - .offset:         40
        .size:           8
        .value_kind:     by_value
      - .offset:         48
        .size:           8
        .value_kind:     by_value
      - .address_space:  global
        .offset:         56
        .size:           8
        .value_kind:     global_buffer
      - .offset:         64
        .size:           8
        .value_kind:     by_value
      - .offset:         72
        .size:           8
        .value_kind:     by_value
      - .offset:         80
        .size:           16
        .value_kind:     by_value
      - .address_space:  global
        .offset:         96
        .size:           8
        .value_kind:     global_buffer
      - .offset:         104
        .size:           8
        .value_kind:     by_value
      - .offset:         112
        .size:           8
        .value_kind:     by_value
      - .offset:         120
        .size:           4
        .value_kind:     by_value
    .group_segment_fixed_size: 8192
    .kernarg_segment_align: 8
    .kernarg_segment_size: 124
    .language:       OpenCL C
    .language_version:
      - 2
      - 0
    .max_flat_workgroup_size: 256
    .name:           _ZL29rocblas_internal_gemmt_kernelIlLi16ELi32ELi8ELc67ELc78ELc76ELb1ELb0E19rocblas_complex_numIdES1_PKS1_PS1_EviT_T9_T10_S5_lS7_S5_lS6_T11_S5_li
    .private_segment_fixed_size: 0
    .sgpr_count:     46
    .sgpr_spill_count: 0
    .symbol:         _ZL29rocblas_internal_gemmt_kernelIlLi16ELi32ELi8ELc67ELc78ELc76ELb1ELb0E19rocblas_complex_numIdES1_PKS1_PS1_EviT_T9_T10_S5_lS7_S5_lS6_T11_S5_li.kd
    .uniform_work_group_size: 1
    .uses_dynamic_stack: false
    .vgpr_count:     126
    .vgpr_spill_count: 0
    .wavefront_size: 32
    .workgroup_processor_mode: 1
  - .args:
      - .offset:         0
        .size:           4
        .value_kind:     by_value
      - .offset:         8
        .size:           8
        .value_kind:     by_value
      - .offset:         16
        .size:           16
        .value_kind:     by_value
      - .address_space:  global
        .offset:         32
        .size:           8
        .value_kind:     global_buffer
      - .offset:         40
        .size:           8
        .value_kind:     by_value
      - .offset:         48
        .size:           8
        .value_kind:     by_value
      - .address_space:  global
        .offset:         56
        .size:           8
        .value_kind:     global_buffer
      - .offset:         64
        .size:           8
        .value_kind:     by_value
      - .offset:         72
        .size:           8
        .value_kind:     by_value
      - .offset:         80
        .size:           16
        .value_kind:     by_value
      - .address_space:  global
        .offset:         96
        .size:           8
        .value_kind:     global_buffer
      - .offset:         104
        .size:           8
        .value_kind:     by_value
      - .offset:         112
        .size:           8
        .value_kind:     by_value
      - .offset:         120
        .size:           4
        .value_kind:     by_value
    .group_segment_fixed_size: 8192
    .kernarg_segment_align: 8
    .kernarg_segment_size: 124
    .language:       OpenCL C
    .language_version:
      - 2
      - 0
    .max_flat_workgroup_size: 256
    .name:           _ZL29rocblas_internal_gemmt_kernelIlLi16ELi32ELi8ELc67ELc84ELc76ELb1ELb0E19rocblas_complex_numIdES1_PKS1_PS1_EviT_T9_T10_S5_lS7_S5_lS6_T11_S5_li
    .private_segment_fixed_size: 0
    .sgpr_count:     46
    .sgpr_spill_count: 0
    .symbol:         _ZL29rocblas_internal_gemmt_kernelIlLi16ELi32ELi8ELc67ELc84ELc76ELb1ELb0E19rocblas_complex_numIdES1_PKS1_PS1_EviT_T9_T10_S5_lS7_S5_lS6_T11_S5_li.kd
    .uniform_work_group_size: 1
    .uses_dynamic_stack: false
    .vgpr_count:     126
    .vgpr_spill_count: 0
    .wavefront_size: 32
    .workgroup_processor_mode: 1
  - .args:
      - .offset:         0
        .size:           4
        .value_kind:     by_value
      - .offset:         8
        .size:           8
        .value_kind:     by_value
      - .offset:         16
        .size:           16
        .value_kind:     by_value
      - .address_space:  global
        .offset:         32
        .size:           8
        .value_kind:     global_buffer
      - .offset:         40
        .size:           8
        .value_kind:     by_value
      - .offset:         48
        .size:           8
        .value_kind:     by_value
      - .address_space:  global
        .offset:         56
        .size:           8
        .value_kind:     global_buffer
      - .offset:         64
        .size:           8
        .value_kind:     by_value
      - .offset:         72
        .size:           8
        .value_kind:     by_value
      - .offset:         80
        .size:           16
        .value_kind:     by_value
      - .address_space:  global
        .offset:         96
        .size:           8
        .value_kind:     global_buffer
      - .offset:         104
        .size:           8
        .value_kind:     by_value
      - .offset:         112
        .size:           8
        .value_kind:     by_value
      - .offset:         120
        .size:           4
        .value_kind:     by_value
    .group_segment_fixed_size: 8192
    .kernarg_segment_align: 8
    .kernarg_segment_size: 124
    .language:       OpenCL C
    .language_version:
      - 2
      - 0
    .max_flat_workgroup_size: 256
    .name:           _ZL29rocblas_internal_gemmt_kernelIlLi16ELi32ELi8ELc67ELc67ELc76ELb1ELb1E19rocblas_complex_numIdES1_PKS1_PS1_EviT_T9_T10_S5_lS7_S5_lS6_T11_S5_li
    .private_segment_fixed_size: 0
    .sgpr_count:     46
    .sgpr_spill_count: 0
    .symbol:         _ZL29rocblas_internal_gemmt_kernelIlLi16ELi32ELi8ELc67ELc67ELc76ELb1ELb1E19rocblas_complex_numIdES1_PKS1_PS1_EviT_T9_T10_S5_lS7_S5_lS6_T11_S5_li.kd
    .uniform_work_group_size: 1
    .uses_dynamic_stack: false
    .vgpr_count:     118
    .vgpr_spill_count: 0
    .wavefront_size: 32
    .workgroup_processor_mode: 1
  - .args:
      - .offset:         0
        .size:           4
        .value_kind:     by_value
      - .offset:         4
        .size:           4
        .value_kind:     by_value
      - .address_space:  global
        .offset:         8
        .size:           8
        .value_kind:     global_buffer
      - .address_space:  global
        .offset:         16
        .size:           8
        .value_kind:     global_buffer
      - .offset:         24
        .size:           4
        .value_kind:     by_value
      - .offset:         32
        .size:           8
        .value_kind:     by_value
      - .address_space:  global
        .offset:         40
        .size:           8
        .value_kind:     global_buffer
      - .offset:         48
        .size:           4
        .value_kind:     by_value
      - .offset:         56
        .size:           8
        .value_kind:     by_value
      - .address_space:  global
        .offset:         64
        .size:           8
        .value_kind:     global_buffer
      - .address_space:  global
        .offset:         72
        .size:           8
        .value_kind:     global_buffer
      - .offset:         80
        .size:           4
        .value_kind:     by_value
      - .offset:         88
        .size:           8
        .value_kind:     by_value
      - .offset:         96
        .size:           4
        .value_kind:     by_value
    .group_segment_fixed_size: 2048
    .kernarg_segment_align: 8
    .kernarg_segment_size: 100
    .language:       OpenCL C
    .language_version:
      - 2
      - 0
    .max_flat_workgroup_size: 256
    .name:           _ZL29rocblas_internal_gemmt_kernelIiLi16ELi32ELi8ELc78ELc78ELc85ELb0ELb0EfPKfPKS1_PKPfEviT_T9_T10_S7_lS9_S7_lS8_T11_S7_li
    .private_segment_fixed_size: 0
    .sgpr_count:     27
    .sgpr_spill_count: 0
    .symbol:         _ZL29rocblas_internal_gemmt_kernelIiLi16ELi32ELi8ELc78ELc78ELc85ELb0ELb0EfPKfPKS1_PKPfEviT_T9_T10_S7_lS9_S7_lS8_T11_S7_li.kd
    .uniform_work_group_size: 1
    .uses_dynamic_stack: false
    .vgpr_count:     42
    .vgpr_spill_count: 0
    .wavefront_size: 32
    .workgroup_processor_mode: 1
  - .args:
      - .offset:         0
        .size:           4
        .value_kind:     by_value
      - .offset:         4
        .size:           4
        .value_kind:     by_value
      - .address_space:  global
        .offset:         8
        .size:           8
        .value_kind:     global_buffer
      - .address_space:  global
        .offset:         16
        .size:           8
        .value_kind:     global_buffer
      - .offset:         24
        .size:           4
        .value_kind:     by_value
      - .offset:         32
        .size:           8
        .value_kind:     by_value
      - .address_space:  global
        .offset:         40
        .size:           8
        .value_kind:     global_buffer
      - .offset:         48
        .size:           4
        .value_kind:     by_value
      - .offset:         56
        .size:           8
        .value_kind:     by_value
      - .address_space:  global
        .offset:         64
        .size:           8
        .value_kind:     global_buffer
      - .address_space:  global
        .offset:         72
        .size:           8
        .value_kind:     global_buffer
      - .offset:         80
        .size:           4
        .value_kind:     by_value
      - .offset:         88
        .size:           8
        .value_kind:     by_value
      - .offset:         96
        .size:           4
        .value_kind:     by_value
    .group_segment_fixed_size: 2048
    .kernarg_segment_align: 8
    .kernarg_segment_size: 100
    .language:       OpenCL C
    .language_version:
      - 2
      - 0
    .max_flat_workgroup_size: 256
    .name:           _ZL29rocblas_internal_gemmt_kernelIiLi16ELi32ELi8ELc78ELc84ELc85ELb0ELb0EfPKfPKS1_PKPfEviT_T9_T10_S7_lS9_S7_lS8_T11_S7_li
    .private_segment_fixed_size: 0
    .sgpr_count:     29
    .sgpr_spill_count: 0
    .symbol:         _ZL29rocblas_internal_gemmt_kernelIiLi16ELi32ELi8ELc78ELc84ELc85ELb0ELb0EfPKfPKS1_PKPfEviT_T9_T10_S7_lS9_S7_lS8_T11_S7_li.kd
    .uniform_work_group_size: 1
    .uses_dynamic_stack: false
    .vgpr_count:     42
    .vgpr_spill_count: 0
    .wavefront_size: 32
    .workgroup_processor_mode: 1
  - .args:
      - .offset:         0
        .size:           4
        .value_kind:     by_value
      - .offset:         4
        .size:           4
        .value_kind:     by_value
      - .address_space:  global
        .offset:         8
        .size:           8
        .value_kind:     global_buffer
      - .address_space:  global
        .offset:         16
        .size:           8
        .value_kind:     global_buffer
      - .offset:         24
        .size:           4
        .value_kind:     by_value
      - .offset:         32
        .size:           8
        .value_kind:     by_value
      - .address_space:  global
        .offset:         40
        .size:           8
        .value_kind:     global_buffer
      - .offset:         48
        .size:           4
        .value_kind:     by_value
      - .offset:         56
        .size:           8
        .value_kind:     by_value
      - .address_space:  global
        .offset:         64
        .size:           8
        .value_kind:     global_buffer
      - .address_space:  global
        .offset:         72
        .size:           8
        .value_kind:     global_buffer
      - .offset:         80
        .size:           4
        .value_kind:     by_value
      - .offset:         88
        .size:           8
        .value_kind:     by_value
      - .offset:         96
        .size:           4
        .value_kind:     by_value
    .group_segment_fixed_size: 2048
    .kernarg_segment_align: 8
    .kernarg_segment_size: 100
    .language:       OpenCL C
    .language_version:
      - 2
      - 0
    .max_flat_workgroup_size: 256
    .name:           _ZL29rocblas_internal_gemmt_kernelIiLi16ELi32ELi8ELc78ELc67ELc85ELb0ELb0EfPKfPKS1_PKPfEviT_T9_T10_S7_lS9_S7_lS8_T11_S7_li
    .private_segment_fixed_size: 0
    .sgpr_count:     29
    .sgpr_spill_count: 0
    .symbol:         _ZL29rocblas_internal_gemmt_kernelIiLi16ELi32ELi8ELc78ELc67ELc85ELb0ELb0EfPKfPKS1_PKPfEviT_T9_T10_S7_lS9_S7_lS8_T11_S7_li.kd
    .uniform_work_group_size: 1
    .uses_dynamic_stack: false
    .vgpr_count:     42
    .vgpr_spill_count: 0
    .wavefront_size: 32
    .workgroup_processor_mode: 1
  - .args:
      - .offset:         0
        .size:           4
        .value_kind:     by_value
      - .offset:         4
        .size:           4
        .value_kind:     by_value
      - .address_space:  global
        .offset:         8
        .size:           8
        .value_kind:     global_buffer
      - .address_space:  global
        .offset:         16
        .size:           8
        .value_kind:     global_buffer
      - .offset:         24
        .size:           4
        .value_kind:     by_value
      - .offset:         32
        .size:           8
        .value_kind:     by_value
      - .address_space:  global
        .offset:         40
        .size:           8
        .value_kind:     global_buffer
      - .offset:         48
        .size:           4
        .value_kind:     by_value
      - .offset:         56
        .size:           8
        .value_kind:     by_value
      - .address_space:  global
        .offset:         64
        .size:           8
        .value_kind:     global_buffer
      - .address_space:  global
        .offset:         72
        .size:           8
        .value_kind:     global_buffer
      - .offset:         80
        .size:           4
        .value_kind:     by_value
      - .offset:         88
        .size:           8
        .value_kind:     by_value
      - .offset:         96
        .size:           4
        .value_kind:     by_value
    .group_segment_fixed_size: 2048
    .kernarg_segment_align: 8
    .kernarg_segment_size: 100
    .language:       OpenCL C
    .language_version:
      - 2
      - 0
    .max_flat_workgroup_size: 256
    .name:           _ZL29rocblas_internal_gemmt_kernelIiLi16ELi32ELi8ELc84ELc78ELc85ELb0ELb0EfPKfPKS1_PKPfEviT_T9_T10_S7_lS9_S7_lS8_T11_S7_li
    .private_segment_fixed_size: 0
    .sgpr_count:     26
    .sgpr_spill_count: 0
    .symbol:         _ZL29rocblas_internal_gemmt_kernelIiLi16ELi32ELi8ELc84ELc78ELc85ELb0ELb0EfPKfPKS1_PKPfEviT_T9_T10_S7_lS9_S7_lS8_T11_S7_li.kd
    .uniform_work_group_size: 1
    .uses_dynamic_stack: false
    .vgpr_count:     42
    .vgpr_spill_count: 0
    .wavefront_size: 32
    .workgroup_processor_mode: 1
  - .args:
      - .offset:         0
        .size:           4
        .value_kind:     by_value
      - .offset:         4
        .size:           4
        .value_kind:     by_value
      - .address_space:  global
        .offset:         8
        .size:           8
        .value_kind:     global_buffer
      - .address_space:  global
        .offset:         16
        .size:           8
        .value_kind:     global_buffer
      - .offset:         24
        .size:           4
        .value_kind:     by_value
      - .offset:         32
        .size:           8
        .value_kind:     by_value
      - .address_space:  global
        .offset:         40
        .size:           8
        .value_kind:     global_buffer
      - .offset:         48
        .size:           4
        .value_kind:     by_value
      - .offset:         56
        .size:           8
        .value_kind:     by_value
      - .address_space:  global
        .offset:         64
        .size:           8
        .value_kind:     global_buffer
      - .address_space:  global
        .offset:         72
        .size:           8
        .value_kind:     global_buffer
      - .offset:         80
        .size:           4
        .value_kind:     by_value
      - .offset:         88
        .size:           8
        .value_kind:     by_value
      - .offset:         96
        .size:           4
        .value_kind:     by_value
    .group_segment_fixed_size: 2048
    .kernarg_segment_align: 8
    .kernarg_segment_size: 100
    .language:       OpenCL C
    .language_version:
      - 2
      - 0
    .max_flat_workgroup_size: 256
    .name:           _ZL29rocblas_internal_gemmt_kernelIiLi16ELi32ELi8ELc84ELc84ELc85ELb0ELb0EfPKfPKS1_PKPfEviT_T9_T10_S7_lS9_S7_lS8_T11_S7_li
    .private_segment_fixed_size: 0
    .sgpr_count:     26
    .sgpr_spill_count: 0
    .symbol:         _ZL29rocblas_internal_gemmt_kernelIiLi16ELi32ELi8ELc84ELc84ELc85ELb0ELb0EfPKfPKS1_PKPfEviT_T9_T10_S7_lS9_S7_lS8_T11_S7_li.kd
    .uniform_work_group_size: 1
    .uses_dynamic_stack: false
    .vgpr_count:     42
    .vgpr_spill_count: 0
    .wavefront_size: 32
    .workgroup_processor_mode: 1
  - .args:
      - .offset:         0
        .size:           4
        .value_kind:     by_value
      - .offset:         4
        .size:           4
        .value_kind:     by_value
      - .address_space:  global
        .offset:         8
        .size:           8
        .value_kind:     global_buffer
      - .address_space:  global
        .offset:         16
        .size:           8
        .value_kind:     global_buffer
      - .offset:         24
        .size:           4
        .value_kind:     by_value
      - .offset:         32
        .size:           8
        .value_kind:     by_value
      - .address_space:  global
        .offset:         40
        .size:           8
        .value_kind:     global_buffer
      - .offset:         48
        .size:           4
        .value_kind:     by_value
      - .offset:         56
        .size:           8
        .value_kind:     by_value
      - .address_space:  global
        .offset:         64
        .size:           8
        .value_kind:     global_buffer
      - .address_space:  global
        .offset:         72
        .size:           8
        .value_kind:     global_buffer
      - .offset:         80
        .size:           4
        .value_kind:     by_value
      - .offset:         88
        .size:           8
        .value_kind:     by_value
      - .offset:         96
        .size:           4
        .value_kind:     by_value
    .group_segment_fixed_size: 2048
    .kernarg_segment_align: 8
    .kernarg_segment_size: 100
    .language:       OpenCL C
    .language_version:
      - 2
      - 0
    .max_flat_workgroup_size: 256
    .name:           _ZL29rocblas_internal_gemmt_kernelIiLi16ELi32ELi8ELc84ELc67ELc85ELb0ELb0EfPKfPKS1_PKPfEviT_T9_T10_S7_lS9_S7_lS8_T11_S7_li
    .private_segment_fixed_size: 0
    .sgpr_count:     26
    .sgpr_spill_count: 0
    .symbol:         _ZL29rocblas_internal_gemmt_kernelIiLi16ELi32ELi8ELc84ELc67ELc85ELb0ELb0EfPKfPKS1_PKPfEviT_T9_T10_S7_lS9_S7_lS8_T11_S7_li.kd
    .uniform_work_group_size: 1
    .uses_dynamic_stack: false
    .vgpr_count:     42
    .vgpr_spill_count: 0
    .wavefront_size: 32
    .workgroup_processor_mode: 1
  - .args:
      - .offset:         0
        .size:           4
        .value_kind:     by_value
      - .offset:         4
        .size:           4
        .value_kind:     by_value
      - .address_space:  global
        .offset:         8
        .size:           8
        .value_kind:     global_buffer
      - .address_space:  global
        .offset:         16
        .size:           8
        .value_kind:     global_buffer
      - .offset:         24
        .size:           4
        .value_kind:     by_value
      - .offset:         32
        .size:           8
        .value_kind:     by_value
      - .address_space:  global
        .offset:         40
        .size:           8
        .value_kind:     global_buffer
      - .offset:         48
        .size:           4
        .value_kind:     by_value
      - .offset:         56
        .size:           8
        .value_kind:     by_value
      - .address_space:  global
        .offset:         64
        .size:           8
        .value_kind:     global_buffer
      - .address_space:  global
        .offset:         72
        .size:           8
        .value_kind:     global_buffer
      - .offset:         80
        .size:           4
        .value_kind:     by_value
      - .offset:         88
        .size:           8
        .value_kind:     by_value
      - .offset:         96
        .size:           4
        .value_kind:     by_value
    .group_segment_fixed_size: 2048
    .kernarg_segment_align: 8
    .kernarg_segment_size: 100
    .language:       OpenCL C
    .language_version:
      - 2
      - 0
    .max_flat_workgroup_size: 256
    .name:           _ZL29rocblas_internal_gemmt_kernelIiLi16ELi32ELi8ELc67ELc78ELc85ELb0ELb0EfPKfPKS1_PKPfEviT_T9_T10_S7_lS9_S7_lS8_T11_S7_li
    .private_segment_fixed_size: 0
    .sgpr_count:     26
    .sgpr_spill_count: 0
    .symbol:         _ZL29rocblas_internal_gemmt_kernelIiLi16ELi32ELi8ELc67ELc78ELc85ELb0ELb0EfPKfPKS1_PKPfEviT_T9_T10_S7_lS9_S7_lS8_T11_S7_li.kd
    .uniform_work_group_size: 1
    .uses_dynamic_stack: false
    .vgpr_count:     42
    .vgpr_spill_count: 0
    .wavefront_size: 32
    .workgroup_processor_mode: 1
  - .args:
      - .offset:         0
        .size:           4
        .value_kind:     by_value
      - .offset:         4
        .size:           4
        .value_kind:     by_value
      - .address_space:  global
        .offset:         8
        .size:           8
        .value_kind:     global_buffer
      - .address_space:  global
        .offset:         16
        .size:           8
        .value_kind:     global_buffer
      - .offset:         24
        .size:           4
        .value_kind:     by_value
      - .offset:         32
        .size:           8
        .value_kind:     by_value
      - .address_space:  global
        .offset:         40
        .size:           8
        .value_kind:     global_buffer
      - .offset:         48
        .size:           4
        .value_kind:     by_value
      - .offset:         56
        .size:           8
        .value_kind:     by_value
      - .address_space:  global
        .offset:         64
        .size:           8
        .value_kind:     global_buffer
      - .address_space:  global
        .offset:         72
        .size:           8
        .value_kind:     global_buffer
      - .offset:         80
        .size:           4
        .value_kind:     by_value
      - .offset:         88
        .size:           8
        .value_kind:     by_value
      - .offset:         96
        .size:           4
        .value_kind:     by_value
    .group_segment_fixed_size: 2048
    .kernarg_segment_align: 8
    .kernarg_segment_size: 100
    .language:       OpenCL C
    .language_version:
      - 2
      - 0
    .max_flat_workgroup_size: 256
    .name:           _ZL29rocblas_internal_gemmt_kernelIiLi16ELi32ELi8ELc67ELc84ELc85ELb0ELb0EfPKfPKS1_PKPfEviT_T9_T10_S7_lS9_S7_lS8_T11_S7_li
    .private_segment_fixed_size: 0
    .sgpr_count:     26
    .sgpr_spill_count: 0
    .symbol:         _ZL29rocblas_internal_gemmt_kernelIiLi16ELi32ELi8ELc67ELc84ELc85ELb0ELb0EfPKfPKS1_PKPfEviT_T9_T10_S7_lS9_S7_lS8_T11_S7_li.kd
    .uniform_work_group_size: 1
    .uses_dynamic_stack: false
    .vgpr_count:     42
    .vgpr_spill_count: 0
    .wavefront_size: 32
    .workgroup_processor_mode: 1
  - .args:
      - .offset:         0
        .size:           4
        .value_kind:     by_value
      - .offset:         4
        .size:           4
        .value_kind:     by_value
      - .address_space:  global
        .offset:         8
        .size:           8
        .value_kind:     global_buffer
      - .address_space:  global
        .offset:         16
        .size:           8
        .value_kind:     global_buffer
      - .offset:         24
        .size:           4
        .value_kind:     by_value
      - .offset:         32
        .size:           8
        .value_kind:     by_value
      - .address_space:  global
        .offset:         40
        .size:           8
        .value_kind:     global_buffer
      - .offset:         48
        .size:           4
        .value_kind:     by_value
      - .offset:         56
        .size:           8
        .value_kind:     by_value
      - .address_space:  global
        .offset:         64
        .size:           8
        .value_kind:     global_buffer
      - .address_space:  global
        .offset:         72
        .size:           8
        .value_kind:     global_buffer
      - .offset:         80
        .size:           4
        .value_kind:     by_value
      - .offset:         88
        .size:           8
        .value_kind:     by_value
      - .offset:         96
        .size:           4
        .value_kind:     by_value
    .group_segment_fixed_size: 2048
    .kernarg_segment_align: 8
    .kernarg_segment_size: 100
    .language:       OpenCL C
    .language_version:
      - 2
      - 0
    .max_flat_workgroup_size: 256
    .name:           _ZL29rocblas_internal_gemmt_kernelIiLi16ELi32ELi8ELc67ELc67ELc85ELb0ELb0EfPKfPKS1_PKPfEviT_T9_T10_S7_lS9_S7_lS8_T11_S7_li
    .private_segment_fixed_size: 0
    .sgpr_count:     26
    .sgpr_spill_count: 0
    .symbol:         _ZL29rocblas_internal_gemmt_kernelIiLi16ELi32ELi8ELc67ELc67ELc85ELb0ELb0EfPKfPKS1_PKPfEviT_T9_T10_S7_lS9_S7_lS8_T11_S7_li.kd
    .uniform_work_group_size: 1
    .uses_dynamic_stack: false
    .vgpr_count:     42
    .vgpr_spill_count: 0
    .wavefront_size: 32
    .workgroup_processor_mode: 1
  - .args:
      - .offset:         0
        .size:           4
        .value_kind:     by_value
      - .offset:         4
        .size:           4
        .value_kind:     by_value
      - .address_space:  global
        .offset:         8
        .size:           8
        .value_kind:     global_buffer
      - .address_space:  global
        .offset:         16
        .size:           8
        .value_kind:     global_buffer
      - .offset:         24
        .size:           4
        .value_kind:     by_value
      - .offset:         32
        .size:           8
        .value_kind:     by_value
      - .address_space:  global
        .offset:         40
        .size:           8
        .value_kind:     global_buffer
      - .offset:         48
        .size:           4
        .value_kind:     by_value
      - .offset:         56
        .size:           8
        .value_kind:     by_value
      - .address_space:  global
        .offset:         64
        .size:           8
        .value_kind:     global_buffer
      - .address_space:  global
        .offset:         72
        .size:           8
        .value_kind:     global_buffer
      - .offset:         80
        .size:           4
        .value_kind:     by_value
      - .offset:         88
        .size:           8
        .value_kind:     by_value
      - .offset:         96
        .size:           4
        .value_kind:     by_value
    .group_segment_fixed_size: 2048
    .kernarg_segment_align: 8
    .kernarg_segment_size: 100
    .language:       OpenCL C
    .language_version:
      - 2
      - 0
    .max_flat_workgroup_size: 256
    .name:           _ZL29rocblas_internal_gemmt_kernelIiLi16ELi32ELi8ELc78ELc78ELc76ELb0ELb0EfPKfPKS1_PKPfEviT_T9_T10_S7_lS9_S7_lS8_T11_S7_li
    .private_segment_fixed_size: 0
    .sgpr_count:     27
    .sgpr_spill_count: 0
    .symbol:         _ZL29rocblas_internal_gemmt_kernelIiLi16ELi32ELi8ELc78ELc78ELc76ELb0ELb0EfPKfPKS1_PKPfEviT_T9_T10_S7_lS9_S7_lS8_T11_S7_li.kd
    .uniform_work_group_size: 1
    .uses_dynamic_stack: false
    .vgpr_count:     42
    .vgpr_spill_count: 0
    .wavefront_size: 32
    .workgroup_processor_mode: 1
  - .args:
      - .offset:         0
        .size:           4
        .value_kind:     by_value
      - .offset:         4
        .size:           4
        .value_kind:     by_value
      - .address_space:  global
        .offset:         8
        .size:           8
        .value_kind:     global_buffer
      - .address_space:  global
        .offset:         16
        .size:           8
        .value_kind:     global_buffer
      - .offset:         24
        .size:           4
        .value_kind:     by_value
      - .offset:         32
        .size:           8
        .value_kind:     by_value
      - .address_space:  global
        .offset:         40
        .size:           8
        .value_kind:     global_buffer
      - .offset:         48
        .size:           4
        .value_kind:     by_value
      - .offset:         56
        .size:           8
        .value_kind:     by_value
      - .address_space:  global
        .offset:         64
        .size:           8
        .value_kind:     global_buffer
      - .address_space:  global
        .offset:         72
        .size:           8
        .value_kind:     global_buffer
      - .offset:         80
        .size:           4
        .value_kind:     by_value
      - .offset:         88
        .size:           8
        .value_kind:     by_value
      - .offset:         96
        .size:           4
        .value_kind:     by_value
    .group_segment_fixed_size: 2048
    .kernarg_segment_align: 8
    .kernarg_segment_size: 100
    .language:       OpenCL C
    .language_version:
      - 2
      - 0
    .max_flat_workgroup_size: 256
    .name:           _ZL29rocblas_internal_gemmt_kernelIiLi16ELi32ELi8ELc78ELc84ELc76ELb0ELb0EfPKfPKS1_PKPfEviT_T9_T10_S7_lS9_S7_lS8_T11_S7_li
    .private_segment_fixed_size: 0
    .sgpr_count:     29
    .sgpr_spill_count: 0
    .symbol:         _ZL29rocblas_internal_gemmt_kernelIiLi16ELi32ELi8ELc78ELc84ELc76ELb0ELb0EfPKfPKS1_PKPfEviT_T9_T10_S7_lS9_S7_lS8_T11_S7_li.kd
    .uniform_work_group_size: 1
    .uses_dynamic_stack: false
    .vgpr_count:     42
    .vgpr_spill_count: 0
    .wavefront_size: 32
    .workgroup_processor_mode: 1
  - .args:
      - .offset:         0
        .size:           4
        .value_kind:     by_value
      - .offset:         4
        .size:           4
        .value_kind:     by_value
      - .address_space:  global
        .offset:         8
        .size:           8
        .value_kind:     global_buffer
      - .address_space:  global
        .offset:         16
        .size:           8
        .value_kind:     global_buffer
      - .offset:         24
        .size:           4
        .value_kind:     by_value
      - .offset:         32
        .size:           8
        .value_kind:     by_value
      - .address_space:  global
        .offset:         40
        .size:           8
        .value_kind:     global_buffer
      - .offset:         48
        .size:           4
        .value_kind:     by_value
      - .offset:         56
        .size:           8
        .value_kind:     by_value
      - .address_space:  global
        .offset:         64
        .size:           8
        .value_kind:     global_buffer
      - .address_space:  global
        .offset:         72
        .size:           8
        .value_kind:     global_buffer
      - .offset:         80
        .size:           4
        .value_kind:     by_value
      - .offset:         88
        .size:           8
        .value_kind:     by_value
      - .offset:         96
        .size:           4
        .value_kind:     by_value
    .group_segment_fixed_size: 2048
    .kernarg_segment_align: 8
    .kernarg_segment_size: 100
    .language:       OpenCL C
    .language_version:
      - 2
      - 0
    .max_flat_workgroup_size: 256
    .name:           _ZL29rocblas_internal_gemmt_kernelIiLi16ELi32ELi8ELc78ELc67ELc76ELb0ELb0EfPKfPKS1_PKPfEviT_T9_T10_S7_lS9_S7_lS8_T11_S7_li
    .private_segment_fixed_size: 0
    .sgpr_count:     29
    .sgpr_spill_count: 0
    .symbol:         _ZL29rocblas_internal_gemmt_kernelIiLi16ELi32ELi8ELc78ELc67ELc76ELb0ELb0EfPKfPKS1_PKPfEviT_T9_T10_S7_lS9_S7_lS8_T11_S7_li.kd
    .uniform_work_group_size: 1
    .uses_dynamic_stack: false
    .vgpr_count:     42
    .vgpr_spill_count: 0
    .wavefront_size: 32
    .workgroup_processor_mode: 1
  - .args:
      - .offset:         0
        .size:           4
        .value_kind:     by_value
      - .offset:         4
        .size:           4
        .value_kind:     by_value
      - .address_space:  global
        .offset:         8
        .size:           8
        .value_kind:     global_buffer
      - .address_space:  global
        .offset:         16
        .size:           8
        .value_kind:     global_buffer
      - .offset:         24
        .size:           4
        .value_kind:     by_value
      - .offset:         32
        .size:           8
        .value_kind:     by_value
      - .address_space:  global
        .offset:         40
        .size:           8
        .value_kind:     global_buffer
      - .offset:         48
        .size:           4
        .value_kind:     by_value
      - .offset:         56
        .size:           8
        .value_kind:     by_value
      - .address_space:  global
        .offset:         64
        .size:           8
        .value_kind:     global_buffer
      - .address_space:  global
        .offset:         72
        .size:           8
        .value_kind:     global_buffer
      - .offset:         80
        .size:           4
        .value_kind:     by_value
      - .offset:         88
        .size:           8
        .value_kind:     by_value
      - .offset:         96
        .size:           4
        .value_kind:     by_value
    .group_segment_fixed_size: 2048
    .kernarg_segment_align: 8
    .kernarg_segment_size: 100
    .language:       OpenCL C
    .language_version:
      - 2
      - 0
    .max_flat_workgroup_size: 256
    .name:           _ZL29rocblas_internal_gemmt_kernelIiLi16ELi32ELi8ELc84ELc78ELc76ELb0ELb0EfPKfPKS1_PKPfEviT_T9_T10_S7_lS9_S7_lS8_T11_S7_li
    .private_segment_fixed_size: 0
    .sgpr_count:     26
    .sgpr_spill_count: 0
    .symbol:         _ZL29rocblas_internal_gemmt_kernelIiLi16ELi32ELi8ELc84ELc78ELc76ELb0ELb0EfPKfPKS1_PKPfEviT_T9_T10_S7_lS9_S7_lS8_T11_S7_li.kd
    .uniform_work_group_size: 1
    .uses_dynamic_stack: false
    .vgpr_count:     42
    .vgpr_spill_count: 0
    .wavefront_size: 32
    .workgroup_processor_mode: 1
  - .args:
      - .offset:         0
        .size:           4
        .value_kind:     by_value
      - .offset:         4
        .size:           4
        .value_kind:     by_value
      - .address_space:  global
        .offset:         8
        .size:           8
        .value_kind:     global_buffer
      - .address_space:  global
        .offset:         16
        .size:           8
        .value_kind:     global_buffer
      - .offset:         24
        .size:           4
        .value_kind:     by_value
      - .offset:         32
        .size:           8
        .value_kind:     by_value
      - .address_space:  global
        .offset:         40
        .size:           8
        .value_kind:     global_buffer
      - .offset:         48
        .size:           4
        .value_kind:     by_value
      - .offset:         56
        .size:           8
        .value_kind:     by_value
      - .address_space:  global
        .offset:         64
        .size:           8
        .value_kind:     global_buffer
      - .address_space:  global
        .offset:         72
        .size:           8
        .value_kind:     global_buffer
      - .offset:         80
        .size:           4
        .value_kind:     by_value
      - .offset:         88
        .size:           8
        .value_kind:     by_value
      - .offset:         96
        .size:           4
        .value_kind:     by_value
    .group_segment_fixed_size: 2048
    .kernarg_segment_align: 8
    .kernarg_segment_size: 100
    .language:       OpenCL C
    .language_version:
      - 2
      - 0
    .max_flat_workgroup_size: 256
    .name:           _ZL29rocblas_internal_gemmt_kernelIiLi16ELi32ELi8ELc84ELc84ELc76ELb0ELb0EfPKfPKS1_PKPfEviT_T9_T10_S7_lS9_S7_lS8_T11_S7_li
    .private_segment_fixed_size: 0
    .sgpr_count:     26
    .sgpr_spill_count: 0
    .symbol:         _ZL29rocblas_internal_gemmt_kernelIiLi16ELi32ELi8ELc84ELc84ELc76ELb0ELb0EfPKfPKS1_PKPfEviT_T9_T10_S7_lS9_S7_lS8_T11_S7_li.kd
    .uniform_work_group_size: 1
    .uses_dynamic_stack: false
    .vgpr_count:     42
    .vgpr_spill_count: 0
    .wavefront_size: 32
    .workgroup_processor_mode: 1
  - .args:
      - .offset:         0
        .size:           4
        .value_kind:     by_value
      - .offset:         4
        .size:           4
        .value_kind:     by_value
      - .address_space:  global
        .offset:         8
        .size:           8
        .value_kind:     global_buffer
      - .address_space:  global
        .offset:         16
        .size:           8
        .value_kind:     global_buffer
      - .offset:         24
        .size:           4
        .value_kind:     by_value
      - .offset:         32
        .size:           8
        .value_kind:     by_value
      - .address_space:  global
        .offset:         40
        .size:           8
        .value_kind:     global_buffer
      - .offset:         48
        .size:           4
        .value_kind:     by_value
      - .offset:         56
        .size:           8
        .value_kind:     by_value
      - .address_space:  global
        .offset:         64
        .size:           8
        .value_kind:     global_buffer
      - .address_space:  global
        .offset:         72
        .size:           8
        .value_kind:     global_buffer
      - .offset:         80
        .size:           4
        .value_kind:     by_value
      - .offset:         88
        .size:           8
        .value_kind:     by_value
      - .offset:         96
        .size:           4
        .value_kind:     by_value
    .group_segment_fixed_size: 2048
    .kernarg_segment_align: 8
    .kernarg_segment_size: 100
    .language:       OpenCL C
    .language_version:
      - 2
      - 0
    .max_flat_workgroup_size: 256
    .name:           _ZL29rocblas_internal_gemmt_kernelIiLi16ELi32ELi8ELc84ELc67ELc76ELb0ELb0EfPKfPKS1_PKPfEviT_T9_T10_S7_lS9_S7_lS8_T11_S7_li
    .private_segment_fixed_size: 0
    .sgpr_count:     26
    .sgpr_spill_count: 0
    .symbol:         _ZL29rocblas_internal_gemmt_kernelIiLi16ELi32ELi8ELc84ELc67ELc76ELb0ELb0EfPKfPKS1_PKPfEviT_T9_T10_S7_lS9_S7_lS8_T11_S7_li.kd
    .uniform_work_group_size: 1
    .uses_dynamic_stack: false
    .vgpr_count:     42
    .vgpr_spill_count: 0
    .wavefront_size: 32
    .workgroup_processor_mode: 1
  - .args:
      - .offset:         0
        .size:           4
        .value_kind:     by_value
      - .offset:         4
        .size:           4
        .value_kind:     by_value
      - .address_space:  global
        .offset:         8
        .size:           8
        .value_kind:     global_buffer
      - .address_space:  global
        .offset:         16
        .size:           8
        .value_kind:     global_buffer
      - .offset:         24
        .size:           4
        .value_kind:     by_value
      - .offset:         32
        .size:           8
        .value_kind:     by_value
      - .address_space:  global
        .offset:         40
        .size:           8
        .value_kind:     global_buffer
      - .offset:         48
        .size:           4
        .value_kind:     by_value
      - .offset:         56
        .size:           8
        .value_kind:     by_value
      - .address_space:  global
        .offset:         64
        .size:           8
        .value_kind:     global_buffer
      - .address_space:  global
        .offset:         72
        .size:           8
        .value_kind:     global_buffer
      - .offset:         80
        .size:           4
        .value_kind:     by_value
      - .offset:         88
        .size:           8
        .value_kind:     by_value
      - .offset:         96
        .size:           4
        .value_kind:     by_value
    .group_segment_fixed_size: 2048
    .kernarg_segment_align: 8
    .kernarg_segment_size: 100
    .language:       OpenCL C
    .language_version:
      - 2
      - 0
    .max_flat_workgroup_size: 256
    .name:           _ZL29rocblas_internal_gemmt_kernelIiLi16ELi32ELi8ELc67ELc78ELc76ELb0ELb0EfPKfPKS1_PKPfEviT_T9_T10_S7_lS9_S7_lS8_T11_S7_li
    .private_segment_fixed_size: 0
    .sgpr_count:     26
    .sgpr_spill_count: 0
    .symbol:         _ZL29rocblas_internal_gemmt_kernelIiLi16ELi32ELi8ELc67ELc78ELc76ELb0ELb0EfPKfPKS1_PKPfEviT_T9_T10_S7_lS9_S7_lS8_T11_S7_li.kd
    .uniform_work_group_size: 1
    .uses_dynamic_stack: false
    .vgpr_count:     42
    .vgpr_spill_count: 0
    .wavefront_size: 32
    .workgroup_processor_mode: 1
  - .args:
      - .offset:         0
        .size:           4
        .value_kind:     by_value
      - .offset:         4
        .size:           4
        .value_kind:     by_value
      - .address_space:  global
        .offset:         8
        .size:           8
        .value_kind:     global_buffer
      - .address_space:  global
        .offset:         16
        .size:           8
        .value_kind:     global_buffer
      - .offset:         24
        .size:           4
        .value_kind:     by_value
      - .offset:         32
        .size:           8
        .value_kind:     by_value
      - .address_space:  global
        .offset:         40
        .size:           8
        .value_kind:     global_buffer
      - .offset:         48
        .size:           4
        .value_kind:     by_value
      - .offset:         56
        .size:           8
        .value_kind:     by_value
      - .address_space:  global
        .offset:         64
        .size:           8
        .value_kind:     global_buffer
      - .address_space:  global
        .offset:         72
        .size:           8
        .value_kind:     global_buffer
      - .offset:         80
        .size:           4
        .value_kind:     by_value
      - .offset:         88
        .size:           8
        .value_kind:     by_value
      - .offset:         96
        .size:           4
        .value_kind:     by_value
    .group_segment_fixed_size: 2048
    .kernarg_segment_align: 8
    .kernarg_segment_size: 100
    .language:       OpenCL C
    .language_version:
      - 2
      - 0
    .max_flat_workgroup_size: 256
    .name:           _ZL29rocblas_internal_gemmt_kernelIiLi16ELi32ELi8ELc67ELc84ELc76ELb0ELb0EfPKfPKS1_PKPfEviT_T9_T10_S7_lS9_S7_lS8_T11_S7_li
    .private_segment_fixed_size: 0
    .sgpr_count:     26
    .sgpr_spill_count: 0
    .symbol:         _ZL29rocblas_internal_gemmt_kernelIiLi16ELi32ELi8ELc67ELc84ELc76ELb0ELb0EfPKfPKS1_PKPfEviT_T9_T10_S7_lS9_S7_lS8_T11_S7_li.kd
    .uniform_work_group_size: 1
    .uses_dynamic_stack: false
    .vgpr_count:     42
    .vgpr_spill_count: 0
    .wavefront_size: 32
    .workgroup_processor_mode: 1
  - .args:
      - .offset:         0
        .size:           4
        .value_kind:     by_value
      - .offset:         4
        .size:           4
        .value_kind:     by_value
      - .address_space:  global
        .offset:         8
        .size:           8
        .value_kind:     global_buffer
      - .address_space:  global
        .offset:         16
        .size:           8
        .value_kind:     global_buffer
      - .offset:         24
        .size:           4
        .value_kind:     by_value
      - .offset:         32
        .size:           8
        .value_kind:     by_value
      - .address_space:  global
        .offset:         40
        .size:           8
        .value_kind:     global_buffer
      - .offset:         48
        .size:           4
        .value_kind:     by_value
      - .offset:         56
        .size:           8
        .value_kind:     by_value
      - .address_space:  global
        .offset:         64
        .size:           8
        .value_kind:     global_buffer
      - .address_space:  global
        .offset:         72
        .size:           8
        .value_kind:     global_buffer
      - .offset:         80
        .size:           4
        .value_kind:     by_value
      - .offset:         88
        .size:           8
        .value_kind:     by_value
      - .offset:         96
        .size:           4
        .value_kind:     by_value
    .group_segment_fixed_size: 2048
    .kernarg_segment_align: 8
    .kernarg_segment_size: 100
    .language:       OpenCL C
    .language_version:
      - 2
      - 0
    .max_flat_workgroup_size: 256
    .name:           _ZL29rocblas_internal_gemmt_kernelIiLi16ELi32ELi8ELc67ELc67ELc76ELb0ELb0EfPKfPKS1_PKPfEviT_T9_T10_S7_lS9_S7_lS8_T11_S7_li
    .private_segment_fixed_size: 0
    .sgpr_count:     26
    .sgpr_spill_count: 0
    .symbol:         _ZL29rocblas_internal_gemmt_kernelIiLi16ELi32ELi8ELc67ELc67ELc76ELb0ELb0EfPKfPKS1_PKPfEviT_T9_T10_S7_lS9_S7_lS8_T11_S7_li.kd
    .uniform_work_group_size: 1
    .uses_dynamic_stack: false
    .vgpr_count:     42
    .vgpr_spill_count: 0
    .wavefront_size: 32
    .workgroup_processor_mode: 1
  - .args:
      - .offset:         0
        .size:           4
        .value_kind:     by_value
      - .offset:         4
        .size:           4
        .value_kind:     by_value
      - .offset:         8
        .size:           4
        .value_kind:     by_value
      - .address_space:  global
        .offset:         16
        .size:           8
        .value_kind:     global_buffer
      - .offset:         24
        .size:           4
        .value_kind:     by_value
      - .offset:         32
        .size:           8
        .value_kind:     by_value
      - .address_space:  global
        .offset:         40
        .size:           8
        .value_kind:     global_buffer
      - .offset:         48
        .size:           4
        .value_kind:     by_value
      - .offset:         56
        .size:           8
        .value_kind:     by_value
      - .offset:         64
        .size:           4
        .value_kind:     by_value
      - .address_space:  global
        .offset:         72
        .size:           8
        .value_kind:     global_buffer
      - .offset:         80
        .size:           4
        .value_kind:     by_value
      - .offset:         88
        .size:           8
        .value_kind:     by_value
      - .offset:         96
        .size:           4
        .value_kind:     by_value
    .group_segment_fixed_size: 2048
    .kernarg_segment_align: 8
    .kernarg_segment_size: 100
    .language:       OpenCL C
    .language_version:
      - 2
      - 0
    .max_flat_workgroup_size: 256
    .name:           _ZL29rocblas_internal_gemmt_kernelIiLi16ELi32ELi8ELc78ELc78ELc85ELb0ELb0EffPKPKfPKPfEviT_T9_T10_S7_lS9_S7_lS8_T11_S7_li
    .private_segment_fixed_size: 0
    .sgpr_count:     26
    .sgpr_spill_count: 0
    .symbol:         _ZL29rocblas_internal_gemmt_kernelIiLi16ELi32ELi8ELc78ELc78ELc85ELb0ELb0EffPKPKfPKPfEviT_T9_T10_S7_lS9_S7_lS8_T11_S7_li.kd
    .uniform_work_group_size: 1
    .uses_dynamic_stack: false
    .vgpr_count:     42
    .vgpr_spill_count: 0
    .wavefront_size: 32
    .workgroup_processor_mode: 1
  - .args:
      - .offset:         0
        .size:           4
        .value_kind:     by_value
      - .offset:         4
        .size:           4
        .value_kind:     by_value
      - .offset:         8
        .size:           4
        .value_kind:     by_value
      - .address_space:  global
        .offset:         16
        .size:           8
        .value_kind:     global_buffer
      - .offset:         24
        .size:           4
        .value_kind:     by_value
      - .offset:         32
        .size:           8
        .value_kind:     by_value
      - .address_space:  global
        .offset:         40
        .size:           8
        .value_kind:     global_buffer
      - .offset:         48
        .size:           4
        .value_kind:     by_value
      - .offset:         56
        .size:           8
        .value_kind:     by_value
      - .offset:         64
        .size:           4
        .value_kind:     by_value
      - .address_space:  global
        .offset:         72
        .size:           8
        .value_kind:     global_buffer
      - .offset:         80
        .size:           4
        .value_kind:     by_value
      - .offset:         88
        .size:           8
        .value_kind:     by_value
      - .offset:         96
        .size:           4
        .value_kind:     by_value
    .group_segment_fixed_size: 2048
    .kernarg_segment_align: 8
    .kernarg_segment_size: 100
    .language:       OpenCL C
    .language_version:
      - 2
      - 0
    .max_flat_workgroup_size: 256
    .name:           _ZL29rocblas_internal_gemmt_kernelIiLi16ELi32ELi8ELc78ELc84ELc85ELb0ELb0EffPKPKfPKPfEviT_T9_T10_S7_lS9_S7_lS8_T11_S7_li
    .private_segment_fixed_size: 0
    .sgpr_count:     28
    .sgpr_spill_count: 0
    .symbol:         _ZL29rocblas_internal_gemmt_kernelIiLi16ELi32ELi8ELc78ELc84ELc85ELb0ELb0EffPKPKfPKPfEviT_T9_T10_S7_lS9_S7_lS8_T11_S7_li.kd
    .uniform_work_group_size: 1
    .uses_dynamic_stack: false
    .vgpr_count:     42
    .vgpr_spill_count: 0
    .wavefront_size: 32
    .workgroup_processor_mode: 1
  - .args:
      - .offset:         0
        .size:           4
        .value_kind:     by_value
      - .offset:         4
        .size:           4
        .value_kind:     by_value
      - .offset:         8
        .size:           4
        .value_kind:     by_value
      - .address_space:  global
        .offset:         16
        .size:           8
        .value_kind:     global_buffer
      - .offset:         24
        .size:           4
        .value_kind:     by_value
      - .offset:         32
        .size:           8
        .value_kind:     by_value
      - .address_space:  global
        .offset:         40
        .size:           8
        .value_kind:     global_buffer
      - .offset:         48
        .size:           4
        .value_kind:     by_value
      - .offset:         56
        .size:           8
        .value_kind:     by_value
      - .offset:         64
        .size:           4
        .value_kind:     by_value
      - .address_space:  global
        .offset:         72
        .size:           8
        .value_kind:     global_buffer
      - .offset:         80
        .size:           4
        .value_kind:     by_value
      - .offset:         88
        .size:           8
        .value_kind:     by_value
      - .offset:         96
        .size:           4
        .value_kind:     by_value
    .group_segment_fixed_size: 2048
    .kernarg_segment_align: 8
    .kernarg_segment_size: 100
    .language:       OpenCL C
    .language_version:
      - 2
      - 0
    .max_flat_workgroup_size: 256
    .name:           _ZL29rocblas_internal_gemmt_kernelIiLi16ELi32ELi8ELc78ELc67ELc85ELb0ELb0EffPKPKfPKPfEviT_T9_T10_S7_lS9_S7_lS8_T11_S7_li
    .private_segment_fixed_size: 0
    .sgpr_count:     28
    .sgpr_spill_count: 0
    .symbol:         _ZL29rocblas_internal_gemmt_kernelIiLi16ELi32ELi8ELc78ELc67ELc85ELb0ELb0EffPKPKfPKPfEviT_T9_T10_S7_lS9_S7_lS8_T11_S7_li.kd
    .uniform_work_group_size: 1
    .uses_dynamic_stack: false
    .vgpr_count:     42
    .vgpr_spill_count: 0
    .wavefront_size: 32
    .workgroup_processor_mode: 1
  - .args:
      - .offset:         0
        .size:           4
        .value_kind:     by_value
      - .offset:         4
        .size:           4
        .value_kind:     by_value
      - .offset:         8
        .size:           4
        .value_kind:     by_value
      - .address_space:  global
        .offset:         16
        .size:           8
        .value_kind:     global_buffer
      - .offset:         24
        .size:           4
        .value_kind:     by_value
      - .offset:         32
        .size:           8
        .value_kind:     by_value
      - .address_space:  global
        .offset:         40
        .size:           8
        .value_kind:     global_buffer
      - .offset:         48
        .size:           4
        .value_kind:     by_value
      - .offset:         56
        .size:           8
        .value_kind:     by_value
      - .offset:         64
        .size:           4
        .value_kind:     by_value
      - .address_space:  global
        .offset:         72
        .size:           8
        .value_kind:     global_buffer
      - .offset:         80
        .size:           4
        .value_kind:     by_value
      - .offset:         88
        .size:           8
        .value_kind:     by_value
      - .offset:         96
        .size:           4
        .value_kind:     by_value
    .group_segment_fixed_size: 2048
    .kernarg_segment_align: 8
    .kernarg_segment_size: 100
    .language:       OpenCL C
    .language_version:
      - 2
      - 0
    .max_flat_workgroup_size: 256
    .name:           _ZL29rocblas_internal_gemmt_kernelIiLi16ELi32ELi8ELc84ELc78ELc85ELb0ELb0EffPKPKfPKPfEviT_T9_T10_S7_lS9_S7_lS8_T11_S7_li
    .private_segment_fixed_size: 0
    .sgpr_count:     26
    .sgpr_spill_count: 0
    .symbol:         _ZL29rocblas_internal_gemmt_kernelIiLi16ELi32ELi8ELc84ELc78ELc85ELb0ELb0EffPKPKfPKPfEviT_T9_T10_S7_lS9_S7_lS8_T11_S7_li.kd
    .uniform_work_group_size: 1
    .uses_dynamic_stack: false
    .vgpr_count:     42
    .vgpr_spill_count: 0
    .wavefront_size: 32
    .workgroup_processor_mode: 1
  - .args:
      - .offset:         0
        .size:           4
        .value_kind:     by_value
      - .offset:         4
        .size:           4
        .value_kind:     by_value
      - .offset:         8
        .size:           4
        .value_kind:     by_value
      - .address_space:  global
        .offset:         16
        .size:           8
        .value_kind:     global_buffer
      - .offset:         24
        .size:           4
        .value_kind:     by_value
      - .offset:         32
        .size:           8
        .value_kind:     by_value
      - .address_space:  global
        .offset:         40
        .size:           8
        .value_kind:     global_buffer
      - .offset:         48
        .size:           4
        .value_kind:     by_value
      - .offset:         56
        .size:           8
        .value_kind:     by_value
      - .offset:         64
        .size:           4
        .value_kind:     by_value
      - .address_space:  global
        .offset:         72
        .size:           8
        .value_kind:     global_buffer
      - .offset:         80
        .size:           4
        .value_kind:     by_value
      - .offset:         88
        .size:           8
        .value_kind:     by_value
      - .offset:         96
        .size:           4
        .value_kind:     by_value
    .group_segment_fixed_size: 2048
    .kernarg_segment_align: 8
    .kernarg_segment_size: 100
    .language:       OpenCL C
    .language_version:
      - 2
      - 0
    .max_flat_workgroup_size: 256
    .name:           _ZL29rocblas_internal_gemmt_kernelIiLi16ELi32ELi8ELc84ELc84ELc85ELb0ELb0EffPKPKfPKPfEviT_T9_T10_S7_lS9_S7_lS8_T11_S7_li
    .private_segment_fixed_size: 0
    .sgpr_count:     26
    .sgpr_spill_count: 0
    .symbol:         _ZL29rocblas_internal_gemmt_kernelIiLi16ELi32ELi8ELc84ELc84ELc85ELb0ELb0EffPKPKfPKPfEviT_T9_T10_S7_lS9_S7_lS8_T11_S7_li.kd
    .uniform_work_group_size: 1
    .uses_dynamic_stack: false
    .vgpr_count:     42
    .vgpr_spill_count: 0
    .wavefront_size: 32
    .workgroup_processor_mode: 1
  - .args:
      - .offset:         0
        .size:           4
        .value_kind:     by_value
      - .offset:         4
        .size:           4
        .value_kind:     by_value
      - .offset:         8
        .size:           4
        .value_kind:     by_value
      - .address_space:  global
        .offset:         16
        .size:           8
        .value_kind:     global_buffer
      - .offset:         24
        .size:           4
        .value_kind:     by_value
      - .offset:         32
        .size:           8
        .value_kind:     by_value
      - .address_space:  global
        .offset:         40
        .size:           8
        .value_kind:     global_buffer
      - .offset:         48
        .size:           4
        .value_kind:     by_value
      - .offset:         56
        .size:           8
        .value_kind:     by_value
      - .offset:         64
        .size:           4
        .value_kind:     by_value
      - .address_space:  global
        .offset:         72
        .size:           8
        .value_kind:     global_buffer
      - .offset:         80
        .size:           4
        .value_kind:     by_value
      - .offset:         88
        .size:           8
        .value_kind:     by_value
      - .offset:         96
        .size:           4
        .value_kind:     by_value
    .group_segment_fixed_size: 2048
    .kernarg_segment_align: 8
    .kernarg_segment_size: 100
    .language:       OpenCL C
    .language_version:
      - 2
      - 0
    .max_flat_workgroup_size: 256
    .name:           _ZL29rocblas_internal_gemmt_kernelIiLi16ELi32ELi8ELc84ELc67ELc85ELb0ELb0EffPKPKfPKPfEviT_T9_T10_S7_lS9_S7_lS8_T11_S7_li
    .private_segment_fixed_size: 0
    .sgpr_count:     26
    .sgpr_spill_count: 0
    .symbol:         _ZL29rocblas_internal_gemmt_kernelIiLi16ELi32ELi8ELc84ELc67ELc85ELb0ELb0EffPKPKfPKPfEviT_T9_T10_S7_lS9_S7_lS8_T11_S7_li.kd
    .uniform_work_group_size: 1
    .uses_dynamic_stack: false
    .vgpr_count:     42
    .vgpr_spill_count: 0
    .wavefront_size: 32
    .workgroup_processor_mode: 1
  - .args:
      - .offset:         0
        .size:           4
        .value_kind:     by_value
      - .offset:         4
        .size:           4
        .value_kind:     by_value
      - .offset:         8
        .size:           4
        .value_kind:     by_value
      - .address_space:  global
        .offset:         16
        .size:           8
        .value_kind:     global_buffer
      - .offset:         24
        .size:           4
        .value_kind:     by_value
      - .offset:         32
        .size:           8
        .value_kind:     by_value
      - .address_space:  global
        .offset:         40
        .size:           8
        .value_kind:     global_buffer
      - .offset:         48
        .size:           4
        .value_kind:     by_value
      - .offset:         56
        .size:           8
        .value_kind:     by_value
      - .offset:         64
        .size:           4
        .value_kind:     by_value
      - .address_space:  global
        .offset:         72
        .size:           8
        .value_kind:     global_buffer
      - .offset:         80
        .size:           4
        .value_kind:     by_value
      - .offset:         88
        .size:           8
        .value_kind:     by_value
      - .offset:         96
        .size:           4
        .value_kind:     by_value
    .group_segment_fixed_size: 2048
    .kernarg_segment_align: 8
    .kernarg_segment_size: 100
    .language:       OpenCL C
    .language_version:
      - 2
      - 0
    .max_flat_workgroup_size: 256
    .name:           _ZL29rocblas_internal_gemmt_kernelIiLi16ELi32ELi8ELc67ELc78ELc85ELb0ELb0EffPKPKfPKPfEviT_T9_T10_S7_lS9_S7_lS8_T11_S7_li
    .private_segment_fixed_size: 0
    .sgpr_count:     26
    .sgpr_spill_count: 0
    .symbol:         _ZL29rocblas_internal_gemmt_kernelIiLi16ELi32ELi8ELc67ELc78ELc85ELb0ELb0EffPKPKfPKPfEviT_T9_T10_S7_lS9_S7_lS8_T11_S7_li.kd
    .uniform_work_group_size: 1
    .uses_dynamic_stack: false
    .vgpr_count:     42
    .vgpr_spill_count: 0
    .wavefront_size: 32
    .workgroup_processor_mode: 1
  - .args:
      - .offset:         0
        .size:           4
        .value_kind:     by_value
      - .offset:         4
        .size:           4
        .value_kind:     by_value
      - .offset:         8
        .size:           4
        .value_kind:     by_value
      - .address_space:  global
        .offset:         16
        .size:           8
        .value_kind:     global_buffer
      - .offset:         24
        .size:           4
        .value_kind:     by_value
      - .offset:         32
        .size:           8
        .value_kind:     by_value
      - .address_space:  global
        .offset:         40
        .size:           8
        .value_kind:     global_buffer
      - .offset:         48
        .size:           4
        .value_kind:     by_value
      - .offset:         56
        .size:           8
        .value_kind:     by_value
      - .offset:         64
        .size:           4
        .value_kind:     by_value
      - .address_space:  global
        .offset:         72
        .size:           8
        .value_kind:     global_buffer
      - .offset:         80
        .size:           4
        .value_kind:     by_value
      - .offset:         88
        .size:           8
        .value_kind:     by_value
      - .offset:         96
        .size:           4
        .value_kind:     by_value
    .group_segment_fixed_size: 2048
    .kernarg_segment_align: 8
    .kernarg_segment_size: 100
    .language:       OpenCL C
    .language_version:
      - 2
      - 0
    .max_flat_workgroup_size: 256
    .name:           _ZL29rocblas_internal_gemmt_kernelIiLi16ELi32ELi8ELc67ELc84ELc85ELb0ELb0EffPKPKfPKPfEviT_T9_T10_S7_lS9_S7_lS8_T11_S7_li
    .private_segment_fixed_size: 0
    .sgpr_count:     26
    .sgpr_spill_count: 0
    .symbol:         _ZL29rocblas_internal_gemmt_kernelIiLi16ELi32ELi8ELc67ELc84ELc85ELb0ELb0EffPKPKfPKPfEviT_T9_T10_S7_lS9_S7_lS8_T11_S7_li.kd
    .uniform_work_group_size: 1
    .uses_dynamic_stack: false
    .vgpr_count:     42
    .vgpr_spill_count: 0
    .wavefront_size: 32
    .workgroup_processor_mode: 1
  - .args:
      - .offset:         0
        .size:           4
        .value_kind:     by_value
      - .offset:         4
        .size:           4
        .value_kind:     by_value
      - .offset:         8
        .size:           4
        .value_kind:     by_value
      - .address_space:  global
        .offset:         16
        .size:           8
        .value_kind:     global_buffer
      - .offset:         24
        .size:           4
        .value_kind:     by_value
      - .offset:         32
        .size:           8
        .value_kind:     by_value
      - .address_space:  global
        .offset:         40
        .size:           8
        .value_kind:     global_buffer
      - .offset:         48
        .size:           4
        .value_kind:     by_value
      - .offset:         56
        .size:           8
        .value_kind:     by_value
      - .offset:         64
        .size:           4
        .value_kind:     by_value
      - .address_space:  global
        .offset:         72
        .size:           8
        .value_kind:     global_buffer
      - .offset:         80
        .size:           4
        .value_kind:     by_value
      - .offset:         88
        .size:           8
        .value_kind:     by_value
      - .offset:         96
        .size:           4
        .value_kind:     by_value
    .group_segment_fixed_size: 2048
    .kernarg_segment_align: 8
    .kernarg_segment_size: 100
    .language:       OpenCL C
    .language_version:
      - 2
      - 0
    .max_flat_workgroup_size: 256
    .name:           _ZL29rocblas_internal_gemmt_kernelIiLi16ELi32ELi8ELc67ELc67ELc85ELb0ELb0EffPKPKfPKPfEviT_T9_T10_S7_lS9_S7_lS8_T11_S7_li
    .private_segment_fixed_size: 0
    .sgpr_count:     26
    .sgpr_spill_count: 0
    .symbol:         _ZL29rocblas_internal_gemmt_kernelIiLi16ELi32ELi8ELc67ELc67ELc85ELb0ELb0EffPKPKfPKPfEviT_T9_T10_S7_lS9_S7_lS8_T11_S7_li.kd
    .uniform_work_group_size: 1
    .uses_dynamic_stack: false
    .vgpr_count:     42
    .vgpr_spill_count: 0
    .wavefront_size: 32
    .workgroup_processor_mode: 1
  - .args:
      - .offset:         0
        .size:           4
        .value_kind:     by_value
      - .offset:         4
        .size:           4
        .value_kind:     by_value
      - .offset:         8
        .size:           4
        .value_kind:     by_value
      - .address_space:  global
        .offset:         16
        .size:           8
        .value_kind:     global_buffer
      - .offset:         24
        .size:           4
        .value_kind:     by_value
      - .offset:         32
        .size:           8
        .value_kind:     by_value
      - .address_space:  global
        .offset:         40
        .size:           8
        .value_kind:     global_buffer
      - .offset:         48
        .size:           4
        .value_kind:     by_value
      - .offset:         56
        .size:           8
        .value_kind:     by_value
      - .offset:         64
        .size:           4
        .value_kind:     by_value
      - .address_space:  global
        .offset:         72
        .size:           8
        .value_kind:     global_buffer
      - .offset:         80
        .size:           4
        .value_kind:     by_value
      - .offset:         88
        .size:           8
        .value_kind:     by_value
      - .offset:         96
        .size:           4
        .value_kind:     by_value
    .group_segment_fixed_size: 2048
    .kernarg_segment_align: 8
    .kernarg_segment_size: 100
    .language:       OpenCL C
    .language_version:
      - 2
      - 0
    .max_flat_workgroup_size: 256
    .name:           _ZL29rocblas_internal_gemmt_kernelIiLi16ELi32ELi8ELc78ELc78ELc76ELb0ELb0EffPKPKfPKPfEviT_T9_T10_S7_lS9_S7_lS8_T11_S7_li
    .private_segment_fixed_size: 0
    .sgpr_count:     26
    .sgpr_spill_count: 0
    .symbol:         _ZL29rocblas_internal_gemmt_kernelIiLi16ELi32ELi8ELc78ELc78ELc76ELb0ELb0EffPKPKfPKPfEviT_T9_T10_S7_lS9_S7_lS8_T11_S7_li.kd
    .uniform_work_group_size: 1
    .uses_dynamic_stack: false
    .vgpr_count:     42
    .vgpr_spill_count: 0
    .wavefront_size: 32
    .workgroup_processor_mode: 1
  - .args:
      - .offset:         0
        .size:           4
        .value_kind:     by_value
      - .offset:         4
        .size:           4
        .value_kind:     by_value
      - .offset:         8
        .size:           4
        .value_kind:     by_value
      - .address_space:  global
        .offset:         16
        .size:           8
        .value_kind:     global_buffer
      - .offset:         24
        .size:           4
        .value_kind:     by_value
      - .offset:         32
        .size:           8
        .value_kind:     by_value
      - .address_space:  global
        .offset:         40
        .size:           8
        .value_kind:     global_buffer
      - .offset:         48
        .size:           4
        .value_kind:     by_value
      - .offset:         56
        .size:           8
        .value_kind:     by_value
      - .offset:         64
        .size:           4
        .value_kind:     by_value
      - .address_space:  global
        .offset:         72
        .size:           8
        .value_kind:     global_buffer
      - .offset:         80
        .size:           4
        .value_kind:     by_value
      - .offset:         88
        .size:           8
        .value_kind:     by_value
      - .offset:         96
        .size:           4
        .value_kind:     by_value
    .group_segment_fixed_size: 2048
    .kernarg_segment_align: 8
    .kernarg_segment_size: 100
    .language:       OpenCL C
    .language_version:
      - 2
      - 0
    .max_flat_workgroup_size: 256
    .name:           _ZL29rocblas_internal_gemmt_kernelIiLi16ELi32ELi8ELc78ELc84ELc76ELb0ELb0EffPKPKfPKPfEviT_T9_T10_S7_lS9_S7_lS8_T11_S7_li
    .private_segment_fixed_size: 0
    .sgpr_count:     28
    .sgpr_spill_count: 0
    .symbol:         _ZL29rocblas_internal_gemmt_kernelIiLi16ELi32ELi8ELc78ELc84ELc76ELb0ELb0EffPKPKfPKPfEviT_T9_T10_S7_lS9_S7_lS8_T11_S7_li.kd
    .uniform_work_group_size: 1
    .uses_dynamic_stack: false
    .vgpr_count:     42
    .vgpr_spill_count: 0
    .wavefront_size: 32
    .workgroup_processor_mode: 1
  - .args:
      - .offset:         0
        .size:           4
        .value_kind:     by_value
      - .offset:         4
        .size:           4
        .value_kind:     by_value
      - .offset:         8
        .size:           4
        .value_kind:     by_value
      - .address_space:  global
        .offset:         16
        .size:           8
        .value_kind:     global_buffer
      - .offset:         24
        .size:           4
        .value_kind:     by_value
      - .offset:         32
        .size:           8
        .value_kind:     by_value
      - .address_space:  global
        .offset:         40
        .size:           8
        .value_kind:     global_buffer
      - .offset:         48
        .size:           4
        .value_kind:     by_value
      - .offset:         56
        .size:           8
        .value_kind:     by_value
      - .offset:         64
        .size:           4
        .value_kind:     by_value
      - .address_space:  global
        .offset:         72
        .size:           8
        .value_kind:     global_buffer
      - .offset:         80
        .size:           4
        .value_kind:     by_value
      - .offset:         88
        .size:           8
        .value_kind:     by_value
      - .offset:         96
        .size:           4
        .value_kind:     by_value
    .group_segment_fixed_size: 2048
    .kernarg_segment_align: 8
    .kernarg_segment_size: 100
    .language:       OpenCL C
    .language_version:
      - 2
      - 0
    .max_flat_workgroup_size: 256
    .name:           _ZL29rocblas_internal_gemmt_kernelIiLi16ELi32ELi8ELc78ELc67ELc76ELb0ELb0EffPKPKfPKPfEviT_T9_T10_S7_lS9_S7_lS8_T11_S7_li
    .private_segment_fixed_size: 0
    .sgpr_count:     28
    .sgpr_spill_count: 0
    .symbol:         _ZL29rocblas_internal_gemmt_kernelIiLi16ELi32ELi8ELc78ELc67ELc76ELb0ELb0EffPKPKfPKPfEviT_T9_T10_S7_lS9_S7_lS8_T11_S7_li.kd
    .uniform_work_group_size: 1
    .uses_dynamic_stack: false
    .vgpr_count:     42
    .vgpr_spill_count: 0
    .wavefront_size: 32
    .workgroup_processor_mode: 1
  - .args:
      - .offset:         0
        .size:           4
        .value_kind:     by_value
      - .offset:         4
        .size:           4
        .value_kind:     by_value
      - .offset:         8
        .size:           4
        .value_kind:     by_value
      - .address_space:  global
        .offset:         16
        .size:           8
        .value_kind:     global_buffer
      - .offset:         24
        .size:           4
        .value_kind:     by_value
      - .offset:         32
        .size:           8
        .value_kind:     by_value
      - .address_space:  global
        .offset:         40
        .size:           8
        .value_kind:     global_buffer
      - .offset:         48
        .size:           4
        .value_kind:     by_value
      - .offset:         56
        .size:           8
        .value_kind:     by_value
      - .offset:         64
        .size:           4
        .value_kind:     by_value
      - .address_space:  global
        .offset:         72
        .size:           8
        .value_kind:     global_buffer
      - .offset:         80
        .size:           4
        .value_kind:     by_value
      - .offset:         88
        .size:           8
        .value_kind:     by_value
      - .offset:         96
        .size:           4
        .value_kind:     by_value
    .group_segment_fixed_size: 2048
    .kernarg_segment_align: 8
    .kernarg_segment_size: 100
    .language:       OpenCL C
    .language_version:
      - 2
      - 0
    .max_flat_workgroup_size: 256
    .name:           _ZL29rocblas_internal_gemmt_kernelIiLi16ELi32ELi8ELc84ELc78ELc76ELb0ELb0EffPKPKfPKPfEviT_T9_T10_S7_lS9_S7_lS8_T11_S7_li
    .private_segment_fixed_size: 0
    .sgpr_count:     26
    .sgpr_spill_count: 0
    .symbol:         _ZL29rocblas_internal_gemmt_kernelIiLi16ELi32ELi8ELc84ELc78ELc76ELb0ELb0EffPKPKfPKPfEviT_T9_T10_S7_lS9_S7_lS8_T11_S7_li.kd
    .uniform_work_group_size: 1
    .uses_dynamic_stack: false
    .vgpr_count:     42
    .vgpr_spill_count: 0
    .wavefront_size: 32
    .workgroup_processor_mode: 1
  - .args:
      - .offset:         0
        .size:           4
        .value_kind:     by_value
      - .offset:         4
        .size:           4
        .value_kind:     by_value
      - .offset:         8
        .size:           4
        .value_kind:     by_value
      - .address_space:  global
        .offset:         16
        .size:           8
        .value_kind:     global_buffer
      - .offset:         24
        .size:           4
        .value_kind:     by_value
      - .offset:         32
        .size:           8
        .value_kind:     by_value
      - .address_space:  global
        .offset:         40
        .size:           8
        .value_kind:     global_buffer
      - .offset:         48
        .size:           4
        .value_kind:     by_value
      - .offset:         56
        .size:           8
        .value_kind:     by_value
      - .offset:         64
        .size:           4
        .value_kind:     by_value
      - .address_space:  global
        .offset:         72
        .size:           8
        .value_kind:     global_buffer
      - .offset:         80
        .size:           4
        .value_kind:     by_value
      - .offset:         88
        .size:           8
        .value_kind:     by_value
      - .offset:         96
        .size:           4
        .value_kind:     by_value
    .group_segment_fixed_size: 2048
    .kernarg_segment_align: 8
    .kernarg_segment_size: 100
    .language:       OpenCL C
    .language_version:
      - 2
      - 0
    .max_flat_workgroup_size: 256
    .name:           _ZL29rocblas_internal_gemmt_kernelIiLi16ELi32ELi8ELc84ELc84ELc76ELb0ELb0EffPKPKfPKPfEviT_T9_T10_S7_lS9_S7_lS8_T11_S7_li
    .private_segment_fixed_size: 0
    .sgpr_count:     26
    .sgpr_spill_count: 0
    .symbol:         _ZL29rocblas_internal_gemmt_kernelIiLi16ELi32ELi8ELc84ELc84ELc76ELb0ELb0EffPKPKfPKPfEviT_T9_T10_S7_lS9_S7_lS8_T11_S7_li.kd
    .uniform_work_group_size: 1
    .uses_dynamic_stack: false
    .vgpr_count:     42
    .vgpr_spill_count: 0
    .wavefront_size: 32
    .workgroup_processor_mode: 1
  - .args:
      - .offset:         0
        .size:           4
        .value_kind:     by_value
      - .offset:         4
        .size:           4
        .value_kind:     by_value
      - .offset:         8
        .size:           4
        .value_kind:     by_value
      - .address_space:  global
        .offset:         16
        .size:           8
        .value_kind:     global_buffer
      - .offset:         24
        .size:           4
        .value_kind:     by_value
      - .offset:         32
        .size:           8
        .value_kind:     by_value
      - .address_space:  global
        .offset:         40
        .size:           8
        .value_kind:     global_buffer
      - .offset:         48
        .size:           4
        .value_kind:     by_value
      - .offset:         56
        .size:           8
        .value_kind:     by_value
      - .offset:         64
        .size:           4
        .value_kind:     by_value
      - .address_space:  global
        .offset:         72
        .size:           8
        .value_kind:     global_buffer
      - .offset:         80
        .size:           4
        .value_kind:     by_value
      - .offset:         88
        .size:           8
        .value_kind:     by_value
      - .offset:         96
        .size:           4
        .value_kind:     by_value
    .group_segment_fixed_size: 2048
    .kernarg_segment_align: 8
    .kernarg_segment_size: 100
    .language:       OpenCL C
    .language_version:
      - 2
      - 0
    .max_flat_workgroup_size: 256
    .name:           _ZL29rocblas_internal_gemmt_kernelIiLi16ELi32ELi8ELc84ELc67ELc76ELb0ELb0EffPKPKfPKPfEviT_T9_T10_S7_lS9_S7_lS8_T11_S7_li
    .private_segment_fixed_size: 0
    .sgpr_count:     26
    .sgpr_spill_count: 0
    .symbol:         _ZL29rocblas_internal_gemmt_kernelIiLi16ELi32ELi8ELc84ELc67ELc76ELb0ELb0EffPKPKfPKPfEviT_T9_T10_S7_lS9_S7_lS8_T11_S7_li.kd
    .uniform_work_group_size: 1
    .uses_dynamic_stack: false
    .vgpr_count:     42
    .vgpr_spill_count: 0
    .wavefront_size: 32
    .workgroup_processor_mode: 1
  - .args:
      - .offset:         0
        .size:           4
        .value_kind:     by_value
      - .offset:         4
        .size:           4
        .value_kind:     by_value
      - .offset:         8
        .size:           4
        .value_kind:     by_value
      - .address_space:  global
        .offset:         16
        .size:           8
        .value_kind:     global_buffer
      - .offset:         24
        .size:           4
        .value_kind:     by_value
      - .offset:         32
        .size:           8
        .value_kind:     by_value
      - .address_space:  global
        .offset:         40
        .size:           8
        .value_kind:     global_buffer
      - .offset:         48
        .size:           4
        .value_kind:     by_value
      - .offset:         56
        .size:           8
        .value_kind:     by_value
      - .offset:         64
        .size:           4
        .value_kind:     by_value
      - .address_space:  global
        .offset:         72
        .size:           8
        .value_kind:     global_buffer
      - .offset:         80
        .size:           4
        .value_kind:     by_value
      - .offset:         88
        .size:           8
        .value_kind:     by_value
      - .offset:         96
        .size:           4
        .value_kind:     by_value
    .group_segment_fixed_size: 2048
    .kernarg_segment_align: 8
    .kernarg_segment_size: 100
    .language:       OpenCL C
    .language_version:
      - 2
      - 0
    .max_flat_workgroup_size: 256
    .name:           _ZL29rocblas_internal_gemmt_kernelIiLi16ELi32ELi8ELc67ELc78ELc76ELb0ELb0EffPKPKfPKPfEviT_T9_T10_S7_lS9_S7_lS8_T11_S7_li
    .private_segment_fixed_size: 0
    .sgpr_count:     26
    .sgpr_spill_count: 0
    .symbol:         _ZL29rocblas_internal_gemmt_kernelIiLi16ELi32ELi8ELc67ELc78ELc76ELb0ELb0EffPKPKfPKPfEviT_T9_T10_S7_lS9_S7_lS8_T11_S7_li.kd
    .uniform_work_group_size: 1
    .uses_dynamic_stack: false
    .vgpr_count:     42
    .vgpr_spill_count: 0
    .wavefront_size: 32
    .workgroup_processor_mode: 1
  - .args:
      - .offset:         0
        .size:           4
        .value_kind:     by_value
      - .offset:         4
        .size:           4
        .value_kind:     by_value
      - .offset:         8
        .size:           4
        .value_kind:     by_value
      - .address_space:  global
        .offset:         16
        .size:           8
        .value_kind:     global_buffer
      - .offset:         24
        .size:           4
        .value_kind:     by_value
      - .offset:         32
        .size:           8
        .value_kind:     by_value
      - .address_space:  global
        .offset:         40
        .size:           8
        .value_kind:     global_buffer
      - .offset:         48
        .size:           4
        .value_kind:     by_value
      - .offset:         56
        .size:           8
        .value_kind:     by_value
      - .offset:         64
        .size:           4
        .value_kind:     by_value
      - .address_space:  global
        .offset:         72
        .size:           8
        .value_kind:     global_buffer
      - .offset:         80
        .size:           4
        .value_kind:     by_value
      - .offset:         88
        .size:           8
        .value_kind:     by_value
      - .offset:         96
        .size:           4
        .value_kind:     by_value
    .group_segment_fixed_size: 2048
    .kernarg_segment_align: 8
    .kernarg_segment_size: 100
    .language:       OpenCL C
    .language_version:
      - 2
      - 0
    .max_flat_workgroup_size: 256
    .name:           _ZL29rocblas_internal_gemmt_kernelIiLi16ELi32ELi8ELc67ELc84ELc76ELb0ELb0EffPKPKfPKPfEviT_T9_T10_S7_lS9_S7_lS8_T11_S7_li
    .private_segment_fixed_size: 0
    .sgpr_count:     26
    .sgpr_spill_count: 0
    .symbol:         _ZL29rocblas_internal_gemmt_kernelIiLi16ELi32ELi8ELc67ELc84ELc76ELb0ELb0EffPKPKfPKPfEviT_T9_T10_S7_lS9_S7_lS8_T11_S7_li.kd
    .uniform_work_group_size: 1
    .uses_dynamic_stack: false
    .vgpr_count:     42
    .vgpr_spill_count: 0
    .wavefront_size: 32
    .workgroup_processor_mode: 1
  - .args:
      - .offset:         0
        .size:           4
        .value_kind:     by_value
      - .offset:         4
        .size:           4
        .value_kind:     by_value
      - .offset:         8
        .size:           4
        .value_kind:     by_value
      - .address_space:  global
        .offset:         16
        .size:           8
        .value_kind:     global_buffer
      - .offset:         24
        .size:           4
        .value_kind:     by_value
      - .offset:         32
        .size:           8
        .value_kind:     by_value
      - .address_space:  global
        .offset:         40
        .size:           8
        .value_kind:     global_buffer
      - .offset:         48
        .size:           4
        .value_kind:     by_value
      - .offset:         56
        .size:           8
        .value_kind:     by_value
      - .offset:         64
        .size:           4
        .value_kind:     by_value
      - .address_space:  global
        .offset:         72
        .size:           8
        .value_kind:     global_buffer
      - .offset:         80
        .size:           4
        .value_kind:     by_value
      - .offset:         88
        .size:           8
        .value_kind:     by_value
      - .offset:         96
        .size:           4
        .value_kind:     by_value
    .group_segment_fixed_size: 2048
    .kernarg_segment_align: 8
    .kernarg_segment_size: 100
    .language:       OpenCL C
    .language_version:
      - 2
      - 0
    .max_flat_workgroup_size: 256
    .name:           _ZL29rocblas_internal_gemmt_kernelIiLi16ELi32ELi8ELc67ELc67ELc76ELb0ELb0EffPKPKfPKPfEviT_T9_T10_S7_lS9_S7_lS8_T11_S7_li
    .private_segment_fixed_size: 0
    .sgpr_count:     26
    .sgpr_spill_count: 0
    .symbol:         _ZL29rocblas_internal_gemmt_kernelIiLi16ELi32ELi8ELc67ELc67ELc76ELb0ELb0EffPKPKfPKPfEviT_T9_T10_S7_lS9_S7_lS8_T11_S7_li.kd
    .uniform_work_group_size: 1
    .uses_dynamic_stack: false
    .vgpr_count:     42
    .vgpr_spill_count: 0
    .wavefront_size: 32
    .workgroup_processor_mode: 1
  - .args:
      - .offset:         0
        .size:           4
        .value_kind:     by_value
      - .offset:         4
        .size:           4
        .value_kind:     by_value
      - .address_space:  global
        .offset:         8
        .size:           8
        .value_kind:     global_buffer
      - .address_space:  global
        .offset:         16
        .size:           8
        .value_kind:     global_buffer
      - .offset:         24
        .size:           4
        .value_kind:     by_value
      - .offset:         32
        .size:           8
        .value_kind:     by_value
      - .address_space:  global
        .offset:         40
        .size:           8
        .value_kind:     global_buffer
      - .offset:         48
        .size:           4
        .value_kind:     by_value
      - .offset:         56
        .size:           8
        .value_kind:     by_value
      - .address_space:  global
        .offset:         64
        .size:           8
        .value_kind:     global_buffer
      - .address_space:  global
        .offset:         72
        .size:           8
        .value_kind:     global_buffer
      - .offset:         80
        .size:           4
        .value_kind:     by_value
      - .offset:         88
        .size:           8
        .value_kind:     by_value
      - .offset:         96
        .size:           4
        .value_kind:     by_value
    .group_segment_fixed_size: 4096
    .kernarg_segment_align: 8
    .kernarg_segment_size: 100
    .language:       OpenCL C
    .language_version:
      - 2
      - 0
    .max_flat_workgroup_size: 256
    .name:           _ZL29rocblas_internal_gemmt_kernelIiLi16ELi32ELi8ELc78ELc78ELc85ELb0ELb0EdPKdPKS1_PKPdEviT_T9_T10_S7_lS9_S7_lS8_T11_S7_li
    .private_segment_fixed_size: 0
    .sgpr_count:     29
    .sgpr_spill_count: 0
    .symbol:         _ZL29rocblas_internal_gemmt_kernelIiLi16ELi32ELi8ELc78ELc78ELc85ELb0ELb0EdPKdPKS1_PKPdEviT_T9_T10_S7_lS9_S7_lS8_T11_S7_li.kd
    .uniform_work_group_size: 1
    .uses_dynamic_stack: false
    .vgpr_count:     44
    .vgpr_spill_count: 0
    .wavefront_size: 32
    .workgroup_processor_mode: 1
  - .args:
      - .offset:         0
        .size:           4
        .value_kind:     by_value
      - .offset:         4
        .size:           4
        .value_kind:     by_value
      - .address_space:  global
        .offset:         8
        .size:           8
        .value_kind:     global_buffer
      - .address_space:  global
        .offset:         16
        .size:           8
        .value_kind:     global_buffer
      - .offset:         24
        .size:           4
        .value_kind:     by_value
      - .offset:         32
        .size:           8
        .value_kind:     by_value
      - .address_space:  global
        .offset:         40
        .size:           8
        .value_kind:     global_buffer
      - .offset:         48
        .size:           4
        .value_kind:     by_value
      - .offset:         56
        .size:           8
        .value_kind:     by_value
      - .address_space:  global
        .offset:         64
        .size:           8
        .value_kind:     global_buffer
      - .address_space:  global
        .offset:         72
        .size:           8
        .value_kind:     global_buffer
      - .offset:         80
        .size:           4
        .value_kind:     by_value
      - .offset:         88
        .size:           8
        .value_kind:     by_value
      - .offset:         96
        .size:           4
        .value_kind:     by_value
    .group_segment_fixed_size: 4096
    .kernarg_segment_align: 8
    .kernarg_segment_size: 100
    .language:       OpenCL C
    .language_version:
      - 2
      - 0
    .max_flat_workgroup_size: 256
    .name:           _ZL29rocblas_internal_gemmt_kernelIiLi16ELi32ELi8ELc78ELc84ELc85ELb0ELb0EdPKdPKS1_PKPdEviT_T9_T10_S7_lS9_S7_lS8_T11_S7_li
    .private_segment_fixed_size: 0
    .sgpr_count:     31
    .sgpr_spill_count: 0
    .symbol:         _ZL29rocblas_internal_gemmt_kernelIiLi16ELi32ELi8ELc78ELc84ELc85ELb0ELb0EdPKdPKS1_PKPdEviT_T9_T10_S7_lS9_S7_lS8_T11_S7_li.kd
    .uniform_work_group_size: 1
    .uses_dynamic_stack: false
    .vgpr_count:     44
    .vgpr_spill_count: 0
    .wavefront_size: 32
    .workgroup_processor_mode: 1
  - .args:
      - .offset:         0
        .size:           4
        .value_kind:     by_value
      - .offset:         4
        .size:           4
        .value_kind:     by_value
      - .address_space:  global
        .offset:         8
        .size:           8
        .value_kind:     global_buffer
      - .address_space:  global
        .offset:         16
        .size:           8
        .value_kind:     global_buffer
      - .offset:         24
        .size:           4
        .value_kind:     by_value
      - .offset:         32
        .size:           8
        .value_kind:     by_value
      - .address_space:  global
        .offset:         40
        .size:           8
        .value_kind:     global_buffer
      - .offset:         48
        .size:           4
        .value_kind:     by_value
      - .offset:         56
        .size:           8
        .value_kind:     by_value
      - .address_space:  global
        .offset:         64
        .size:           8
        .value_kind:     global_buffer
      - .address_space:  global
        .offset:         72
        .size:           8
        .value_kind:     global_buffer
      - .offset:         80
        .size:           4
        .value_kind:     by_value
      - .offset:         88
        .size:           8
        .value_kind:     by_value
      - .offset:         96
        .size:           4
        .value_kind:     by_value
    .group_segment_fixed_size: 4096
    .kernarg_segment_align: 8
    .kernarg_segment_size: 100
    .language:       OpenCL C
    .language_version:
      - 2
      - 0
    .max_flat_workgroup_size: 256
    .name:           _ZL29rocblas_internal_gemmt_kernelIiLi16ELi32ELi8ELc78ELc67ELc85ELb0ELb0EdPKdPKS1_PKPdEviT_T9_T10_S7_lS9_S7_lS8_T11_S7_li
    .private_segment_fixed_size: 0
    .sgpr_count:     31
    .sgpr_spill_count: 0
    .symbol:         _ZL29rocblas_internal_gemmt_kernelIiLi16ELi32ELi8ELc78ELc67ELc85ELb0ELb0EdPKdPKS1_PKPdEviT_T9_T10_S7_lS9_S7_lS8_T11_S7_li.kd
    .uniform_work_group_size: 1
    .uses_dynamic_stack: false
    .vgpr_count:     44
    .vgpr_spill_count: 0
    .wavefront_size: 32
    .workgroup_processor_mode: 1
  - .args:
      - .offset:         0
        .size:           4
        .value_kind:     by_value
      - .offset:         4
        .size:           4
        .value_kind:     by_value
      - .address_space:  global
        .offset:         8
        .size:           8
        .value_kind:     global_buffer
      - .address_space:  global
        .offset:         16
        .size:           8
        .value_kind:     global_buffer
      - .offset:         24
        .size:           4
        .value_kind:     by_value
      - .offset:         32
        .size:           8
        .value_kind:     by_value
      - .address_space:  global
        .offset:         40
        .size:           8
        .value_kind:     global_buffer
      - .offset:         48
        .size:           4
        .value_kind:     by_value
      - .offset:         56
        .size:           8
        .value_kind:     by_value
      - .address_space:  global
        .offset:         64
        .size:           8
        .value_kind:     global_buffer
      - .address_space:  global
        .offset:         72
        .size:           8
        .value_kind:     global_buffer
      - .offset:         80
        .size:           4
        .value_kind:     by_value
      - .offset:         88
        .size:           8
        .value_kind:     by_value
      - .offset:         96
        .size:           4
        .value_kind:     by_value
    .group_segment_fixed_size: 4096
    .kernarg_segment_align: 8
    .kernarg_segment_size: 100
    .language:       OpenCL C
    .language_version:
      - 2
      - 0
    .max_flat_workgroup_size: 256
    .name:           _ZL29rocblas_internal_gemmt_kernelIiLi16ELi32ELi8ELc84ELc78ELc85ELb0ELb0EdPKdPKS1_PKPdEviT_T9_T10_S7_lS9_S7_lS8_T11_S7_li
    .private_segment_fixed_size: 0
    .sgpr_count:     27
    .sgpr_spill_count: 0
    .symbol:         _ZL29rocblas_internal_gemmt_kernelIiLi16ELi32ELi8ELc84ELc78ELc85ELb0ELb0EdPKdPKS1_PKPdEviT_T9_T10_S7_lS9_S7_lS8_T11_S7_li.kd
    .uniform_work_group_size: 1
    .uses_dynamic_stack: false
    .vgpr_count:     44
    .vgpr_spill_count: 0
    .wavefront_size: 32
    .workgroup_processor_mode: 1
  - .args:
      - .offset:         0
        .size:           4
        .value_kind:     by_value
      - .offset:         4
        .size:           4
        .value_kind:     by_value
      - .address_space:  global
        .offset:         8
        .size:           8
        .value_kind:     global_buffer
      - .address_space:  global
        .offset:         16
        .size:           8
        .value_kind:     global_buffer
      - .offset:         24
        .size:           4
        .value_kind:     by_value
      - .offset:         32
        .size:           8
        .value_kind:     by_value
      - .address_space:  global
        .offset:         40
        .size:           8
        .value_kind:     global_buffer
      - .offset:         48
        .size:           4
        .value_kind:     by_value
      - .offset:         56
        .size:           8
        .value_kind:     by_value
      - .address_space:  global
        .offset:         64
        .size:           8
        .value_kind:     global_buffer
      - .address_space:  global
        .offset:         72
        .size:           8
        .value_kind:     global_buffer
      - .offset:         80
        .size:           4
        .value_kind:     by_value
      - .offset:         88
        .size:           8
        .value_kind:     by_value
      - .offset:         96
        .size:           4
        .value_kind:     by_value
    .group_segment_fixed_size: 4096
    .kernarg_segment_align: 8
    .kernarg_segment_size: 100
    .language:       OpenCL C
    .language_version:
      - 2
      - 0
    .max_flat_workgroup_size: 256
    .name:           _ZL29rocblas_internal_gemmt_kernelIiLi16ELi32ELi8ELc84ELc84ELc85ELb0ELb0EdPKdPKS1_PKPdEviT_T9_T10_S7_lS9_S7_lS8_T11_S7_li
    .private_segment_fixed_size: 0
    .sgpr_count:     29
    .sgpr_spill_count: 0
    .symbol:         _ZL29rocblas_internal_gemmt_kernelIiLi16ELi32ELi8ELc84ELc84ELc85ELb0ELb0EdPKdPKS1_PKPdEviT_T9_T10_S7_lS9_S7_lS8_T11_S7_li.kd
    .uniform_work_group_size: 1
    .uses_dynamic_stack: false
    .vgpr_count:     44
    .vgpr_spill_count: 0
    .wavefront_size: 32
    .workgroup_processor_mode: 1
  - .args:
      - .offset:         0
        .size:           4
        .value_kind:     by_value
      - .offset:         4
        .size:           4
        .value_kind:     by_value
      - .address_space:  global
        .offset:         8
        .size:           8
        .value_kind:     global_buffer
      - .address_space:  global
        .offset:         16
        .size:           8
        .value_kind:     global_buffer
      - .offset:         24
        .size:           4
        .value_kind:     by_value
      - .offset:         32
        .size:           8
        .value_kind:     by_value
      - .address_space:  global
        .offset:         40
        .size:           8
        .value_kind:     global_buffer
      - .offset:         48
        .size:           4
        .value_kind:     by_value
      - .offset:         56
        .size:           8
        .value_kind:     by_value
      - .address_space:  global
        .offset:         64
        .size:           8
        .value_kind:     global_buffer
      - .address_space:  global
        .offset:         72
        .size:           8
        .value_kind:     global_buffer
      - .offset:         80
        .size:           4
        .value_kind:     by_value
      - .offset:         88
        .size:           8
        .value_kind:     by_value
      - .offset:         96
        .size:           4
        .value_kind:     by_value
    .group_segment_fixed_size: 4096
    .kernarg_segment_align: 8
    .kernarg_segment_size: 100
    .language:       OpenCL C
    .language_version:
      - 2
      - 0
    .max_flat_workgroup_size: 256
    .name:           _ZL29rocblas_internal_gemmt_kernelIiLi16ELi32ELi8ELc84ELc67ELc85ELb0ELb0EdPKdPKS1_PKPdEviT_T9_T10_S7_lS9_S7_lS8_T11_S7_li
    .private_segment_fixed_size: 0
    .sgpr_count:     29
    .sgpr_spill_count: 0
    .symbol:         _ZL29rocblas_internal_gemmt_kernelIiLi16ELi32ELi8ELc84ELc67ELc85ELb0ELb0EdPKdPKS1_PKPdEviT_T9_T10_S7_lS9_S7_lS8_T11_S7_li.kd
    .uniform_work_group_size: 1
    .uses_dynamic_stack: false
    .vgpr_count:     44
    .vgpr_spill_count: 0
    .wavefront_size: 32
    .workgroup_processor_mode: 1
  - .args:
      - .offset:         0
        .size:           4
        .value_kind:     by_value
      - .offset:         4
        .size:           4
        .value_kind:     by_value
      - .address_space:  global
        .offset:         8
        .size:           8
        .value_kind:     global_buffer
      - .address_space:  global
        .offset:         16
        .size:           8
        .value_kind:     global_buffer
      - .offset:         24
        .size:           4
        .value_kind:     by_value
      - .offset:         32
        .size:           8
        .value_kind:     by_value
      - .address_space:  global
        .offset:         40
        .size:           8
        .value_kind:     global_buffer
      - .offset:         48
        .size:           4
        .value_kind:     by_value
      - .offset:         56
        .size:           8
        .value_kind:     by_value
      - .address_space:  global
        .offset:         64
        .size:           8
        .value_kind:     global_buffer
      - .address_space:  global
        .offset:         72
        .size:           8
        .value_kind:     global_buffer
      - .offset:         80
        .size:           4
        .value_kind:     by_value
      - .offset:         88
        .size:           8
        .value_kind:     by_value
      - .offset:         96
        .size:           4
        .value_kind:     by_value
    .group_segment_fixed_size: 4096
    .kernarg_segment_align: 8
    .kernarg_segment_size: 100
    .language:       OpenCL C
    .language_version:
      - 2
      - 0
    .max_flat_workgroup_size: 256
    .name:           _ZL29rocblas_internal_gemmt_kernelIiLi16ELi32ELi8ELc67ELc78ELc85ELb0ELb0EdPKdPKS1_PKPdEviT_T9_T10_S7_lS9_S7_lS8_T11_S7_li
    .private_segment_fixed_size: 0
    .sgpr_count:     27
    .sgpr_spill_count: 0
    .symbol:         _ZL29rocblas_internal_gemmt_kernelIiLi16ELi32ELi8ELc67ELc78ELc85ELb0ELb0EdPKdPKS1_PKPdEviT_T9_T10_S7_lS9_S7_lS8_T11_S7_li.kd
    .uniform_work_group_size: 1
    .uses_dynamic_stack: false
    .vgpr_count:     44
    .vgpr_spill_count: 0
    .wavefront_size: 32
    .workgroup_processor_mode: 1
  - .args:
      - .offset:         0
        .size:           4
        .value_kind:     by_value
      - .offset:         4
        .size:           4
        .value_kind:     by_value
      - .address_space:  global
        .offset:         8
        .size:           8
        .value_kind:     global_buffer
      - .address_space:  global
        .offset:         16
        .size:           8
        .value_kind:     global_buffer
      - .offset:         24
        .size:           4
        .value_kind:     by_value
      - .offset:         32
        .size:           8
        .value_kind:     by_value
      - .address_space:  global
        .offset:         40
        .size:           8
        .value_kind:     global_buffer
      - .offset:         48
        .size:           4
        .value_kind:     by_value
      - .offset:         56
        .size:           8
        .value_kind:     by_value
      - .address_space:  global
        .offset:         64
        .size:           8
        .value_kind:     global_buffer
      - .address_space:  global
        .offset:         72
        .size:           8
        .value_kind:     global_buffer
      - .offset:         80
        .size:           4
        .value_kind:     by_value
      - .offset:         88
        .size:           8
        .value_kind:     by_value
      - .offset:         96
        .size:           4
        .value_kind:     by_value
    .group_segment_fixed_size: 4096
    .kernarg_segment_align: 8
    .kernarg_segment_size: 100
    .language:       OpenCL C
    .language_version:
      - 2
      - 0
    .max_flat_workgroup_size: 256
    .name:           _ZL29rocblas_internal_gemmt_kernelIiLi16ELi32ELi8ELc67ELc84ELc85ELb0ELb0EdPKdPKS1_PKPdEviT_T9_T10_S7_lS9_S7_lS8_T11_S7_li
    .private_segment_fixed_size: 0
    .sgpr_count:     29
    .sgpr_spill_count: 0
    .symbol:         _ZL29rocblas_internal_gemmt_kernelIiLi16ELi32ELi8ELc67ELc84ELc85ELb0ELb0EdPKdPKS1_PKPdEviT_T9_T10_S7_lS9_S7_lS8_T11_S7_li.kd
    .uniform_work_group_size: 1
    .uses_dynamic_stack: false
    .vgpr_count:     44
    .vgpr_spill_count: 0
    .wavefront_size: 32
    .workgroup_processor_mode: 1
  - .args:
      - .offset:         0
        .size:           4
        .value_kind:     by_value
      - .offset:         4
        .size:           4
        .value_kind:     by_value
      - .address_space:  global
        .offset:         8
        .size:           8
        .value_kind:     global_buffer
      - .address_space:  global
        .offset:         16
        .size:           8
        .value_kind:     global_buffer
      - .offset:         24
        .size:           4
        .value_kind:     by_value
      - .offset:         32
        .size:           8
        .value_kind:     by_value
      - .address_space:  global
        .offset:         40
        .size:           8
        .value_kind:     global_buffer
      - .offset:         48
        .size:           4
        .value_kind:     by_value
      - .offset:         56
        .size:           8
        .value_kind:     by_value
      - .address_space:  global
        .offset:         64
        .size:           8
        .value_kind:     global_buffer
      - .address_space:  global
        .offset:         72
        .size:           8
        .value_kind:     global_buffer
      - .offset:         80
        .size:           4
        .value_kind:     by_value
      - .offset:         88
        .size:           8
        .value_kind:     by_value
      - .offset:         96
        .size:           4
        .value_kind:     by_value
    .group_segment_fixed_size: 4096
    .kernarg_segment_align: 8
    .kernarg_segment_size: 100
    .language:       OpenCL C
    .language_version:
      - 2
      - 0
    .max_flat_workgroup_size: 256
    .name:           _ZL29rocblas_internal_gemmt_kernelIiLi16ELi32ELi8ELc67ELc67ELc85ELb0ELb0EdPKdPKS1_PKPdEviT_T9_T10_S7_lS9_S7_lS8_T11_S7_li
    .private_segment_fixed_size: 0
    .sgpr_count:     29
    .sgpr_spill_count: 0
    .symbol:         _ZL29rocblas_internal_gemmt_kernelIiLi16ELi32ELi8ELc67ELc67ELc85ELb0ELb0EdPKdPKS1_PKPdEviT_T9_T10_S7_lS9_S7_lS8_T11_S7_li.kd
    .uniform_work_group_size: 1
    .uses_dynamic_stack: false
    .vgpr_count:     44
    .vgpr_spill_count: 0
    .wavefront_size: 32
    .workgroup_processor_mode: 1
  - .args:
      - .offset:         0
        .size:           4
        .value_kind:     by_value
      - .offset:         4
        .size:           4
        .value_kind:     by_value
      - .address_space:  global
        .offset:         8
        .size:           8
        .value_kind:     global_buffer
      - .address_space:  global
        .offset:         16
        .size:           8
        .value_kind:     global_buffer
      - .offset:         24
        .size:           4
        .value_kind:     by_value
      - .offset:         32
        .size:           8
        .value_kind:     by_value
      - .address_space:  global
        .offset:         40
        .size:           8
        .value_kind:     global_buffer
      - .offset:         48
        .size:           4
        .value_kind:     by_value
      - .offset:         56
        .size:           8
        .value_kind:     by_value
      - .address_space:  global
        .offset:         64
        .size:           8
        .value_kind:     global_buffer
      - .address_space:  global
        .offset:         72
        .size:           8
        .value_kind:     global_buffer
      - .offset:         80
        .size:           4
        .value_kind:     by_value
      - .offset:         88
        .size:           8
        .value_kind:     by_value
      - .offset:         96
        .size:           4
        .value_kind:     by_value
    .group_segment_fixed_size: 4096
    .kernarg_segment_align: 8
    .kernarg_segment_size: 100
    .language:       OpenCL C
    .language_version:
      - 2
      - 0
    .max_flat_workgroup_size: 256
    .name:           _ZL29rocblas_internal_gemmt_kernelIiLi16ELi32ELi8ELc78ELc78ELc76ELb0ELb0EdPKdPKS1_PKPdEviT_T9_T10_S7_lS9_S7_lS8_T11_S7_li
    .private_segment_fixed_size: 0
    .sgpr_count:     29
    .sgpr_spill_count: 0
    .symbol:         _ZL29rocblas_internal_gemmt_kernelIiLi16ELi32ELi8ELc78ELc78ELc76ELb0ELb0EdPKdPKS1_PKPdEviT_T9_T10_S7_lS9_S7_lS8_T11_S7_li.kd
    .uniform_work_group_size: 1
    .uses_dynamic_stack: false
    .vgpr_count:     44
    .vgpr_spill_count: 0
    .wavefront_size: 32
    .workgroup_processor_mode: 1
  - .args:
      - .offset:         0
        .size:           4
        .value_kind:     by_value
      - .offset:         4
        .size:           4
        .value_kind:     by_value
      - .address_space:  global
        .offset:         8
        .size:           8
        .value_kind:     global_buffer
      - .address_space:  global
        .offset:         16
        .size:           8
        .value_kind:     global_buffer
      - .offset:         24
        .size:           4
        .value_kind:     by_value
      - .offset:         32
        .size:           8
        .value_kind:     by_value
      - .address_space:  global
        .offset:         40
        .size:           8
        .value_kind:     global_buffer
      - .offset:         48
        .size:           4
        .value_kind:     by_value
      - .offset:         56
        .size:           8
        .value_kind:     by_value
      - .address_space:  global
        .offset:         64
        .size:           8
        .value_kind:     global_buffer
      - .address_space:  global
        .offset:         72
        .size:           8
        .value_kind:     global_buffer
      - .offset:         80
        .size:           4
        .value_kind:     by_value
      - .offset:         88
        .size:           8
        .value_kind:     by_value
      - .offset:         96
        .size:           4
        .value_kind:     by_value
    .group_segment_fixed_size: 4096
    .kernarg_segment_align: 8
    .kernarg_segment_size: 100
    .language:       OpenCL C
    .language_version:
      - 2
      - 0
    .max_flat_workgroup_size: 256
    .name:           _ZL29rocblas_internal_gemmt_kernelIiLi16ELi32ELi8ELc78ELc84ELc76ELb0ELb0EdPKdPKS1_PKPdEviT_T9_T10_S7_lS9_S7_lS8_T11_S7_li
    .private_segment_fixed_size: 0
    .sgpr_count:     31
    .sgpr_spill_count: 0
    .symbol:         _ZL29rocblas_internal_gemmt_kernelIiLi16ELi32ELi8ELc78ELc84ELc76ELb0ELb0EdPKdPKS1_PKPdEviT_T9_T10_S7_lS9_S7_lS8_T11_S7_li.kd
    .uniform_work_group_size: 1
    .uses_dynamic_stack: false
    .vgpr_count:     44
    .vgpr_spill_count: 0
    .wavefront_size: 32
    .workgroup_processor_mode: 1
  - .args:
      - .offset:         0
        .size:           4
        .value_kind:     by_value
      - .offset:         4
        .size:           4
        .value_kind:     by_value
      - .address_space:  global
        .offset:         8
        .size:           8
        .value_kind:     global_buffer
      - .address_space:  global
        .offset:         16
        .size:           8
        .value_kind:     global_buffer
      - .offset:         24
        .size:           4
        .value_kind:     by_value
      - .offset:         32
        .size:           8
        .value_kind:     by_value
      - .address_space:  global
        .offset:         40
        .size:           8
        .value_kind:     global_buffer
      - .offset:         48
        .size:           4
        .value_kind:     by_value
      - .offset:         56
        .size:           8
        .value_kind:     by_value
      - .address_space:  global
        .offset:         64
        .size:           8
        .value_kind:     global_buffer
      - .address_space:  global
        .offset:         72
        .size:           8
        .value_kind:     global_buffer
      - .offset:         80
        .size:           4
        .value_kind:     by_value
      - .offset:         88
        .size:           8
        .value_kind:     by_value
      - .offset:         96
        .size:           4
        .value_kind:     by_value
    .group_segment_fixed_size: 4096
    .kernarg_segment_align: 8
    .kernarg_segment_size: 100
    .language:       OpenCL C
    .language_version:
      - 2
      - 0
    .max_flat_workgroup_size: 256
    .name:           _ZL29rocblas_internal_gemmt_kernelIiLi16ELi32ELi8ELc78ELc67ELc76ELb0ELb0EdPKdPKS1_PKPdEviT_T9_T10_S7_lS9_S7_lS8_T11_S7_li
    .private_segment_fixed_size: 0
    .sgpr_count:     31
    .sgpr_spill_count: 0
    .symbol:         _ZL29rocblas_internal_gemmt_kernelIiLi16ELi32ELi8ELc78ELc67ELc76ELb0ELb0EdPKdPKS1_PKPdEviT_T9_T10_S7_lS9_S7_lS8_T11_S7_li.kd
    .uniform_work_group_size: 1
    .uses_dynamic_stack: false
    .vgpr_count:     44
    .vgpr_spill_count: 0
    .wavefront_size: 32
    .workgroup_processor_mode: 1
  - .args:
      - .offset:         0
        .size:           4
        .value_kind:     by_value
      - .offset:         4
        .size:           4
        .value_kind:     by_value
      - .address_space:  global
        .offset:         8
        .size:           8
        .value_kind:     global_buffer
      - .address_space:  global
        .offset:         16
        .size:           8
        .value_kind:     global_buffer
      - .offset:         24
        .size:           4
        .value_kind:     by_value
      - .offset:         32
        .size:           8
        .value_kind:     by_value
      - .address_space:  global
        .offset:         40
        .size:           8
        .value_kind:     global_buffer
      - .offset:         48
        .size:           4
        .value_kind:     by_value
      - .offset:         56
        .size:           8
        .value_kind:     by_value
      - .address_space:  global
        .offset:         64
        .size:           8
        .value_kind:     global_buffer
      - .address_space:  global
        .offset:         72
        .size:           8
        .value_kind:     global_buffer
      - .offset:         80
        .size:           4
        .value_kind:     by_value
      - .offset:         88
        .size:           8
        .value_kind:     by_value
      - .offset:         96
        .size:           4
        .value_kind:     by_value
    .group_segment_fixed_size: 4096
    .kernarg_segment_align: 8
    .kernarg_segment_size: 100
    .language:       OpenCL C
    .language_version:
      - 2
      - 0
    .max_flat_workgroup_size: 256
    .name:           _ZL29rocblas_internal_gemmt_kernelIiLi16ELi32ELi8ELc84ELc78ELc76ELb0ELb0EdPKdPKS1_PKPdEviT_T9_T10_S7_lS9_S7_lS8_T11_S7_li
    .private_segment_fixed_size: 0
    .sgpr_count:     27
    .sgpr_spill_count: 0
    .symbol:         _ZL29rocblas_internal_gemmt_kernelIiLi16ELi32ELi8ELc84ELc78ELc76ELb0ELb0EdPKdPKS1_PKPdEviT_T9_T10_S7_lS9_S7_lS8_T11_S7_li.kd
    .uniform_work_group_size: 1
    .uses_dynamic_stack: false
    .vgpr_count:     44
    .vgpr_spill_count: 0
    .wavefront_size: 32
    .workgroup_processor_mode: 1
  - .args:
      - .offset:         0
        .size:           4
        .value_kind:     by_value
      - .offset:         4
        .size:           4
        .value_kind:     by_value
      - .address_space:  global
        .offset:         8
        .size:           8
        .value_kind:     global_buffer
      - .address_space:  global
        .offset:         16
        .size:           8
        .value_kind:     global_buffer
      - .offset:         24
        .size:           4
        .value_kind:     by_value
      - .offset:         32
        .size:           8
        .value_kind:     by_value
      - .address_space:  global
        .offset:         40
        .size:           8
        .value_kind:     global_buffer
      - .offset:         48
        .size:           4
        .value_kind:     by_value
      - .offset:         56
        .size:           8
        .value_kind:     by_value
      - .address_space:  global
        .offset:         64
        .size:           8
        .value_kind:     global_buffer
      - .address_space:  global
        .offset:         72
        .size:           8
        .value_kind:     global_buffer
      - .offset:         80
        .size:           4
        .value_kind:     by_value
      - .offset:         88
        .size:           8
        .value_kind:     by_value
      - .offset:         96
        .size:           4
        .value_kind:     by_value
    .group_segment_fixed_size: 4096
    .kernarg_segment_align: 8
    .kernarg_segment_size: 100
    .language:       OpenCL C
    .language_version:
      - 2
      - 0
    .max_flat_workgroup_size: 256
    .name:           _ZL29rocblas_internal_gemmt_kernelIiLi16ELi32ELi8ELc84ELc84ELc76ELb0ELb0EdPKdPKS1_PKPdEviT_T9_T10_S7_lS9_S7_lS8_T11_S7_li
    .private_segment_fixed_size: 0
    .sgpr_count:     29
    .sgpr_spill_count: 0
    .symbol:         _ZL29rocblas_internal_gemmt_kernelIiLi16ELi32ELi8ELc84ELc84ELc76ELb0ELb0EdPKdPKS1_PKPdEviT_T9_T10_S7_lS9_S7_lS8_T11_S7_li.kd
    .uniform_work_group_size: 1
    .uses_dynamic_stack: false
    .vgpr_count:     44
    .vgpr_spill_count: 0
    .wavefront_size: 32
    .workgroup_processor_mode: 1
  - .args:
      - .offset:         0
        .size:           4
        .value_kind:     by_value
      - .offset:         4
        .size:           4
        .value_kind:     by_value
      - .address_space:  global
        .offset:         8
        .size:           8
        .value_kind:     global_buffer
      - .address_space:  global
        .offset:         16
        .size:           8
        .value_kind:     global_buffer
      - .offset:         24
        .size:           4
        .value_kind:     by_value
      - .offset:         32
        .size:           8
        .value_kind:     by_value
      - .address_space:  global
        .offset:         40
        .size:           8
        .value_kind:     global_buffer
      - .offset:         48
        .size:           4
        .value_kind:     by_value
      - .offset:         56
        .size:           8
        .value_kind:     by_value
      - .address_space:  global
        .offset:         64
        .size:           8
        .value_kind:     global_buffer
      - .address_space:  global
        .offset:         72
        .size:           8
        .value_kind:     global_buffer
      - .offset:         80
        .size:           4
        .value_kind:     by_value
      - .offset:         88
        .size:           8
        .value_kind:     by_value
      - .offset:         96
        .size:           4
        .value_kind:     by_value
    .group_segment_fixed_size: 4096
    .kernarg_segment_align: 8
    .kernarg_segment_size: 100
    .language:       OpenCL C
    .language_version:
      - 2
      - 0
    .max_flat_workgroup_size: 256
    .name:           _ZL29rocblas_internal_gemmt_kernelIiLi16ELi32ELi8ELc84ELc67ELc76ELb0ELb0EdPKdPKS1_PKPdEviT_T9_T10_S7_lS9_S7_lS8_T11_S7_li
    .private_segment_fixed_size: 0
    .sgpr_count:     29
    .sgpr_spill_count: 0
    .symbol:         _ZL29rocblas_internal_gemmt_kernelIiLi16ELi32ELi8ELc84ELc67ELc76ELb0ELb0EdPKdPKS1_PKPdEviT_T9_T10_S7_lS9_S7_lS8_T11_S7_li.kd
    .uniform_work_group_size: 1
    .uses_dynamic_stack: false
    .vgpr_count:     44
    .vgpr_spill_count: 0
    .wavefront_size: 32
    .workgroup_processor_mode: 1
  - .args:
      - .offset:         0
        .size:           4
        .value_kind:     by_value
      - .offset:         4
        .size:           4
        .value_kind:     by_value
      - .address_space:  global
        .offset:         8
        .size:           8
        .value_kind:     global_buffer
      - .address_space:  global
        .offset:         16
        .size:           8
        .value_kind:     global_buffer
      - .offset:         24
        .size:           4
        .value_kind:     by_value
      - .offset:         32
        .size:           8
        .value_kind:     by_value
      - .address_space:  global
        .offset:         40
        .size:           8
        .value_kind:     global_buffer
      - .offset:         48
        .size:           4
        .value_kind:     by_value
      - .offset:         56
        .size:           8
        .value_kind:     by_value
      - .address_space:  global
        .offset:         64
        .size:           8
        .value_kind:     global_buffer
      - .address_space:  global
        .offset:         72
        .size:           8
        .value_kind:     global_buffer
      - .offset:         80
        .size:           4
        .value_kind:     by_value
      - .offset:         88
        .size:           8
        .value_kind:     by_value
      - .offset:         96
        .size:           4
        .value_kind:     by_value
    .group_segment_fixed_size: 4096
    .kernarg_segment_align: 8
    .kernarg_segment_size: 100
    .language:       OpenCL C
    .language_version:
      - 2
      - 0
    .max_flat_workgroup_size: 256
    .name:           _ZL29rocblas_internal_gemmt_kernelIiLi16ELi32ELi8ELc67ELc78ELc76ELb0ELb0EdPKdPKS1_PKPdEviT_T9_T10_S7_lS9_S7_lS8_T11_S7_li
    .private_segment_fixed_size: 0
    .sgpr_count:     27
    .sgpr_spill_count: 0
    .symbol:         _ZL29rocblas_internal_gemmt_kernelIiLi16ELi32ELi8ELc67ELc78ELc76ELb0ELb0EdPKdPKS1_PKPdEviT_T9_T10_S7_lS9_S7_lS8_T11_S7_li.kd
    .uniform_work_group_size: 1
    .uses_dynamic_stack: false
    .vgpr_count:     44
    .vgpr_spill_count: 0
    .wavefront_size: 32
    .workgroup_processor_mode: 1
  - .args:
      - .offset:         0
        .size:           4
        .value_kind:     by_value
      - .offset:         4
        .size:           4
        .value_kind:     by_value
      - .address_space:  global
        .offset:         8
        .size:           8
        .value_kind:     global_buffer
      - .address_space:  global
        .offset:         16
        .size:           8
        .value_kind:     global_buffer
      - .offset:         24
        .size:           4
        .value_kind:     by_value
      - .offset:         32
        .size:           8
        .value_kind:     by_value
      - .address_space:  global
        .offset:         40
        .size:           8
        .value_kind:     global_buffer
      - .offset:         48
        .size:           4
        .value_kind:     by_value
      - .offset:         56
        .size:           8
        .value_kind:     by_value
      - .address_space:  global
        .offset:         64
        .size:           8
        .value_kind:     global_buffer
      - .address_space:  global
        .offset:         72
        .size:           8
        .value_kind:     global_buffer
      - .offset:         80
        .size:           4
        .value_kind:     by_value
      - .offset:         88
        .size:           8
        .value_kind:     by_value
      - .offset:         96
        .size:           4
        .value_kind:     by_value
    .group_segment_fixed_size: 4096
    .kernarg_segment_align: 8
    .kernarg_segment_size: 100
    .language:       OpenCL C
    .language_version:
      - 2
      - 0
    .max_flat_workgroup_size: 256
    .name:           _ZL29rocblas_internal_gemmt_kernelIiLi16ELi32ELi8ELc67ELc84ELc76ELb0ELb0EdPKdPKS1_PKPdEviT_T9_T10_S7_lS9_S7_lS8_T11_S7_li
    .private_segment_fixed_size: 0
    .sgpr_count:     29
    .sgpr_spill_count: 0
    .symbol:         _ZL29rocblas_internal_gemmt_kernelIiLi16ELi32ELi8ELc67ELc84ELc76ELb0ELb0EdPKdPKS1_PKPdEviT_T9_T10_S7_lS9_S7_lS8_T11_S7_li.kd
    .uniform_work_group_size: 1
    .uses_dynamic_stack: false
    .vgpr_count:     44
    .vgpr_spill_count: 0
    .wavefront_size: 32
    .workgroup_processor_mode: 1
  - .args:
      - .offset:         0
        .size:           4
        .value_kind:     by_value
      - .offset:         4
        .size:           4
        .value_kind:     by_value
      - .address_space:  global
        .offset:         8
        .size:           8
        .value_kind:     global_buffer
      - .address_space:  global
        .offset:         16
        .size:           8
        .value_kind:     global_buffer
      - .offset:         24
        .size:           4
        .value_kind:     by_value
      - .offset:         32
        .size:           8
        .value_kind:     by_value
      - .address_space:  global
        .offset:         40
        .size:           8
        .value_kind:     global_buffer
      - .offset:         48
        .size:           4
        .value_kind:     by_value
      - .offset:         56
        .size:           8
        .value_kind:     by_value
      - .address_space:  global
        .offset:         64
        .size:           8
        .value_kind:     global_buffer
      - .address_space:  global
        .offset:         72
        .size:           8
        .value_kind:     global_buffer
      - .offset:         80
        .size:           4
        .value_kind:     by_value
      - .offset:         88
        .size:           8
        .value_kind:     by_value
      - .offset:         96
        .size:           4
        .value_kind:     by_value
    .group_segment_fixed_size: 4096
    .kernarg_segment_align: 8
    .kernarg_segment_size: 100
    .language:       OpenCL C
    .language_version:
      - 2
      - 0
    .max_flat_workgroup_size: 256
    .name:           _ZL29rocblas_internal_gemmt_kernelIiLi16ELi32ELi8ELc67ELc67ELc76ELb0ELb0EdPKdPKS1_PKPdEviT_T9_T10_S7_lS9_S7_lS8_T11_S7_li
    .private_segment_fixed_size: 0
    .sgpr_count:     29
    .sgpr_spill_count: 0
    .symbol:         _ZL29rocblas_internal_gemmt_kernelIiLi16ELi32ELi8ELc67ELc67ELc76ELb0ELb0EdPKdPKS1_PKPdEviT_T9_T10_S7_lS9_S7_lS8_T11_S7_li.kd
    .uniform_work_group_size: 1
    .uses_dynamic_stack: false
    .vgpr_count:     44
    .vgpr_spill_count: 0
    .wavefront_size: 32
    .workgroup_processor_mode: 1
  - .args:
      - .offset:         0
        .size:           4
        .value_kind:     by_value
      - .offset:         4
        .size:           4
        .value_kind:     by_value
      - .offset:         8
        .size:           8
        .value_kind:     by_value
      - .address_space:  global
        .offset:         16
        .size:           8
        .value_kind:     global_buffer
      - .offset:         24
        .size:           4
        .value_kind:     by_value
      - .offset:         32
        .size:           8
        .value_kind:     by_value
      - .address_space:  global
        .offset:         40
        .size:           8
        .value_kind:     global_buffer
      - .offset:         48
        .size:           4
        .value_kind:     by_value
      - .offset:         56
        .size:           8
        .value_kind:     by_value
      - .offset:         64
        .size:           8
        .value_kind:     by_value
      - .address_space:  global
        .offset:         72
        .size:           8
        .value_kind:     global_buffer
      - .offset:         80
        .size:           4
        .value_kind:     by_value
      - .offset:         88
        .size:           8
        .value_kind:     by_value
      - .offset:         96
        .size:           4
        .value_kind:     by_value
    .group_segment_fixed_size: 4096
    .kernarg_segment_align: 8
    .kernarg_segment_size: 100
    .language:       OpenCL C
    .language_version:
      - 2
      - 0
    .max_flat_workgroup_size: 256
    .name:           _ZL29rocblas_internal_gemmt_kernelIiLi16ELi32ELi8ELc78ELc78ELc85ELb0ELb0EddPKPKdPKPdEviT_T9_T10_S7_lS9_S7_lS8_T11_S7_li
    .private_segment_fixed_size: 0
    .sgpr_count:     29
    .sgpr_spill_count: 0
    .symbol:         _ZL29rocblas_internal_gemmt_kernelIiLi16ELi32ELi8ELc78ELc78ELc85ELb0ELb0EddPKPKdPKPdEviT_T9_T10_S7_lS9_S7_lS8_T11_S7_li.kd
    .uniform_work_group_size: 1
    .uses_dynamic_stack: false
    .vgpr_count:     44
    .vgpr_spill_count: 0
    .wavefront_size: 32
    .workgroup_processor_mode: 1
  - .args:
      - .offset:         0
        .size:           4
        .value_kind:     by_value
      - .offset:         4
        .size:           4
        .value_kind:     by_value
      - .offset:         8
        .size:           8
        .value_kind:     by_value
      - .address_space:  global
        .offset:         16
        .size:           8
        .value_kind:     global_buffer
      - .offset:         24
        .size:           4
        .value_kind:     by_value
      - .offset:         32
        .size:           8
        .value_kind:     by_value
      - .address_space:  global
        .offset:         40
        .size:           8
        .value_kind:     global_buffer
      - .offset:         48
        .size:           4
        .value_kind:     by_value
      - .offset:         56
        .size:           8
        .value_kind:     by_value
      - .offset:         64
        .size:           8
        .value_kind:     by_value
      - .address_space:  global
        .offset:         72
        .size:           8
        .value_kind:     global_buffer
      - .offset:         80
        .size:           4
        .value_kind:     by_value
      - .offset:         88
        .size:           8
        .value_kind:     by_value
      - .offset:         96
        .size:           4
        .value_kind:     by_value
    .group_segment_fixed_size: 4096
    .kernarg_segment_align: 8
    .kernarg_segment_size: 100
    .language:       OpenCL C
    .language_version:
      - 2
      - 0
    .max_flat_workgroup_size: 256
    .name:           _ZL29rocblas_internal_gemmt_kernelIiLi16ELi32ELi8ELc78ELc84ELc85ELb0ELb0EddPKPKdPKPdEviT_T9_T10_S7_lS9_S7_lS8_T11_S7_li
    .private_segment_fixed_size: 0
    .sgpr_count:     31
    .sgpr_spill_count: 0
    .symbol:         _ZL29rocblas_internal_gemmt_kernelIiLi16ELi32ELi8ELc78ELc84ELc85ELb0ELb0EddPKPKdPKPdEviT_T9_T10_S7_lS9_S7_lS8_T11_S7_li.kd
    .uniform_work_group_size: 1
    .uses_dynamic_stack: false
    .vgpr_count:     44
    .vgpr_spill_count: 0
    .wavefront_size: 32
    .workgroup_processor_mode: 1
  - .args:
      - .offset:         0
        .size:           4
        .value_kind:     by_value
      - .offset:         4
        .size:           4
        .value_kind:     by_value
      - .offset:         8
        .size:           8
        .value_kind:     by_value
      - .address_space:  global
        .offset:         16
        .size:           8
        .value_kind:     global_buffer
      - .offset:         24
        .size:           4
        .value_kind:     by_value
      - .offset:         32
        .size:           8
        .value_kind:     by_value
      - .address_space:  global
        .offset:         40
        .size:           8
        .value_kind:     global_buffer
      - .offset:         48
        .size:           4
        .value_kind:     by_value
      - .offset:         56
        .size:           8
        .value_kind:     by_value
      - .offset:         64
        .size:           8
        .value_kind:     by_value
      - .address_space:  global
        .offset:         72
        .size:           8
        .value_kind:     global_buffer
      - .offset:         80
        .size:           4
        .value_kind:     by_value
      - .offset:         88
        .size:           8
        .value_kind:     by_value
      - .offset:         96
        .size:           4
        .value_kind:     by_value
    .group_segment_fixed_size: 4096
    .kernarg_segment_align: 8
    .kernarg_segment_size: 100
    .language:       OpenCL C
    .language_version:
      - 2
      - 0
    .max_flat_workgroup_size: 256
    .name:           _ZL29rocblas_internal_gemmt_kernelIiLi16ELi32ELi8ELc78ELc67ELc85ELb0ELb0EddPKPKdPKPdEviT_T9_T10_S7_lS9_S7_lS8_T11_S7_li
    .private_segment_fixed_size: 0
    .sgpr_count:     31
    .sgpr_spill_count: 0
    .symbol:         _ZL29rocblas_internal_gemmt_kernelIiLi16ELi32ELi8ELc78ELc67ELc85ELb0ELb0EddPKPKdPKPdEviT_T9_T10_S7_lS9_S7_lS8_T11_S7_li.kd
    .uniform_work_group_size: 1
    .uses_dynamic_stack: false
    .vgpr_count:     44
    .vgpr_spill_count: 0
    .wavefront_size: 32
    .workgroup_processor_mode: 1
  - .args:
      - .offset:         0
        .size:           4
        .value_kind:     by_value
      - .offset:         4
        .size:           4
        .value_kind:     by_value
      - .offset:         8
        .size:           8
        .value_kind:     by_value
      - .address_space:  global
        .offset:         16
        .size:           8
        .value_kind:     global_buffer
      - .offset:         24
        .size:           4
        .value_kind:     by_value
      - .offset:         32
        .size:           8
        .value_kind:     by_value
      - .address_space:  global
        .offset:         40
        .size:           8
        .value_kind:     global_buffer
      - .offset:         48
        .size:           4
        .value_kind:     by_value
      - .offset:         56
        .size:           8
        .value_kind:     by_value
      - .offset:         64
        .size:           8
        .value_kind:     by_value
      - .address_space:  global
        .offset:         72
        .size:           8
        .value_kind:     global_buffer
      - .offset:         80
        .size:           4
        .value_kind:     by_value
      - .offset:         88
        .size:           8
        .value_kind:     by_value
      - .offset:         96
        .size:           4
        .value_kind:     by_value
    .group_segment_fixed_size: 4096
    .kernarg_segment_align: 8
    .kernarg_segment_size: 100
    .language:       OpenCL C
    .language_version:
      - 2
      - 0
    .max_flat_workgroup_size: 256
    .name:           _ZL29rocblas_internal_gemmt_kernelIiLi16ELi32ELi8ELc84ELc78ELc85ELb0ELb0EddPKPKdPKPdEviT_T9_T10_S7_lS9_S7_lS8_T11_S7_li
    .private_segment_fixed_size: 0
    .sgpr_count:     27
    .sgpr_spill_count: 0
    .symbol:         _ZL29rocblas_internal_gemmt_kernelIiLi16ELi32ELi8ELc84ELc78ELc85ELb0ELb0EddPKPKdPKPdEviT_T9_T10_S7_lS9_S7_lS8_T11_S7_li.kd
    .uniform_work_group_size: 1
    .uses_dynamic_stack: false
    .vgpr_count:     44
    .vgpr_spill_count: 0
    .wavefront_size: 32
    .workgroup_processor_mode: 1
  - .args:
      - .offset:         0
        .size:           4
        .value_kind:     by_value
      - .offset:         4
        .size:           4
        .value_kind:     by_value
      - .offset:         8
        .size:           8
        .value_kind:     by_value
      - .address_space:  global
        .offset:         16
        .size:           8
        .value_kind:     global_buffer
      - .offset:         24
        .size:           4
        .value_kind:     by_value
      - .offset:         32
        .size:           8
        .value_kind:     by_value
      - .address_space:  global
        .offset:         40
        .size:           8
        .value_kind:     global_buffer
      - .offset:         48
        .size:           4
        .value_kind:     by_value
      - .offset:         56
        .size:           8
        .value_kind:     by_value
      - .offset:         64
        .size:           8
        .value_kind:     by_value
      - .address_space:  global
        .offset:         72
        .size:           8
        .value_kind:     global_buffer
      - .offset:         80
        .size:           4
        .value_kind:     by_value
      - .offset:         88
        .size:           8
        .value_kind:     by_value
      - .offset:         96
        .size:           4
        .value_kind:     by_value
    .group_segment_fixed_size: 4096
    .kernarg_segment_align: 8
    .kernarg_segment_size: 100
    .language:       OpenCL C
    .language_version:
      - 2
      - 0
    .max_flat_workgroup_size: 256
    .name:           _ZL29rocblas_internal_gemmt_kernelIiLi16ELi32ELi8ELc84ELc84ELc85ELb0ELb0EddPKPKdPKPdEviT_T9_T10_S7_lS9_S7_lS8_T11_S7_li
    .private_segment_fixed_size: 0
    .sgpr_count:     29
    .sgpr_spill_count: 0
    .symbol:         _ZL29rocblas_internal_gemmt_kernelIiLi16ELi32ELi8ELc84ELc84ELc85ELb0ELb0EddPKPKdPKPdEviT_T9_T10_S7_lS9_S7_lS8_T11_S7_li.kd
    .uniform_work_group_size: 1
    .uses_dynamic_stack: false
    .vgpr_count:     44
    .vgpr_spill_count: 0
    .wavefront_size: 32
    .workgroup_processor_mode: 1
  - .args:
      - .offset:         0
        .size:           4
        .value_kind:     by_value
      - .offset:         4
        .size:           4
        .value_kind:     by_value
      - .offset:         8
        .size:           8
        .value_kind:     by_value
      - .address_space:  global
        .offset:         16
        .size:           8
        .value_kind:     global_buffer
      - .offset:         24
        .size:           4
        .value_kind:     by_value
      - .offset:         32
        .size:           8
        .value_kind:     by_value
      - .address_space:  global
        .offset:         40
        .size:           8
        .value_kind:     global_buffer
      - .offset:         48
        .size:           4
        .value_kind:     by_value
      - .offset:         56
        .size:           8
        .value_kind:     by_value
      - .offset:         64
        .size:           8
        .value_kind:     by_value
      - .address_space:  global
        .offset:         72
        .size:           8
        .value_kind:     global_buffer
      - .offset:         80
        .size:           4
        .value_kind:     by_value
      - .offset:         88
        .size:           8
        .value_kind:     by_value
      - .offset:         96
        .size:           4
        .value_kind:     by_value
    .group_segment_fixed_size: 4096
    .kernarg_segment_align: 8
    .kernarg_segment_size: 100
    .language:       OpenCL C
    .language_version:
      - 2
      - 0
    .max_flat_workgroup_size: 256
    .name:           _ZL29rocblas_internal_gemmt_kernelIiLi16ELi32ELi8ELc84ELc67ELc85ELb0ELb0EddPKPKdPKPdEviT_T9_T10_S7_lS9_S7_lS8_T11_S7_li
    .private_segment_fixed_size: 0
    .sgpr_count:     29
    .sgpr_spill_count: 0
    .symbol:         _ZL29rocblas_internal_gemmt_kernelIiLi16ELi32ELi8ELc84ELc67ELc85ELb0ELb0EddPKPKdPKPdEviT_T9_T10_S7_lS9_S7_lS8_T11_S7_li.kd
    .uniform_work_group_size: 1
    .uses_dynamic_stack: false
    .vgpr_count:     44
    .vgpr_spill_count: 0
    .wavefront_size: 32
    .workgroup_processor_mode: 1
  - .args:
      - .offset:         0
        .size:           4
        .value_kind:     by_value
      - .offset:         4
        .size:           4
        .value_kind:     by_value
      - .offset:         8
        .size:           8
        .value_kind:     by_value
      - .address_space:  global
        .offset:         16
        .size:           8
        .value_kind:     global_buffer
      - .offset:         24
        .size:           4
        .value_kind:     by_value
      - .offset:         32
        .size:           8
        .value_kind:     by_value
      - .address_space:  global
        .offset:         40
        .size:           8
        .value_kind:     global_buffer
      - .offset:         48
        .size:           4
        .value_kind:     by_value
      - .offset:         56
        .size:           8
        .value_kind:     by_value
      - .offset:         64
        .size:           8
        .value_kind:     by_value
      - .address_space:  global
        .offset:         72
        .size:           8
        .value_kind:     global_buffer
      - .offset:         80
        .size:           4
        .value_kind:     by_value
      - .offset:         88
        .size:           8
        .value_kind:     by_value
      - .offset:         96
        .size:           4
        .value_kind:     by_value
    .group_segment_fixed_size: 4096
    .kernarg_segment_align: 8
    .kernarg_segment_size: 100
    .language:       OpenCL C
    .language_version:
      - 2
      - 0
    .max_flat_workgroup_size: 256
    .name:           _ZL29rocblas_internal_gemmt_kernelIiLi16ELi32ELi8ELc67ELc78ELc85ELb0ELb0EddPKPKdPKPdEviT_T9_T10_S7_lS9_S7_lS8_T11_S7_li
    .private_segment_fixed_size: 0
    .sgpr_count:     27
    .sgpr_spill_count: 0
    .symbol:         _ZL29rocblas_internal_gemmt_kernelIiLi16ELi32ELi8ELc67ELc78ELc85ELb0ELb0EddPKPKdPKPdEviT_T9_T10_S7_lS9_S7_lS8_T11_S7_li.kd
    .uniform_work_group_size: 1
    .uses_dynamic_stack: false
    .vgpr_count:     44
    .vgpr_spill_count: 0
    .wavefront_size: 32
    .workgroup_processor_mode: 1
  - .args:
      - .offset:         0
        .size:           4
        .value_kind:     by_value
      - .offset:         4
        .size:           4
        .value_kind:     by_value
      - .offset:         8
        .size:           8
        .value_kind:     by_value
      - .address_space:  global
        .offset:         16
        .size:           8
        .value_kind:     global_buffer
      - .offset:         24
        .size:           4
        .value_kind:     by_value
      - .offset:         32
        .size:           8
        .value_kind:     by_value
      - .address_space:  global
        .offset:         40
        .size:           8
        .value_kind:     global_buffer
      - .offset:         48
        .size:           4
        .value_kind:     by_value
      - .offset:         56
        .size:           8
        .value_kind:     by_value
      - .offset:         64
        .size:           8
        .value_kind:     by_value
      - .address_space:  global
        .offset:         72
        .size:           8
        .value_kind:     global_buffer
      - .offset:         80
        .size:           4
        .value_kind:     by_value
      - .offset:         88
        .size:           8
        .value_kind:     by_value
      - .offset:         96
        .size:           4
        .value_kind:     by_value
    .group_segment_fixed_size: 4096
    .kernarg_segment_align: 8
    .kernarg_segment_size: 100
    .language:       OpenCL C
    .language_version:
      - 2
      - 0
    .max_flat_workgroup_size: 256
    .name:           _ZL29rocblas_internal_gemmt_kernelIiLi16ELi32ELi8ELc67ELc84ELc85ELb0ELb0EddPKPKdPKPdEviT_T9_T10_S7_lS9_S7_lS8_T11_S7_li
    .private_segment_fixed_size: 0
    .sgpr_count:     29
    .sgpr_spill_count: 0
    .symbol:         _ZL29rocblas_internal_gemmt_kernelIiLi16ELi32ELi8ELc67ELc84ELc85ELb0ELb0EddPKPKdPKPdEviT_T9_T10_S7_lS9_S7_lS8_T11_S7_li.kd
    .uniform_work_group_size: 1
    .uses_dynamic_stack: false
    .vgpr_count:     44
    .vgpr_spill_count: 0
    .wavefront_size: 32
    .workgroup_processor_mode: 1
  - .args:
      - .offset:         0
        .size:           4
        .value_kind:     by_value
      - .offset:         4
        .size:           4
        .value_kind:     by_value
      - .offset:         8
        .size:           8
        .value_kind:     by_value
      - .address_space:  global
        .offset:         16
        .size:           8
        .value_kind:     global_buffer
      - .offset:         24
        .size:           4
        .value_kind:     by_value
      - .offset:         32
        .size:           8
        .value_kind:     by_value
      - .address_space:  global
        .offset:         40
        .size:           8
        .value_kind:     global_buffer
      - .offset:         48
        .size:           4
        .value_kind:     by_value
      - .offset:         56
        .size:           8
        .value_kind:     by_value
      - .offset:         64
        .size:           8
        .value_kind:     by_value
      - .address_space:  global
        .offset:         72
        .size:           8
        .value_kind:     global_buffer
      - .offset:         80
        .size:           4
        .value_kind:     by_value
      - .offset:         88
        .size:           8
        .value_kind:     by_value
      - .offset:         96
        .size:           4
        .value_kind:     by_value
    .group_segment_fixed_size: 4096
    .kernarg_segment_align: 8
    .kernarg_segment_size: 100
    .language:       OpenCL C
    .language_version:
      - 2
      - 0
    .max_flat_workgroup_size: 256
    .name:           _ZL29rocblas_internal_gemmt_kernelIiLi16ELi32ELi8ELc67ELc67ELc85ELb0ELb0EddPKPKdPKPdEviT_T9_T10_S7_lS9_S7_lS8_T11_S7_li
    .private_segment_fixed_size: 0
    .sgpr_count:     29
    .sgpr_spill_count: 0
    .symbol:         _ZL29rocblas_internal_gemmt_kernelIiLi16ELi32ELi8ELc67ELc67ELc85ELb0ELb0EddPKPKdPKPdEviT_T9_T10_S7_lS9_S7_lS8_T11_S7_li.kd
    .uniform_work_group_size: 1
    .uses_dynamic_stack: false
    .vgpr_count:     44
    .vgpr_spill_count: 0
    .wavefront_size: 32
    .workgroup_processor_mode: 1
  - .args:
      - .offset:         0
        .size:           4
        .value_kind:     by_value
      - .offset:         4
        .size:           4
        .value_kind:     by_value
      - .offset:         8
        .size:           8
        .value_kind:     by_value
      - .address_space:  global
        .offset:         16
        .size:           8
        .value_kind:     global_buffer
      - .offset:         24
        .size:           4
        .value_kind:     by_value
      - .offset:         32
        .size:           8
        .value_kind:     by_value
      - .address_space:  global
        .offset:         40
        .size:           8
        .value_kind:     global_buffer
      - .offset:         48
        .size:           4
        .value_kind:     by_value
      - .offset:         56
        .size:           8
        .value_kind:     by_value
      - .offset:         64
        .size:           8
        .value_kind:     by_value
      - .address_space:  global
        .offset:         72
        .size:           8
        .value_kind:     global_buffer
      - .offset:         80
        .size:           4
        .value_kind:     by_value
      - .offset:         88
        .size:           8
        .value_kind:     by_value
      - .offset:         96
        .size:           4
        .value_kind:     by_value
    .group_segment_fixed_size: 4096
    .kernarg_segment_align: 8
    .kernarg_segment_size: 100
    .language:       OpenCL C
    .language_version:
      - 2
      - 0
    .max_flat_workgroup_size: 256
    .name:           _ZL29rocblas_internal_gemmt_kernelIiLi16ELi32ELi8ELc78ELc78ELc76ELb0ELb0EddPKPKdPKPdEviT_T9_T10_S7_lS9_S7_lS8_T11_S7_li
    .private_segment_fixed_size: 0
    .sgpr_count:     29
    .sgpr_spill_count: 0
    .symbol:         _ZL29rocblas_internal_gemmt_kernelIiLi16ELi32ELi8ELc78ELc78ELc76ELb0ELb0EddPKPKdPKPdEviT_T9_T10_S7_lS9_S7_lS8_T11_S7_li.kd
    .uniform_work_group_size: 1
    .uses_dynamic_stack: false
    .vgpr_count:     44
    .vgpr_spill_count: 0
    .wavefront_size: 32
    .workgroup_processor_mode: 1
  - .args:
      - .offset:         0
        .size:           4
        .value_kind:     by_value
      - .offset:         4
        .size:           4
        .value_kind:     by_value
      - .offset:         8
        .size:           8
        .value_kind:     by_value
      - .address_space:  global
        .offset:         16
        .size:           8
        .value_kind:     global_buffer
      - .offset:         24
        .size:           4
        .value_kind:     by_value
      - .offset:         32
        .size:           8
        .value_kind:     by_value
      - .address_space:  global
        .offset:         40
        .size:           8
        .value_kind:     global_buffer
      - .offset:         48
        .size:           4
        .value_kind:     by_value
      - .offset:         56
        .size:           8
        .value_kind:     by_value
      - .offset:         64
        .size:           8
        .value_kind:     by_value
      - .address_space:  global
        .offset:         72
        .size:           8
        .value_kind:     global_buffer
      - .offset:         80
        .size:           4
        .value_kind:     by_value
      - .offset:         88
        .size:           8
        .value_kind:     by_value
      - .offset:         96
        .size:           4
        .value_kind:     by_value
    .group_segment_fixed_size: 4096
    .kernarg_segment_align: 8
    .kernarg_segment_size: 100
    .language:       OpenCL C
    .language_version:
      - 2
      - 0
    .max_flat_workgroup_size: 256
    .name:           _ZL29rocblas_internal_gemmt_kernelIiLi16ELi32ELi8ELc78ELc84ELc76ELb0ELb0EddPKPKdPKPdEviT_T9_T10_S7_lS9_S7_lS8_T11_S7_li
    .private_segment_fixed_size: 0
    .sgpr_count:     31
    .sgpr_spill_count: 0
    .symbol:         _ZL29rocblas_internal_gemmt_kernelIiLi16ELi32ELi8ELc78ELc84ELc76ELb0ELb0EddPKPKdPKPdEviT_T9_T10_S7_lS9_S7_lS8_T11_S7_li.kd
    .uniform_work_group_size: 1
    .uses_dynamic_stack: false
    .vgpr_count:     44
    .vgpr_spill_count: 0
    .wavefront_size: 32
    .workgroup_processor_mode: 1
  - .args:
      - .offset:         0
        .size:           4
        .value_kind:     by_value
      - .offset:         4
        .size:           4
        .value_kind:     by_value
      - .offset:         8
        .size:           8
        .value_kind:     by_value
      - .address_space:  global
        .offset:         16
        .size:           8
        .value_kind:     global_buffer
      - .offset:         24
        .size:           4
        .value_kind:     by_value
      - .offset:         32
        .size:           8
        .value_kind:     by_value
      - .address_space:  global
        .offset:         40
        .size:           8
        .value_kind:     global_buffer
      - .offset:         48
        .size:           4
        .value_kind:     by_value
      - .offset:         56
        .size:           8
        .value_kind:     by_value
      - .offset:         64
        .size:           8
        .value_kind:     by_value
      - .address_space:  global
        .offset:         72
        .size:           8
        .value_kind:     global_buffer
      - .offset:         80
        .size:           4
        .value_kind:     by_value
      - .offset:         88
        .size:           8
        .value_kind:     by_value
      - .offset:         96
        .size:           4
        .value_kind:     by_value
    .group_segment_fixed_size: 4096
    .kernarg_segment_align: 8
    .kernarg_segment_size: 100
    .language:       OpenCL C
    .language_version:
      - 2
      - 0
    .max_flat_workgroup_size: 256
    .name:           _ZL29rocblas_internal_gemmt_kernelIiLi16ELi32ELi8ELc78ELc67ELc76ELb0ELb0EddPKPKdPKPdEviT_T9_T10_S7_lS9_S7_lS8_T11_S7_li
    .private_segment_fixed_size: 0
    .sgpr_count:     31
    .sgpr_spill_count: 0
    .symbol:         _ZL29rocblas_internal_gemmt_kernelIiLi16ELi32ELi8ELc78ELc67ELc76ELb0ELb0EddPKPKdPKPdEviT_T9_T10_S7_lS9_S7_lS8_T11_S7_li.kd
    .uniform_work_group_size: 1
    .uses_dynamic_stack: false
    .vgpr_count:     44
    .vgpr_spill_count: 0
    .wavefront_size: 32
    .workgroup_processor_mode: 1
  - .args:
      - .offset:         0
        .size:           4
        .value_kind:     by_value
      - .offset:         4
        .size:           4
        .value_kind:     by_value
      - .offset:         8
        .size:           8
        .value_kind:     by_value
      - .address_space:  global
        .offset:         16
        .size:           8
        .value_kind:     global_buffer
      - .offset:         24
        .size:           4
        .value_kind:     by_value
      - .offset:         32
        .size:           8
        .value_kind:     by_value
      - .address_space:  global
        .offset:         40
        .size:           8
        .value_kind:     global_buffer
      - .offset:         48
        .size:           4
        .value_kind:     by_value
      - .offset:         56
        .size:           8
        .value_kind:     by_value
      - .offset:         64
        .size:           8
        .value_kind:     by_value
      - .address_space:  global
        .offset:         72
        .size:           8
        .value_kind:     global_buffer
      - .offset:         80
        .size:           4
        .value_kind:     by_value
      - .offset:         88
        .size:           8
        .value_kind:     by_value
      - .offset:         96
        .size:           4
        .value_kind:     by_value
    .group_segment_fixed_size: 4096
    .kernarg_segment_align: 8
    .kernarg_segment_size: 100
    .language:       OpenCL C
    .language_version:
      - 2
      - 0
    .max_flat_workgroup_size: 256
    .name:           _ZL29rocblas_internal_gemmt_kernelIiLi16ELi32ELi8ELc84ELc78ELc76ELb0ELb0EddPKPKdPKPdEviT_T9_T10_S7_lS9_S7_lS8_T11_S7_li
    .private_segment_fixed_size: 0
    .sgpr_count:     27
    .sgpr_spill_count: 0
    .symbol:         _ZL29rocblas_internal_gemmt_kernelIiLi16ELi32ELi8ELc84ELc78ELc76ELb0ELb0EddPKPKdPKPdEviT_T9_T10_S7_lS9_S7_lS8_T11_S7_li.kd
    .uniform_work_group_size: 1
    .uses_dynamic_stack: false
    .vgpr_count:     44
    .vgpr_spill_count: 0
    .wavefront_size: 32
    .workgroup_processor_mode: 1
  - .args:
      - .offset:         0
        .size:           4
        .value_kind:     by_value
      - .offset:         4
        .size:           4
        .value_kind:     by_value
      - .offset:         8
        .size:           8
        .value_kind:     by_value
      - .address_space:  global
        .offset:         16
        .size:           8
        .value_kind:     global_buffer
      - .offset:         24
        .size:           4
        .value_kind:     by_value
      - .offset:         32
        .size:           8
        .value_kind:     by_value
      - .address_space:  global
        .offset:         40
        .size:           8
        .value_kind:     global_buffer
      - .offset:         48
        .size:           4
        .value_kind:     by_value
      - .offset:         56
        .size:           8
        .value_kind:     by_value
      - .offset:         64
        .size:           8
        .value_kind:     by_value
      - .address_space:  global
        .offset:         72
        .size:           8
        .value_kind:     global_buffer
      - .offset:         80
        .size:           4
        .value_kind:     by_value
      - .offset:         88
        .size:           8
        .value_kind:     by_value
      - .offset:         96
        .size:           4
        .value_kind:     by_value
    .group_segment_fixed_size: 4096
    .kernarg_segment_align: 8
    .kernarg_segment_size: 100
    .language:       OpenCL C
    .language_version:
      - 2
      - 0
    .max_flat_workgroup_size: 256
    .name:           _ZL29rocblas_internal_gemmt_kernelIiLi16ELi32ELi8ELc84ELc84ELc76ELb0ELb0EddPKPKdPKPdEviT_T9_T10_S7_lS9_S7_lS8_T11_S7_li
    .private_segment_fixed_size: 0
    .sgpr_count:     29
    .sgpr_spill_count: 0
    .symbol:         _ZL29rocblas_internal_gemmt_kernelIiLi16ELi32ELi8ELc84ELc84ELc76ELb0ELb0EddPKPKdPKPdEviT_T9_T10_S7_lS9_S7_lS8_T11_S7_li.kd
    .uniform_work_group_size: 1
    .uses_dynamic_stack: false
    .vgpr_count:     44
    .vgpr_spill_count: 0
    .wavefront_size: 32
    .workgroup_processor_mode: 1
  - .args:
      - .offset:         0
        .size:           4
        .value_kind:     by_value
      - .offset:         4
        .size:           4
        .value_kind:     by_value
      - .offset:         8
        .size:           8
        .value_kind:     by_value
      - .address_space:  global
        .offset:         16
        .size:           8
        .value_kind:     global_buffer
      - .offset:         24
        .size:           4
        .value_kind:     by_value
      - .offset:         32
        .size:           8
        .value_kind:     by_value
      - .address_space:  global
        .offset:         40
        .size:           8
        .value_kind:     global_buffer
      - .offset:         48
        .size:           4
        .value_kind:     by_value
      - .offset:         56
        .size:           8
        .value_kind:     by_value
      - .offset:         64
        .size:           8
        .value_kind:     by_value
      - .address_space:  global
        .offset:         72
        .size:           8
        .value_kind:     global_buffer
      - .offset:         80
        .size:           4
        .value_kind:     by_value
      - .offset:         88
        .size:           8
        .value_kind:     by_value
      - .offset:         96
        .size:           4
        .value_kind:     by_value
    .group_segment_fixed_size: 4096
    .kernarg_segment_align: 8
    .kernarg_segment_size: 100
    .language:       OpenCL C
    .language_version:
      - 2
      - 0
    .max_flat_workgroup_size: 256
    .name:           _ZL29rocblas_internal_gemmt_kernelIiLi16ELi32ELi8ELc84ELc67ELc76ELb0ELb0EddPKPKdPKPdEviT_T9_T10_S7_lS9_S7_lS8_T11_S7_li
    .private_segment_fixed_size: 0
    .sgpr_count:     29
    .sgpr_spill_count: 0
    .symbol:         _ZL29rocblas_internal_gemmt_kernelIiLi16ELi32ELi8ELc84ELc67ELc76ELb0ELb0EddPKPKdPKPdEviT_T9_T10_S7_lS9_S7_lS8_T11_S7_li.kd
    .uniform_work_group_size: 1
    .uses_dynamic_stack: false
    .vgpr_count:     44
    .vgpr_spill_count: 0
    .wavefront_size: 32
    .workgroup_processor_mode: 1
  - .args:
      - .offset:         0
        .size:           4
        .value_kind:     by_value
      - .offset:         4
        .size:           4
        .value_kind:     by_value
      - .offset:         8
        .size:           8
        .value_kind:     by_value
      - .address_space:  global
        .offset:         16
        .size:           8
        .value_kind:     global_buffer
      - .offset:         24
        .size:           4
        .value_kind:     by_value
      - .offset:         32
        .size:           8
        .value_kind:     by_value
      - .address_space:  global
        .offset:         40
        .size:           8
        .value_kind:     global_buffer
      - .offset:         48
        .size:           4
        .value_kind:     by_value
      - .offset:         56
        .size:           8
        .value_kind:     by_value
      - .offset:         64
        .size:           8
        .value_kind:     by_value
      - .address_space:  global
        .offset:         72
        .size:           8
        .value_kind:     global_buffer
      - .offset:         80
        .size:           4
        .value_kind:     by_value
      - .offset:         88
        .size:           8
        .value_kind:     by_value
      - .offset:         96
        .size:           4
        .value_kind:     by_value
    .group_segment_fixed_size: 4096
    .kernarg_segment_align: 8
    .kernarg_segment_size: 100
    .language:       OpenCL C
    .language_version:
      - 2
      - 0
    .max_flat_workgroup_size: 256
    .name:           _ZL29rocblas_internal_gemmt_kernelIiLi16ELi32ELi8ELc67ELc78ELc76ELb0ELb0EddPKPKdPKPdEviT_T9_T10_S7_lS9_S7_lS8_T11_S7_li
    .private_segment_fixed_size: 0
    .sgpr_count:     27
    .sgpr_spill_count: 0
    .symbol:         _ZL29rocblas_internal_gemmt_kernelIiLi16ELi32ELi8ELc67ELc78ELc76ELb0ELb0EddPKPKdPKPdEviT_T9_T10_S7_lS9_S7_lS8_T11_S7_li.kd
    .uniform_work_group_size: 1
    .uses_dynamic_stack: false
    .vgpr_count:     44
    .vgpr_spill_count: 0
    .wavefront_size: 32
    .workgroup_processor_mode: 1
  - .args:
      - .offset:         0
        .size:           4
        .value_kind:     by_value
      - .offset:         4
        .size:           4
        .value_kind:     by_value
      - .offset:         8
        .size:           8
        .value_kind:     by_value
      - .address_space:  global
        .offset:         16
        .size:           8
        .value_kind:     global_buffer
      - .offset:         24
        .size:           4
        .value_kind:     by_value
      - .offset:         32
        .size:           8
        .value_kind:     by_value
      - .address_space:  global
        .offset:         40
        .size:           8
        .value_kind:     global_buffer
      - .offset:         48
        .size:           4
        .value_kind:     by_value
      - .offset:         56
        .size:           8
        .value_kind:     by_value
      - .offset:         64
        .size:           8
        .value_kind:     by_value
      - .address_space:  global
        .offset:         72
        .size:           8
        .value_kind:     global_buffer
      - .offset:         80
        .size:           4
        .value_kind:     by_value
      - .offset:         88
        .size:           8
        .value_kind:     by_value
      - .offset:         96
        .size:           4
        .value_kind:     by_value
    .group_segment_fixed_size: 4096
    .kernarg_segment_align: 8
    .kernarg_segment_size: 100
    .language:       OpenCL C
    .language_version:
      - 2
      - 0
    .max_flat_workgroup_size: 256
    .name:           _ZL29rocblas_internal_gemmt_kernelIiLi16ELi32ELi8ELc67ELc84ELc76ELb0ELb0EddPKPKdPKPdEviT_T9_T10_S7_lS9_S7_lS8_T11_S7_li
    .private_segment_fixed_size: 0
    .sgpr_count:     29
    .sgpr_spill_count: 0
    .symbol:         _ZL29rocblas_internal_gemmt_kernelIiLi16ELi32ELi8ELc67ELc84ELc76ELb0ELb0EddPKPKdPKPdEviT_T9_T10_S7_lS9_S7_lS8_T11_S7_li.kd
    .uniform_work_group_size: 1
    .uses_dynamic_stack: false
    .vgpr_count:     44
    .vgpr_spill_count: 0
    .wavefront_size: 32
    .workgroup_processor_mode: 1
  - .args:
      - .offset:         0
        .size:           4
        .value_kind:     by_value
      - .offset:         4
        .size:           4
        .value_kind:     by_value
      - .offset:         8
        .size:           8
        .value_kind:     by_value
      - .address_space:  global
        .offset:         16
        .size:           8
        .value_kind:     global_buffer
      - .offset:         24
        .size:           4
        .value_kind:     by_value
      - .offset:         32
        .size:           8
        .value_kind:     by_value
      - .address_space:  global
        .offset:         40
        .size:           8
        .value_kind:     global_buffer
      - .offset:         48
        .size:           4
        .value_kind:     by_value
      - .offset:         56
        .size:           8
        .value_kind:     by_value
      - .offset:         64
        .size:           8
        .value_kind:     by_value
      - .address_space:  global
        .offset:         72
        .size:           8
        .value_kind:     global_buffer
      - .offset:         80
        .size:           4
        .value_kind:     by_value
      - .offset:         88
        .size:           8
        .value_kind:     by_value
      - .offset:         96
        .size:           4
        .value_kind:     by_value
    .group_segment_fixed_size: 4096
    .kernarg_segment_align: 8
    .kernarg_segment_size: 100
    .language:       OpenCL C
    .language_version:
      - 2
      - 0
    .max_flat_workgroup_size: 256
    .name:           _ZL29rocblas_internal_gemmt_kernelIiLi16ELi32ELi8ELc67ELc67ELc76ELb0ELb0EddPKPKdPKPdEviT_T9_T10_S7_lS9_S7_lS8_T11_S7_li
    .private_segment_fixed_size: 0
    .sgpr_count:     29
    .sgpr_spill_count: 0
    .symbol:         _ZL29rocblas_internal_gemmt_kernelIiLi16ELi32ELi8ELc67ELc67ELc76ELb0ELb0EddPKPKdPKPdEviT_T9_T10_S7_lS9_S7_lS8_T11_S7_li.kd
    .uniform_work_group_size: 1
    .uses_dynamic_stack: false
    .vgpr_count:     44
    .vgpr_spill_count: 0
    .wavefront_size: 32
    .workgroup_processor_mode: 1
  - .args:
      - .offset:         0
        .size:           4
        .value_kind:     by_value
      - .offset:         4
        .size:           4
        .value_kind:     by_value
      - .address_space:  global
        .offset:         8
        .size:           8
        .value_kind:     global_buffer
      - .address_space:  global
        .offset:         16
        .size:           8
        .value_kind:     global_buffer
      - .offset:         24
        .size:           4
        .value_kind:     by_value
      - .offset:         32
        .size:           8
        .value_kind:     by_value
      - .address_space:  global
        .offset:         40
        .size:           8
        .value_kind:     global_buffer
      - .offset:         48
        .size:           4
        .value_kind:     by_value
      - .offset:         56
        .size:           8
        .value_kind:     by_value
      - .address_space:  global
        .offset:         64
        .size:           8
        .value_kind:     global_buffer
      - .address_space:  global
        .offset:         72
        .size:           8
        .value_kind:     global_buffer
      - .offset:         80
        .size:           4
        .value_kind:     by_value
      - .offset:         88
        .size:           8
        .value_kind:     by_value
      - .offset:         96
        .size:           4
        .value_kind:     by_value
    .group_segment_fixed_size: 4096
    .kernarg_segment_align: 8
    .kernarg_segment_size: 100
    .language:       OpenCL C
    .language_version:
      - 2
      - 0
    .max_flat_workgroup_size: 256
    .name:           _ZL29rocblas_internal_gemmt_kernelIiLi16ELi32ELi8ELc78ELc78ELc85ELb0ELb0E19rocblas_complex_numIfEPKS1_PKS3_PKPS1_EviT_T9_T10_S9_lSB_S9_lSA_T11_S9_li
    .private_segment_fixed_size: 0
    .sgpr_count:     30
    .sgpr_spill_count: 0
    .symbol:         _ZL29rocblas_internal_gemmt_kernelIiLi16ELi32ELi8ELc78ELc78ELc85ELb0ELb0E19rocblas_complex_numIfEPKS1_PKS3_PKPS1_EviT_T9_T10_S9_lSB_S9_lSA_T11_S9_li.kd
    .uniform_work_group_size: 1
    .uses_dynamic_stack: false
    .vgpr_count:     59
    .vgpr_spill_count: 0
    .wavefront_size: 32
    .workgroup_processor_mode: 1
  - .args:
      - .offset:         0
        .size:           4
        .value_kind:     by_value
      - .offset:         4
        .size:           4
        .value_kind:     by_value
      - .address_space:  global
        .offset:         8
        .size:           8
        .value_kind:     global_buffer
      - .address_space:  global
        .offset:         16
        .size:           8
        .value_kind:     global_buffer
      - .offset:         24
        .size:           4
        .value_kind:     by_value
      - .offset:         32
        .size:           8
        .value_kind:     by_value
      - .address_space:  global
        .offset:         40
        .size:           8
        .value_kind:     global_buffer
      - .offset:         48
        .size:           4
        .value_kind:     by_value
      - .offset:         56
        .size:           8
        .value_kind:     by_value
      - .address_space:  global
        .offset:         64
        .size:           8
        .value_kind:     global_buffer
      - .address_space:  global
        .offset:         72
        .size:           8
        .value_kind:     global_buffer
      - .offset:         80
        .size:           4
        .value_kind:     by_value
      - .offset:         88
        .size:           8
        .value_kind:     by_value
      - .offset:         96
        .size:           4
        .value_kind:     by_value
    .group_segment_fixed_size: 4096
    .kernarg_segment_align: 8
    .kernarg_segment_size: 100
    .language:       OpenCL C
    .language_version:
      - 2
      - 0
    .max_flat_workgroup_size: 256
    .name:           _ZL29rocblas_internal_gemmt_kernelIiLi16ELi32ELi8ELc78ELc84ELc85ELb0ELb0E19rocblas_complex_numIfEPKS1_PKS3_PKPS1_EviT_T9_T10_S9_lSB_S9_lSA_T11_S9_li
    .private_segment_fixed_size: 0
    .sgpr_count:     32
    .sgpr_spill_count: 0
    .symbol:         _ZL29rocblas_internal_gemmt_kernelIiLi16ELi32ELi8ELc78ELc84ELc85ELb0ELb0E19rocblas_complex_numIfEPKS1_PKS3_PKPS1_EviT_T9_T10_S9_lSB_S9_lSA_T11_S9_li.kd
    .uniform_work_group_size: 1
    .uses_dynamic_stack: false
    .vgpr_count:     59
    .vgpr_spill_count: 0
    .wavefront_size: 32
    .workgroup_processor_mode: 1
  - .args:
      - .offset:         0
        .size:           4
        .value_kind:     by_value
      - .offset:         4
        .size:           4
        .value_kind:     by_value
      - .address_space:  global
        .offset:         8
        .size:           8
        .value_kind:     global_buffer
      - .address_space:  global
        .offset:         16
        .size:           8
        .value_kind:     global_buffer
      - .offset:         24
        .size:           4
        .value_kind:     by_value
      - .offset:         32
        .size:           8
        .value_kind:     by_value
      - .address_space:  global
        .offset:         40
        .size:           8
        .value_kind:     global_buffer
      - .offset:         48
        .size:           4
        .value_kind:     by_value
      - .offset:         56
        .size:           8
        .value_kind:     by_value
      - .address_space:  global
        .offset:         64
        .size:           8
        .value_kind:     global_buffer
      - .address_space:  global
        .offset:         72
        .size:           8
        .value_kind:     global_buffer
      - .offset:         80
        .size:           4
        .value_kind:     by_value
      - .offset:         88
        .size:           8
        .value_kind:     by_value
      - .offset:         96
        .size:           4
        .value_kind:     by_value
    .group_segment_fixed_size: 4096
    .kernarg_segment_align: 8
    .kernarg_segment_size: 100
    .language:       OpenCL C
    .language_version:
      - 2
      - 0
    .max_flat_workgroup_size: 256
    .name:           _ZL29rocblas_internal_gemmt_kernelIiLi16ELi32ELi8ELc78ELc67ELc85ELb0ELb1E19rocblas_complex_numIfEPKS1_PKS3_PKPS1_EviT_T9_T10_S9_lSB_S9_lSA_T11_S9_li
    .private_segment_fixed_size: 0
    .sgpr_count:     32
    .sgpr_spill_count: 0
    .symbol:         _ZL29rocblas_internal_gemmt_kernelIiLi16ELi32ELi8ELc78ELc67ELc85ELb0ELb1E19rocblas_complex_numIfEPKS1_PKS3_PKPS1_EviT_T9_T10_S9_lSB_S9_lSA_T11_S9_li.kd
    .uniform_work_group_size: 1
    .uses_dynamic_stack: false
    .vgpr_count:     59
    .vgpr_spill_count: 0
    .wavefront_size: 32
    .workgroup_processor_mode: 1
  - .args:
      - .offset:         0
        .size:           4
        .value_kind:     by_value
      - .offset:         4
        .size:           4
        .value_kind:     by_value
      - .address_space:  global
        .offset:         8
        .size:           8
        .value_kind:     global_buffer
      - .address_space:  global
        .offset:         16
        .size:           8
        .value_kind:     global_buffer
      - .offset:         24
        .size:           4
        .value_kind:     by_value
      - .offset:         32
        .size:           8
        .value_kind:     by_value
      - .address_space:  global
        .offset:         40
        .size:           8
        .value_kind:     global_buffer
      - .offset:         48
        .size:           4
        .value_kind:     by_value
      - .offset:         56
        .size:           8
        .value_kind:     by_value
      - .address_space:  global
        .offset:         64
        .size:           8
        .value_kind:     global_buffer
      - .address_space:  global
        .offset:         72
        .size:           8
        .value_kind:     global_buffer
      - .offset:         80
        .size:           4
        .value_kind:     by_value
      - .offset:         88
        .size:           8
        .value_kind:     by_value
      - .offset:         96
        .size:           4
        .value_kind:     by_value
    .group_segment_fixed_size: 4096
    .kernarg_segment_align: 8
    .kernarg_segment_size: 100
    .language:       OpenCL C
    .language_version:
      - 2
      - 0
    .max_flat_workgroup_size: 256
    .name:           _ZL29rocblas_internal_gemmt_kernelIiLi16ELi32ELi8ELc84ELc78ELc85ELb0ELb0E19rocblas_complex_numIfEPKS1_PKS3_PKPS1_EviT_T9_T10_S9_lSB_S9_lSA_T11_S9_li
    .private_segment_fixed_size: 0
    .sgpr_count:     29
    .sgpr_spill_count: 0
    .symbol:         _ZL29rocblas_internal_gemmt_kernelIiLi16ELi32ELi8ELc84ELc78ELc85ELb0ELb0E19rocblas_complex_numIfEPKS1_PKS3_PKPS1_EviT_T9_T10_S9_lSB_S9_lSA_T11_S9_li.kd
    .uniform_work_group_size: 1
    .uses_dynamic_stack: false
    .vgpr_count:     59
    .vgpr_spill_count: 0
    .wavefront_size: 32
    .workgroup_processor_mode: 1
  - .args:
      - .offset:         0
        .size:           4
        .value_kind:     by_value
      - .offset:         4
        .size:           4
        .value_kind:     by_value
      - .address_space:  global
        .offset:         8
        .size:           8
        .value_kind:     global_buffer
      - .address_space:  global
        .offset:         16
        .size:           8
        .value_kind:     global_buffer
      - .offset:         24
        .size:           4
        .value_kind:     by_value
      - .offset:         32
        .size:           8
        .value_kind:     by_value
      - .address_space:  global
        .offset:         40
        .size:           8
        .value_kind:     global_buffer
      - .offset:         48
        .size:           4
        .value_kind:     by_value
      - .offset:         56
        .size:           8
        .value_kind:     by_value
      - .address_space:  global
        .offset:         64
        .size:           8
        .value_kind:     global_buffer
      - .address_space:  global
        .offset:         72
        .size:           8
        .value_kind:     global_buffer
      - .offset:         80
        .size:           4
        .value_kind:     by_value
      - .offset:         88
        .size:           8
        .value_kind:     by_value
      - .offset:         96
        .size:           4
        .value_kind:     by_value
    .group_segment_fixed_size: 4096
    .kernarg_segment_align: 8
    .kernarg_segment_size: 100
    .language:       OpenCL C
    .language_version:
      - 2
      - 0
    .max_flat_workgroup_size: 256
    .name:           _ZL29rocblas_internal_gemmt_kernelIiLi16ELi32ELi8ELc84ELc84ELc85ELb0ELb0E19rocblas_complex_numIfEPKS1_PKS3_PKPS1_EviT_T9_T10_S9_lSB_S9_lSA_T11_S9_li
    .private_segment_fixed_size: 0
    .sgpr_count:     29
    .sgpr_spill_count: 0
    .symbol:         _ZL29rocblas_internal_gemmt_kernelIiLi16ELi32ELi8ELc84ELc84ELc85ELb0ELb0E19rocblas_complex_numIfEPKS1_PKS3_PKPS1_EviT_T9_T10_S9_lSB_S9_lSA_T11_S9_li.kd
    .uniform_work_group_size: 1
    .uses_dynamic_stack: false
    .vgpr_count:     59
    .vgpr_spill_count: 0
    .wavefront_size: 32
    .workgroup_processor_mode: 1
  - .args:
      - .offset:         0
        .size:           4
        .value_kind:     by_value
      - .offset:         4
        .size:           4
        .value_kind:     by_value
      - .address_space:  global
        .offset:         8
        .size:           8
        .value_kind:     global_buffer
      - .address_space:  global
        .offset:         16
        .size:           8
        .value_kind:     global_buffer
      - .offset:         24
        .size:           4
        .value_kind:     by_value
      - .offset:         32
        .size:           8
        .value_kind:     by_value
      - .address_space:  global
        .offset:         40
        .size:           8
        .value_kind:     global_buffer
      - .offset:         48
        .size:           4
        .value_kind:     by_value
      - .offset:         56
        .size:           8
        .value_kind:     by_value
      - .address_space:  global
        .offset:         64
        .size:           8
        .value_kind:     global_buffer
      - .address_space:  global
        .offset:         72
        .size:           8
        .value_kind:     global_buffer
      - .offset:         80
        .size:           4
        .value_kind:     by_value
      - .offset:         88
        .size:           8
        .value_kind:     by_value
      - .offset:         96
        .size:           4
        .value_kind:     by_value
    .group_segment_fixed_size: 4096
    .kernarg_segment_align: 8
    .kernarg_segment_size: 100
    .language:       OpenCL C
    .language_version:
      - 2
      - 0
    .max_flat_workgroup_size: 256
    .name:           _ZL29rocblas_internal_gemmt_kernelIiLi16ELi32ELi8ELc84ELc67ELc85ELb0ELb1E19rocblas_complex_numIfEPKS1_PKS3_PKPS1_EviT_T9_T10_S9_lSB_S9_lSA_T11_S9_li
    .private_segment_fixed_size: 0
    .sgpr_count:     29
    .sgpr_spill_count: 0
    .symbol:         _ZL29rocblas_internal_gemmt_kernelIiLi16ELi32ELi8ELc84ELc67ELc85ELb0ELb1E19rocblas_complex_numIfEPKS1_PKS3_PKPS1_EviT_T9_T10_S9_lSB_S9_lSA_T11_S9_li.kd
    .uniform_work_group_size: 1
    .uses_dynamic_stack: false
    .vgpr_count:     59
    .vgpr_spill_count: 0
    .wavefront_size: 32
    .workgroup_processor_mode: 1
  - .args:
      - .offset:         0
        .size:           4
        .value_kind:     by_value
      - .offset:         4
        .size:           4
        .value_kind:     by_value
      - .address_space:  global
        .offset:         8
        .size:           8
        .value_kind:     global_buffer
      - .address_space:  global
        .offset:         16
        .size:           8
        .value_kind:     global_buffer
      - .offset:         24
        .size:           4
        .value_kind:     by_value
      - .offset:         32
        .size:           8
        .value_kind:     by_value
      - .address_space:  global
        .offset:         40
        .size:           8
        .value_kind:     global_buffer
      - .offset:         48
        .size:           4
        .value_kind:     by_value
      - .offset:         56
        .size:           8
        .value_kind:     by_value
      - .address_space:  global
        .offset:         64
        .size:           8
        .value_kind:     global_buffer
      - .address_space:  global
        .offset:         72
        .size:           8
        .value_kind:     global_buffer
      - .offset:         80
        .size:           4
        .value_kind:     by_value
      - .offset:         88
        .size:           8
        .value_kind:     by_value
      - .offset:         96
        .size:           4
        .value_kind:     by_value
    .group_segment_fixed_size: 4096
    .kernarg_segment_align: 8
    .kernarg_segment_size: 100
    .language:       OpenCL C
    .language_version:
      - 2
      - 0
    .max_flat_workgroup_size: 256
    .name:           _ZL29rocblas_internal_gemmt_kernelIiLi16ELi32ELi8ELc67ELc78ELc85ELb1ELb0E19rocblas_complex_numIfEPKS1_PKS3_PKPS1_EviT_T9_T10_S9_lSB_S9_lSA_T11_S9_li
    .private_segment_fixed_size: 0
    .sgpr_count:     29
    .sgpr_spill_count: 0
    .symbol:         _ZL29rocblas_internal_gemmt_kernelIiLi16ELi32ELi8ELc67ELc78ELc85ELb1ELb0E19rocblas_complex_numIfEPKS1_PKS3_PKPS1_EviT_T9_T10_S9_lSB_S9_lSA_T11_S9_li.kd
    .uniform_work_group_size: 1
    .uses_dynamic_stack: false
    .vgpr_count:     59
    .vgpr_spill_count: 0
    .wavefront_size: 32
    .workgroup_processor_mode: 1
  - .args:
      - .offset:         0
        .size:           4
        .value_kind:     by_value
      - .offset:         4
        .size:           4
        .value_kind:     by_value
      - .address_space:  global
        .offset:         8
        .size:           8
        .value_kind:     global_buffer
      - .address_space:  global
        .offset:         16
        .size:           8
        .value_kind:     global_buffer
      - .offset:         24
        .size:           4
        .value_kind:     by_value
      - .offset:         32
        .size:           8
        .value_kind:     by_value
      - .address_space:  global
        .offset:         40
        .size:           8
        .value_kind:     global_buffer
      - .offset:         48
        .size:           4
        .value_kind:     by_value
      - .offset:         56
        .size:           8
        .value_kind:     by_value
      - .address_space:  global
        .offset:         64
        .size:           8
        .value_kind:     global_buffer
      - .address_space:  global
        .offset:         72
        .size:           8
        .value_kind:     global_buffer
      - .offset:         80
        .size:           4
        .value_kind:     by_value
      - .offset:         88
        .size:           8
        .value_kind:     by_value
      - .offset:         96
        .size:           4
        .value_kind:     by_value
    .group_segment_fixed_size: 4096
    .kernarg_segment_align: 8
    .kernarg_segment_size: 100
    .language:       OpenCL C
    .language_version:
      - 2
      - 0
    .max_flat_workgroup_size: 256
    .name:           _ZL29rocblas_internal_gemmt_kernelIiLi16ELi32ELi8ELc67ELc84ELc85ELb1ELb0E19rocblas_complex_numIfEPKS1_PKS3_PKPS1_EviT_T9_T10_S9_lSB_S9_lSA_T11_S9_li
    .private_segment_fixed_size: 0
    .sgpr_count:     29
    .sgpr_spill_count: 0
    .symbol:         _ZL29rocblas_internal_gemmt_kernelIiLi16ELi32ELi8ELc67ELc84ELc85ELb1ELb0E19rocblas_complex_numIfEPKS1_PKS3_PKPS1_EviT_T9_T10_S9_lSB_S9_lSA_T11_S9_li.kd
    .uniform_work_group_size: 1
    .uses_dynamic_stack: false
    .vgpr_count:     59
    .vgpr_spill_count: 0
    .wavefront_size: 32
    .workgroup_processor_mode: 1
  - .args:
      - .offset:         0
        .size:           4
        .value_kind:     by_value
      - .offset:         4
        .size:           4
        .value_kind:     by_value
      - .address_space:  global
        .offset:         8
        .size:           8
        .value_kind:     global_buffer
      - .address_space:  global
        .offset:         16
        .size:           8
        .value_kind:     global_buffer
      - .offset:         24
        .size:           4
        .value_kind:     by_value
      - .offset:         32
        .size:           8
        .value_kind:     by_value
      - .address_space:  global
        .offset:         40
        .size:           8
        .value_kind:     global_buffer
      - .offset:         48
        .size:           4
        .value_kind:     by_value
      - .offset:         56
        .size:           8
        .value_kind:     by_value
      - .address_space:  global
        .offset:         64
        .size:           8
        .value_kind:     global_buffer
      - .address_space:  global
        .offset:         72
        .size:           8
        .value_kind:     global_buffer
      - .offset:         80
        .size:           4
        .value_kind:     by_value
      - .offset:         88
        .size:           8
        .value_kind:     by_value
      - .offset:         96
        .size:           4
        .value_kind:     by_value
    .group_segment_fixed_size: 4096
    .kernarg_segment_align: 8
    .kernarg_segment_size: 100
    .language:       OpenCL C
    .language_version:
      - 2
      - 0
    .max_flat_workgroup_size: 256
    .name:           _ZL29rocblas_internal_gemmt_kernelIiLi16ELi32ELi8ELc67ELc67ELc85ELb1ELb1E19rocblas_complex_numIfEPKS1_PKS3_PKPS1_EviT_T9_T10_S9_lSB_S9_lSA_T11_S9_li
    .private_segment_fixed_size: 0
    .sgpr_count:     29
    .sgpr_spill_count: 0
    .symbol:         _ZL29rocblas_internal_gemmt_kernelIiLi16ELi32ELi8ELc67ELc67ELc85ELb1ELb1E19rocblas_complex_numIfEPKS1_PKS3_PKPS1_EviT_T9_T10_S9_lSB_S9_lSA_T11_S9_li.kd
    .uniform_work_group_size: 1
    .uses_dynamic_stack: false
    .vgpr_count:     59
    .vgpr_spill_count: 0
    .wavefront_size: 32
    .workgroup_processor_mode: 1
  - .args:
      - .offset:         0
        .size:           4
        .value_kind:     by_value
      - .offset:         4
        .size:           4
        .value_kind:     by_value
      - .address_space:  global
        .offset:         8
        .size:           8
        .value_kind:     global_buffer
      - .address_space:  global
        .offset:         16
        .size:           8
        .value_kind:     global_buffer
      - .offset:         24
        .size:           4
        .value_kind:     by_value
      - .offset:         32
        .size:           8
        .value_kind:     by_value
      - .address_space:  global
        .offset:         40
        .size:           8
        .value_kind:     global_buffer
      - .offset:         48
        .size:           4
        .value_kind:     by_value
      - .offset:         56
        .size:           8
        .value_kind:     by_value
      - .address_space:  global
        .offset:         64
        .size:           8
        .value_kind:     global_buffer
      - .address_space:  global
        .offset:         72
        .size:           8
        .value_kind:     global_buffer
      - .offset:         80
        .size:           4
        .value_kind:     by_value
      - .offset:         88
        .size:           8
        .value_kind:     by_value
      - .offset:         96
        .size:           4
        .value_kind:     by_value
    .group_segment_fixed_size: 4096
    .kernarg_segment_align: 8
    .kernarg_segment_size: 100
    .language:       OpenCL C
    .language_version:
      - 2
      - 0
    .max_flat_workgroup_size: 256
    .name:           _ZL29rocblas_internal_gemmt_kernelIiLi16ELi32ELi8ELc78ELc78ELc76ELb0ELb0E19rocblas_complex_numIfEPKS1_PKS3_PKPS1_EviT_T9_T10_S9_lSB_S9_lSA_T11_S9_li
    .private_segment_fixed_size: 0
    .sgpr_count:     30
    .sgpr_spill_count: 0
    .symbol:         _ZL29rocblas_internal_gemmt_kernelIiLi16ELi32ELi8ELc78ELc78ELc76ELb0ELb0E19rocblas_complex_numIfEPKS1_PKS3_PKPS1_EviT_T9_T10_S9_lSB_S9_lSA_T11_S9_li.kd
    .uniform_work_group_size: 1
    .uses_dynamic_stack: false
    .vgpr_count:     59
    .vgpr_spill_count: 0
    .wavefront_size: 32
    .workgroup_processor_mode: 1
  - .args:
      - .offset:         0
        .size:           4
        .value_kind:     by_value
      - .offset:         4
        .size:           4
        .value_kind:     by_value
      - .address_space:  global
        .offset:         8
        .size:           8
        .value_kind:     global_buffer
      - .address_space:  global
        .offset:         16
        .size:           8
        .value_kind:     global_buffer
      - .offset:         24
        .size:           4
        .value_kind:     by_value
      - .offset:         32
        .size:           8
        .value_kind:     by_value
      - .address_space:  global
        .offset:         40
        .size:           8
        .value_kind:     global_buffer
      - .offset:         48
        .size:           4
        .value_kind:     by_value
      - .offset:         56
        .size:           8
        .value_kind:     by_value
      - .address_space:  global
        .offset:         64
        .size:           8
        .value_kind:     global_buffer
      - .address_space:  global
        .offset:         72
        .size:           8
        .value_kind:     global_buffer
      - .offset:         80
        .size:           4
        .value_kind:     by_value
      - .offset:         88
        .size:           8
        .value_kind:     by_value
      - .offset:         96
        .size:           4
        .value_kind:     by_value
    .group_segment_fixed_size: 4096
    .kernarg_segment_align: 8
    .kernarg_segment_size: 100
    .language:       OpenCL C
    .language_version:
      - 2
      - 0
    .max_flat_workgroup_size: 256
    .name:           _ZL29rocblas_internal_gemmt_kernelIiLi16ELi32ELi8ELc78ELc84ELc76ELb0ELb0E19rocblas_complex_numIfEPKS1_PKS3_PKPS1_EviT_T9_T10_S9_lSB_S9_lSA_T11_S9_li
    .private_segment_fixed_size: 0
    .sgpr_count:     32
    .sgpr_spill_count: 0
    .symbol:         _ZL29rocblas_internal_gemmt_kernelIiLi16ELi32ELi8ELc78ELc84ELc76ELb0ELb0E19rocblas_complex_numIfEPKS1_PKS3_PKPS1_EviT_T9_T10_S9_lSB_S9_lSA_T11_S9_li.kd
    .uniform_work_group_size: 1
    .uses_dynamic_stack: false
    .vgpr_count:     59
    .vgpr_spill_count: 0
    .wavefront_size: 32
    .workgroup_processor_mode: 1
  - .args:
      - .offset:         0
        .size:           4
        .value_kind:     by_value
      - .offset:         4
        .size:           4
        .value_kind:     by_value
      - .address_space:  global
        .offset:         8
        .size:           8
        .value_kind:     global_buffer
      - .address_space:  global
        .offset:         16
        .size:           8
        .value_kind:     global_buffer
      - .offset:         24
        .size:           4
        .value_kind:     by_value
      - .offset:         32
        .size:           8
        .value_kind:     by_value
      - .address_space:  global
        .offset:         40
        .size:           8
        .value_kind:     global_buffer
      - .offset:         48
        .size:           4
        .value_kind:     by_value
      - .offset:         56
        .size:           8
        .value_kind:     by_value
      - .address_space:  global
        .offset:         64
        .size:           8
        .value_kind:     global_buffer
      - .address_space:  global
        .offset:         72
        .size:           8
        .value_kind:     global_buffer
      - .offset:         80
        .size:           4
        .value_kind:     by_value
      - .offset:         88
        .size:           8
        .value_kind:     by_value
      - .offset:         96
        .size:           4
        .value_kind:     by_value
    .group_segment_fixed_size: 4096
    .kernarg_segment_align: 8
    .kernarg_segment_size: 100
    .language:       OpenCL C
    .language_version:
      - 2
      - 0
    .max_flat_workgroup_size: 256
    .name:           _ZL29rocblas_internal_gemmt_kernelIiLi16ELi32ELi8ELc78ELc67ELc76ELb0ELb1E19rocblas_complex_numIfEPKS1_PKS3_PKPS1_EviT_T9_T10_S9_lSB_S9_lSA_T11_S9_li
    .private_segment_fixed_size: 0
    .sgpr_count:     32
    .sgpr_spill_count: 0
    .symbol:         _ZL29rocblas_internal_gemmt_kernelIiLi16ELi32ELi8ELc78ELc67ELc76ELb0ELb1E19rocblas_complex_numIfEPKS1_PKS3_PKPS1_EviT_T9_T10_S9_lSB_S9_lSA_T11_S9_li.kd
    .uniform_work_group_size: 1
    .uses_dynamic_stack: false
    .vgpr_count:     59
    .vgpr_spill_count: 0
    .wavefront_size: 32
    .workgroup_processor_mode: 1
  - .args:
      - .offset:         0
        .size:           4
        .value_kind:     by_value
      - .offset:         4
        .size:           4
        .value_kind:     by_value
      - .address_space:  global
        .offset:         8
        .size:           8
        .value_kind:     global_buffer
      - .address_space:  global
        .offset:         16
        .size:           8
        .value_kind:     global_buffer
      - .offset:         24
        .size:           4
        .value_kind:     by_value
      - .offset:         32
        .size:           8
        .value_kind:     by_value
      - .address_space:  global
        .offset:         40
        .size:           8
        .value_kind:     global_buffer
      - .offset:         48
        .size:           4
        .value_kind:     by_value
      - .offset:         56
        .size:           8
        .value_kind:     by_value
      - .address_space:  global
        .offset:         64
        .size:           8
        .value_kind:     global_buffer
      - .address_space:  global
        .offset:         72
        .size:           8
        .value_kind:     global_buffer
      - .offset:         80
        .size:           4
        .value_kind:     by_value
      - .offset:         88
        .size:           8
        .value_kind:     by_value
      - .offset:         96
        .size:           4
        .value_kind:     by_value
    .group_segment_fixed_size: 4096
    .kernarg_segment_align: 8
    .kernarg_segment_size: 100
    .language:       OpenCL C
    .language_version:
      - 2
      - 0
    .max_flat_workgroup_size: 256
    .name:           _ZL29rocblas_internal_gemmt_kernelIiLi16ELi32ELi8ELc84ELc78ELc76ELb0ELb0E19rocblas_complex_numIfEPKS1_PKS3_PKPS1_EviT_T9_T10_S9_lSB_S9_lSA_T11_S9_li
    .private_segment_fixed_size: 0
    .sgpr_count:     29
    .sgpr_spill_count: 0
    .symbol:         _ZL29rocblas_internal_gemmt_kernelIiLi16ELi32ELi8ELc84ELc78ELc76ELb0ELb0E19rocblas_complex_numIfEPKS1_PKS3_PKPS1_EviT_T9_T10_S9_lSB_S9_lSA_T11_S9_li.kd
    .uniform_work_group_size: 1
    .uses_dynamic_stack: false
    .vgpr_count:     59
    .vgpr_spill_count: 0
    .wavefront_size: 32
    .workgroup_processor_mode: 1
  - .args:
      - .offset:         0
        .size:           4
        .value_kind:     by_value
      - .offset:         4
        .size:           4
        .value_kind:     by_value
      - .address_space:  global
        .offset:         8
        .size:           8
        .value_kind:     global_buffer
      - .address_space:  global
        .offset:         16
        .size:           8
        .value_kind:     global_buffer
      - .offset:         24
        .size:           4
        .value_kind:     by_value
      - .offset:         32
        .size:           8
        .value_kind:     by_value
      - .address_space:  global
        .offset:         40
        .size:           8
        .value_kind:     global_buffer
      - .offset:         48
        .size:           4
        .value_kind:     by_value
      - .offset:         56
        .size:           8
        .value_kind:     by_value
      - .address_space:  global
        .offset:         64
        .size:           8
        .value_kind:     global_buffer
      - .address_space:  global
        .offset:         72
        .size:           8
        .value_kind:     global_buffer
      - .offset:         80
        .size:           4
        .value_kind:     by_value
      - .offset:         88
        .size:           8
        .value_kind:     by_value
      - .offset:         96
        .size:           4
        .value_kind:     by_value
    .group_segment_fixed_size: 4096
    .kernarg_segment_align: 8
    .kernarg_segment_size: 100
    .language:       OpenCL C
    .language_version:
      - 2
      - 0
    .max_flat_workgroup_size: 256
    .name:           _ZL29rocblas_internal_gemmt_kernelIiLi16ELi32ELi8ELc84ELc84ELc76ELb0ELb0E19rocblas_complex_numIfEPKS1_PKS3_PKPS1_EviT_T9_T10_S9_lSB_S9_lSA_T11_S9_li
    .private_segment_fixed_size: 0
    .sgpr_count:     29
    .sgpr_spill_count: 0
    .symbol:         _ZL29rocblas_internal_gemmt_kernelIiLi16ELi32ELi8ELc84ELc84ELc76ELb0ELb0E19rocblas_complex_numIfEPKS1_PKS3_PKPS1_EviT_T9_T10_S9_lSB_S9_lSA_T11_S9_li.kd
    .uniform_work_group_size: 1
    .uses_dynamic_stack: false
    .vgpr_count:     59
    .vgpr_spill_count: 0
    .wavefront_size: 32
    .workgroup_processor_mode: 1
  - .args:
      - .offset:         0
        .size:           4
        .value_kind:     by_value
      - .offset:         4
        .size:           4
        .value_kind:     by_value
      - .address_space:  global
        .offset:         8
        .size:           8
        .value_kind:     global_buffer
      - .address_space:  global
        .offset:         16
        .size:           8
        .value_kind:     global_buffer
      - .offset:         24
        .size:           4
        .value_kind:     by_value
      - .offset:         32
        .size:           8
        .value_kind:     by_value
      - .address_space:  global
        .offset:         40
        .size:           8
        .value_kind:     global_buffer
      - .offset:         48
        .size:           4
        .value_kind:     by_value
      - .offset:         56
        .size:           8
        .value_kind:     by_value
      - .address_space:  global
        .offset:         64
        .size:           8
        .value_kind:     global_buffer
      - .address_space:  global
        .offset:         72
        .size:           8
        .value_kind:     global_buffer
      - .offset:         80
        .size:           4
        .value_kind:     by_value
      - .offset:         88
        .size:           8
        .value_kind:     by_value
      - .offset:         96
        .size:           4
        .value_kind:     by_value
    .group_segment_fixed_size: 4096
    .kernarg_segment_align: 8
    .kernarg_segment_size: 100
    .language:       OpenCL C
    .language_version:
      - 2
      - 0
    .max_flat_workgroup_size: 256
    .name:           _ZL29rocblas_internal_gemmt_kernelIiLi16ELi32ELi8ELc84ELc67ELc76ELb0ELb1E19rocblas_complex_numIfEPKS1_PKS3_PKPS1_EviT_T9_T10_S9_lSB_S9_lSA_T11_S9_li
    .private_segment_fixed_size: 0
    .sgpr_count:     29
    .sgpr_spill_count: 0
    .symbol:         _ZL29rocblas_internal_gemmt_kernelIiLi16ELi32ELi8ELc84ELc67ELc76ELb0ELb1E19rocblas_complex_numIfEPKS1_PKS3_PKPS1_EviT_T9_T10_S9_lSB_S9_lSA_T11_S9_li.kd
    .uniform_work_group_size: 1
    .uses_dynamic_stack: false
    .vgpr_count:     59
    .vgpr_spill_count: 0
    .wavefront_size: 32
    .workgroup_processor_mode: 1
  - .args:
      - .offset:         0
        .size:           4
        .value_kind:     by_value
      - .offset:         4
        .size:           4
        .value_kind:     by_value
      - .address_space:  global
        .offset:         8
        .size:           8
        .value_kind:     global_buffer
      - .address_space:  global
        .offset:         16
        .size:           8
        .value_kind:     global_buffer
      - .offset:         24
        .size:           4
        .value_kind:     by_value
      - .offset:         32
        .size:           8
        .value_kind:     by_value
      - .address_space:  global
        .offset:         40
        .size:           8
        .value_kind:     global_buffer
      - .offset:         48
        .size:           4
        .value_kind:     by_value
      - .offset:         56
        .size:           8
        .value_kind:     by_value
      - .address_space:  global
        .offset:         64
        .size:           8
        .value_kind:     global_buffer
      - .address_space:  global
        .offset:         72
        .size:           8
        .value_kind:     global_buffer
      - .offset:         80
        .size:           4
        .value_kind:     by_value
      - .offset:         88
        .size:           8
        .value_kind:     by_value
      - .offset:         96
        .size:           4
        .value_kind:     by_value
    .group_segment_fixed_size: 4096
    .kernarg_segment_align: 8
    .kernarg_segment_size: 100
    .language:       OpenCL C
    .language_version:
      - 2
      - 0
    .max_flat_workgroup_size: 256
    .name:           _ZL29rocblas_internal_gemmt_kernelIiLi16ELi32ELi8ELc67ELc78ELc76ELb1ELb0E19rocblas_complex_numIfEPKS1_PKS3_PKPS1_EviT_T9_T10_S9_lSB_S9_lSA_T11_S9_li
    .private_segment_fixed_size: 0
    .sgpr_count:     29
    .sgpr_spill_count: 0
    .symbol:         _ZL29rocblas_internal_gemmt_kernelIiLi16ELi32ELi8ELc67ELc78ELc76ELb1ELb0E19rocblas_complex_numIfEPKS1_PKS3_PKPS1_EviT_T9_T10_S9_lSB_S9_lSA_T11_S9_li.kd
    .uniform_work_group_size: 1
    .uses_dynamic_stack: false
    .vgpr_count:     59
    .vgpr_spill_count: 0
    .wavefront_size: 32
    .workgroup_processor_mode: 1
  - .args:
      - .offset:         0
        .size:           4
        .value_kind:     by_value
      - .offset:         4
        .size:           4
        .value_kind:     by_value
      - .address_space:  global
        .offset:         8
        .size:           8
        .value_kind:     global_buffer
      - .address_space:  global
        .offset:         16
        .size:           8
        .value_kind:     global_buffer
      - .offset:         24
        .size:           4
        .value_kind:     by_value
      - .offset:         32
        .size:           8
        .value_kind:     by_value
      - .address_space:  global
        .offset:         40
        .size:           8
        .value_kind:     global_buffer
      - .offset:         48
        .size:           4
        .value_kind:     by_value
      - .offset:         56
        .size:           8
        .value_kind:     by_value
      - .address_space:  global
        .offset:         64
        .size:           8
        .value_kind:     global_buffer
      - .address_space:  global
        .offset:         72
        .size:           8
        .value_kind:     global_buffer
      - .offset:         80
        .size:           4
        .value_kind:     by_value
      - .offset:         88
        .size:           8
        .value_kind:     by_value
      - .offset:         96
        .size:           4
        .value_kind:     by_value
    .group_segment_fixed_size: 4096
    .kernarg_segment_align: 8
    .kernarg_segment_size: 100
    .language:       OpenCL C
    .language_version:
      - 2
      - 0
    .max_flat_workgroup_size: 256
    .name:           _ZL29rocblas_internal_gemmt_kernelIiLi16ELi32ELi8ELc67ELc84ELc76ELb1ELb0E19rocblas_complex_numIfEPKS1_PKS3_PKPS1_EviT_T9_T10_S9_lSB_S9_lSA_T11_S9_li
    .private_segment_fixed_size: 0
    .sgpr_count:     29
    .sgpr_spill_count: 0
    .symbol:         _ZL29rocblas_internal_gemmt_kernelIiLi16ELi32ELi8ELc67ELc84ELc76ELb1ELb0E19rocblas_complex_numIfEPKS1_PKS3_PKPS1_EviT_T9_T10_S9_lSB_S9_lSA_T11_S9_li.kd
    .uniform_work_group_size: 1
    .uses_dynamic_stack: false
    .vgpr_count:     59
    .vgpr_spill_count: 0
    .wavefront_size: 32
    .workgroup_processor_mode: 1
  - .args:
      - .offset:         0
        .size:           4
        .value_kind:     by_value
      - .offset:         4
        .size:           4
        .value_kind:     by_value
      - .address_space:  global
        .offset:         8
        .size:           8
        .value_kind:     global_buffer
      - .address_space:  global
        .offset:         16
        .size:           8
        .value_kind:     global_buffer
      - .offset:         24
        .size:           4
        .value_kind:     by_value
      - .offset:         32
        .size:           8
        .value_kind:     by_value
      - .address_space:  global
        .offset:         40
        .size:           8
        .value_kind:     global_buffer
      - .offset:         48
        .size:           4
        .value_kind:     by_value
      - .offset:         56
        .size:           8
        .value_kind:     by_value
      - .address_space:  global
        .offset:         64
        .size:           8
        .value_kind:     global_buffer
      - .address_space:  global
        .offset:         72
        .size:           8
        .value_kind:     global_buffer
      - .offset:         80
        .size:           4
        .value_kind:     by_value
      - .offset:         88
        .size:           8
        .value_kind:     by_value
      - .offset:         96
        .size:           4
        .value_kind:     by_value
    .group_segment_fixed_size: 4096
    .kernarg_segment_align: 8
    .kernarg_segment_size: 100
    .language:       OpenCL C
    .language_version:
      - 2
      - 0
    .max_flat_workgroup_size: 256
    .name:           _ZL29rocblas_internal_gemmt_kernelIiLi16ELi32ELi8ELc67ELc67ELc76ELb1ELb1E19rocblas_complex_numIfEPKS1_PKS3_PKPS1_EviT_T9_T10_S9_lSB_S9_lSA_T11_S9_li
    .private_segment_fixed_size: 0
    .sgpr_count:     29
    .sgpr_spill_count: 0
    .symbol:         _ZL29rocblas_internal_gemmt_kernelIiLi16ELi32ELi8ELc67ELc67ELc76ELb1ELb1E19rocblas_complex_numIfEPKS1_PKS3_PKPS1_EviT_T9_T10_S9_lSB_S9_lSA_T11_S9_li.kd
    .uniform_work_group_size: 1
    .uses_dynamic_stack: false
    .vgpr_count:     59
    .vgpr_spill_count: 0
    .wavefront_size: 32
    .workgroup_processor_mode: 1
  - .args:
      - .offset:         0
        .size:           4
        .value_kind:     by_value
      - .offset:         4
        .size:           4
        .value_kind:     by_value
      - .offset:         8
        .size:           8
        .value_kind:     by_value
      - .address_space:  global
        .offset:         16
        .size:           8
        .value_kind:     global_buffer
      - .offset:         24
        .size:           4
        .value_kind:     by_value
      - .offset:         32
        .size:           8
        .value_kind:     by_value
      - .address_space:  global
        .offset:         40
        .size:           8
        .value_kind:     global_buffer
      - .offset:         48
        .size:           4
        .value_kind:     by_value
      - .offset:         56
        .size:           8
        .value_kind:     by_value
      - .offset:         64
        .size:           8
        .value_kind:     by_value
      - .address_space:  global
        .offset:         72
        .size:           8
        .value_kind:     global_buffer
      - .offset:         80
        .size:           4
        .value_kind:     by_value
      - .offset:         88
        .size:           8
        .value_kind:     by_value
      - .offset:         96
        .size:           4
        .value_kind:     by_value
    .group_segment_fixed_size: 4096
    .kernarg_segment_align: 8
    .kernarg_segment_size: 100
    .language:       OpenCL C
    .language_version:
      - 2
      - 0
    .max_flat_workgroup_size: 256
    .name:           _ZL29rocblas_internal_gemmt_kernelIiLi16ELi32ELi8ELc78ELc78ELc85ELb0ELb0E19rocblas_complex_numIfES1_PKPKS1_PKPS1_EviT_T9_T10_S9_lSB_S9_lSA_T11_S9_li
    .private_segment_fixed_size: 0
    .sgpr_count:     29
    .sgpr_spill_count: 0
    .symbol:         _ZL29rocblas_internal_gemmt_kernelIiLi16ELi32ELi8ELc78ELc78ELc85ELb0ELb0E19rocblas_complex_numIfES1_PKPKS1_PKPS1_EviT_T9_T10_S9_lSB_S9_lSA_T11_S9_li.kd
    .uniform_work_group_size: 1
    .uses_dynamic_stack: false
    .vgpr_count:     59
    .vgpr_spill_count: 0
    .wavefront_size: 32
    .workgroup_processor_mode: 1
  - .args:
      - .offset:         0
        .size:           4
        .value_kind:     by_value
      - .offset:         4
        .size:           4
        .value_kind:     by_value
      - .offset:         8
        .size:           8
        .value_kind:     by_value
      - .address_space:  global
        .offset:         16
        .size:           8
        .value_kind:     global_buffer
      - .offset:         24
        .size:           4
        .value_kind:     by_value
      - .offset:         32
        .size:           8
        .value_kind:     by_value
      - .address_space:  global
        .offset:         40
        .size:           8
        .value_kind:     global_buffer
      - .offset:         48
        .size:           4
        .value_kind:     by_value
      - .offset:         56
        .size:           8
        .value_kind:     by_value
      - .offset:         64
        .size:           8
        .value_kind:     by_value
      - .address_space:  global
        .offset:         72
        .size:           8
        .value_kind:     global_buffer
      - .offset:         80
        .size:           4
        .value_kind:     by_value
      - .offset:         88
        .size:           8
        .value_kind:     by_value
      - .offset:         96
        .size:           4
        .value_kind:     by_value
    .group_segment_fixed_size: 4096
    .kernarg_segment_align: 8
    .kernarg_segment_size: 100
    .language:       OpenCL C
    .language_version:
      - 2
      - 0
    .max_flat_workgroup_size: 256
    .name:           _ZL29rocblas_internal_gemmt_kernelIiLi16ELi32ELi8ELc78ELc84ELc85ELb0ELb0E19rocblas_complex_numIfES1_PKPKS1_PKPS1_EviT_T9_T10_S9_lSB_S9_lSA_T11_S9_li
    .private_segment_fixed_size: 0
    .sgpr_count:     30
    .sgpr_spill_count: 0
    .symbol:         _ZL29rocblas_internal_gemmt_kernelIiLi16ELi32ELi8ELc78ELc84ELc85ELb0ELb0E19rocblas_complex_numIfES1_PKPKS1_PKPS1_EviT_T9_T10_S9_lSB_S9_lSA_T11_S9_li.kd
    .uniform_work_group_size: 1
    .uses_dynamic_stack: false
    .vgpr_count:     59
    .vgpr_spill_count: 0
    .wavefront_size: 32
    .workgroup_processor_mode: 1
  - .args:
      - .offset:         0
        .size:           4
        .value_kind:     by_value
      - .offset:         4
        .size:           4
        .value_kind:     by_value
      - .offset:         8
        .size:           8
        .value_kind:     by_value
      - .address_space:  global
        .offset:         16
        .size:           8
        .value_kind:     global_buffer
      - .offset:         24
        .size:           4
        .value_kind:     by_value
      - .offset:         32
        .size:           8
        .value_kind:     by_value
      - .address_space:  global
        .offset:         40
        .size:           8
        .value_kind:     global_buffer
      - .offset:         48
        .size:           4
        .value_kind:     by_value
      - .offset:         56
        .size:           8
        .value_kind:     by_value
      - .offset:         64
        .size:           8
        .value_kind:     by_value
      - .address_space:  global
        .offset:         72
        .size:           8
        .value_kind:     global_buffer
      - .offset:         80
        .size:           4
        .value_kind:     by_value
      - .offset:         88
        .size:           8
        .value_kind:     by_value
      - .offset:         96
        .size:           4
        .value_kind:     by_value
    .group_segment_fixed_size: 4096
    .kernarg_segment_align: 8
    .kernarg_segment_size: 100
    .language:       OpenCL C
    .language_version:
      - 2
      - 0
    .max_flat_workgroup_size: 256
    .name:           _ZL29rocblas_internal_gemmt_kernelIiLi16ELi32ELi8ELc78ELc67ELc85ELb0ELb1E19rocblas_complex_numIfES1_PKPKS1_PKPS1_EviT_T9_T10_S9_lSB_S9_lSA_T11_S9_li
    .private_segment_fixed_size: 0
    .sgpr_count:     30
    .sgpr_spill_count: 0
    .symbol:         _ZL29rocblas_internal_gemmt_kernelIiLi16ELi32ELi8ELc78ELc67ELc85ELb0ELb1E19rocblas_complex_numIfES1_PKPKS1_PKPS1_EviT_T9_T10_S9_lSB_S9_lSA_T11_S9_li.kd
    .uniform_work_group_size: 1
    .uses_dynamic_stack: false
    .vgpr_count:     59
    .vgpr_spill_count: 0
    .wavefront_size: 32
    .workgroup_processor_mode: 1
  - .args:
      - .offset:         0
        .size:           4
        .value_kind:     by_value
      - .offset:         4
        .size:           4
        .value_kind:     by_value
      - .offset:         8
        .size:           8
        .value_kind:     by_value
      - .address_space:  global
        .offset:         16
        .size:           8
        .value_kind:     global_buffer
      - .offset:         24
        .size:           4
        .value_kind:     by_value
      - .offset:         32
        .size:           8
        .value_kind:     by_value
      - .address_space:  global
        .offset:         40
        .size:           8
        .value_kind:     global_buffer
      - .offset:         48
        .size:           4
        .value_kind:     by_value
      - .offset:         56
        .size:           8
        .value_kind:     by_value
      - .offset:         64
        .size:           8
        .value_kind:     by_value
      - .address_space:  global
        .offset:         72
        .size:           8
        .value_kind:     global_buffer
      - .offset:         80
        .size:           4
        .value_kind:     by_value
      - .offset:         88
        .size:           8
        .value_kind:     by_value
      - .offset:         96
        .size:           4
        .value_kind:     by_value
    .group_segment_fixed_size: 4096
    .kernarg_segment_align: 8
    .kernarg_segment_size: 100
    .language:       OpenCL C
    .language_version:
      - 2
      - 0
    .max_flat_workgroup_size: 256
    .name:           _ZL29rocblas_internal_gemmt_kernelIiLi16ELi32ELi8ELc84ELc78ELc85ELb0ELb0E19rocblas_complex_numIfES1_PKPKS1_PKPS1_EviT_T9_T10_S9_lSB_S9_lSA_T11_S9_li
    .private_segment_fixed_size: 0
    .sgpr_count:     28
    .sgpr_spill_count: 0
    .symbol:         _ZL29rocblas_internal_gemmt_kernelIiLi16ELi32ELi8ELc84ELc78ELc85ELb0ELb0E19rocblas_complex_numIfES1_PKPKS1_PKPS1_EviT_T9_T10_S9_lSB_S9_lSA_T11_S9_li.kd
    .uniform_work_group_size: 1
    .uses_dynamic_stack: false
    .vgpr_count:     59
    .vgpr_spill_count: 0
    .wavefront_size: 32
    .workgroup_processor_mode: 1
  - .args:
      - .offset:         0
        .size:           4
        .value_kind:     by_value
      - .offset:         4
        .size:           4
        .value_kind:     by_value
      - .offset:         8
        .size:           8
        .value_kind:     by_value
      - .address_space:  global
        .offset:         16
        .size:           8
        .value_kind:     global_buffer
      - .offset:         24
        .size:           4
        .value_kind:     by_value
      - .offset:         32
        .size:           8
        .value_kind:     by_value
      - .address_space:  global
        .offset:         40
        .size:           8
        .value_kind:     global_buffer
      - .offset:         48
        .size:           4
        .value_kind:     by_value
      - .offset:         56
        .size:           8
        .value_kind:     by_value
      - .offset:         64
        .size:           8
        .value_kind:     by_value
      - .address_space:  global
        .offset:         72
        .size:           8
        .value_kind:     global_buffer
      - .offset:         80
        .size:           4
        .value_kind:     by_value
      - .offset:         88
        .size:           8
        .value_kind:     by_value
      - .offset:         96
        .size:           4
        .value_kind:     by_value
    .group_segment_fixed_size: 4096
    .kernarg_segment_align: 8
    .kernarg_segment_size: 100
    .language:       OpenCL C
    .language_version:
      - 2
      - 0
    .max_flat_workgroup_size: 256
    .name:           _ZL29rocblas_internal_gemmt_kernelIiLi16ELi32ELi8ELc84ELc84ELc85ELb0ELb0E19rocblas_complex_numIfES1_PKPKS1_PKPS1_EviT_T9_T10_S9_lSB_S9_lSA_T11_S9_li
    .private_segment_fixed_size: 0
    .sgpr_count:     29
    .sgpr_spill_count: 0
    .symbol:         _ZL29rocblas_internal_gemmt_kernelIiLi16ELi32ELi8ELc84ELc84ELc85ELb0ELb0E19rocblas_complex_numIfES1_PKPKS1_PKPS1_EviT_T9_T10_S9_lSB_S9_lSA_T11_S9_li.kd
    .uniform_work_group_size: 1
    .uses_dynamic_stack: false
    .vgpr_count:     59
    .vgpr_spill_count: 0
    .wavefront_size: 32
    .workgroup_processor_mode: 1
  - .args:
      - .offset:         0
        .size:           4
        .value_kind:     by_value
      - .offset:         4
        .size:           4
        .value_kind:     by_value
      - .offset:         8
        .size:           8
        .value_kind:     by_value
      - .address_space:  global
        .offset:         16
        .size:           8
        .value_kind:     global_buffer
      - .offset:         24
        .size:           4
        .value_kind:     by_value
      - .offset:         32
        .size:           8
        .value_kind:     by_value
      - .address_space:  global
        .offset:         40
        .size:           8
        .value_kind:     global_buffer
      - .offset:         48
        .size:           4
        .value_kind:     by_value
      - .offset:         56
        .size:           8
        .value_kind:     by_value
      - .offset:         64
        .size:           8
        .value_kind:     by_value
      - .address_space:  global
        .offset:         72
        .size:           8
        .value_kind:     global_buffer
      - .offset:         80
        .size:           4
        .value_kind:     by_value
      - .offset:         88
        .size:           8
        .value_kind:     by_value
      - .offset:         96
        .size:           4
        .value_kind:     by_value
    .group_segment_fixed_size: 4096
    .kernarg_segment_align: 8
    .kernarg_segment_size: 100
    .language:       OpenCL C
    .language_version:
      - 2
      - 0
    .max_flat_workgroup_size: 256
    .name:           _ZL29rocblas_internal_gemmt_kernelIiLi16ELi32ELi8ELc84ELc67ELc85ELb0ELb1E19rocblas_complex_numIfES1_PKPKS1_PKPS1_EviT_T9_T10_S9_lSB_S9_lSA_T11_S9_li
    .private_segment_fixed_size: 0
    .sgpr_count:     29
    .sgpr_spill_count: 0
    .symbol:         _ZL29rocblas_internal_gemmt_kernelIiLi16ELi32ELi8ELc84ELc67ELc85ELb0ELb1E19rocblas_complex_numIfES1_PKPKS1_PKPS1_EviT_T9_T10_S9_lSB_S9_lSA_T11_S9_li.kd
    .uniform_work_group_size: 1
    .uses_dynamic_stack: false
    .vgpr_count:     59
    .vgpr_spill_count: 0
    .wavefront_size: 32
    .workgroup_processor_mode: 1
  - .args:
      - .offset:         0
        .size:           4
        .value_kind:     by_value
      - .offset:         4
        .size:           4
        .value_kind:     by_value
      - .offset:         8
        .size:           8
        .value_kind:     by_value
      - .address_space:  global
        .offset:         16
        .size:           8
        .value_kind:     global_buffer
      - .offset:         24
        .size:           4
        .value_kind:     by_value
      - .offset:         32
        .size:           8
        .value_kind:     by_value
      - .address_space:  global
        .offset:         40
        .size:           8
        .value_kind:     global_buffer
      - .offset:         48
        .size:           4
        .value_kind:     by_value
      - .offset:         56
        .size:           8
        .value_kind:     by_value
      - .offset:         64
        .size:           8
        .value_kind:     by_value
      - .address_space:  global
        .offset:         72
        .size:           8
        .value_kind:     global_buffer
      - .offset:         80
        .size:           4
        .value_kind:     by_value
      - .offset:         88
        .size:           8
        .value_kind:     by_value
      - .offset:         96
        .size:           4
        .value_kind:     by_value
    .group_segment_fixed_size: 4096
    .kernarg_segment_align: 8
    .kernarg_segment_size: 100
    .language:       OpenCL C
    .language_version:
      - 2
      - 0
    .max_flat_workgroup_size: 256
    .name:           _ZL29rocblas_internal_gemmt_kernelIiLi16ELi32ELi8ELc67ELc78ELc85ELb1ELb0E19rocblas_complex_numIfES1_PKPKS1_PKPS1_EviT_T9_T10_S9_lSB_S9_lSA_T11_S9_li
    .private_segment_fixed_size: 0
    .sgpr_count:     28
    .sgpr_spill_count: 0
    .symbol:         _ZL29rocblas_internal_gemmt_kernelIiLi16ELi32ELi8ELc67ELc78ELc85ELb1ELb0E19rocblas_complex_numIfES1_PKPKS1_PKPS1_EviT_T9_T10_S9_lSB_S9_lSA_T11_S9_li.kd
    .uniform_work_group_size: 1
    .uses_dynamic_stack: false
    .vgpr_count:     59
    .vgpr_spill_count: 0
    .wavefront_size: 32
    .workgroup_processor_mode: 1
  - .args:
      - .offset:         0
        .size:           4
        .value_kind:     by_value
      - .offset:         4
        .size:           4
        .value_kind:     by_value
      - .offset:         8
        .size:           8
        .value_kind:     by_value
      - .address_space:  global
        .offset:         16
        .size:           8
        .value_kind:     global_buffer
      - .offset:         24
        .size:           4
        .value_kind:     by_value
      - .offset:         32
        .size:           8
        .value_kind:     by_value
      - .address_space:  global
        .offset:         40
        .size:           8
        .value_kind:     global_buffer
      - .offset:         48
        .size:           4
        .value_kind:     by_value
      - .offset:         56
        .size:           8
        .value_kind:     by_value
      - .offset:         64
        .size:           8
        .value_kind:     by_value
      - .address_space:  global
        .offset:         72
        .size:           8
        .value_kind:     global_buffer
      - .offset:         80
        .size:           4
        .value_kind:     by_value
      - .offset:         88
        .size:           8
        .value_kind:     by_value
      - .offset:         96
        .size:           4
        .value_kind:     by_value
    .group_segment_fixed_size: 4096
    .kernarg_segment_align: 8
    .kernarg_segment_size: 100
    .language:       OpenCL C
    .language_version:
      - 2
      - 0
    .max_flat_workgroup_size: 256
    .name:           _ZL29rocblas_internal_gemmt_kernelIiLi16ELi32ELi8ELc67ELc84ELc85ELb1ELb0E19rocblas_complex_numIfES1_PKPKS1_PKPS1_EviT_T9_T10_S9_lSB_S9_lSA_T11_S9_li
    .private_segment_fixed_size: 0
    .sgpr_count:     29
    .sgpr_spill_count: 0
    .symbol:         _ZL29rocblas_internal_gemmt_kernelIiLi16ELi32ELi8ELc67ELc84ELc85ELb1ELb0E19rocblas_complex_numIfES1_PKPKS1_PKPS1_EviT_T9_T10_S9_lSB_S9_lSA_T11_S9_li.kd
    .uniform_work_group_size: 1
    .uses_dynamic_stack: false
    .vgpr_count:     59
    .vgpr_spill_count: 0
    .wavefront_size: 32
    .workgroup_processor_mode: 1
  - .args:
      - .offset:         0
        .size:           4
        .value_kind:     by_value
      - .offset:         4
        .size:           4
        .value_kind:     by_value
      - .offset:         8
        .size:           8
        .value_kind:     by_value
      - .address_space:  global
        .offset:         16
        .size:           8
        .value_kind:     global_buffer
      - .offset:         24
        .size:           4
        .value_kind:     by_value
      - .offset:         32
        .size:           8
        .value_kind:     by_value
      - .address_space:  global
        .offset:         40
        .size:           8
        .value_kind:     global_buffer
      - .offset:         48
        .size:           4
        .value_kind:     by_value
      - .offset:         56
        .size:           8
        .value_kind:     by_value
      - .offset:         64
        .size:           8
        .value_kind:     by_value
      - .address_space:  global
        .offset:         72
        .size:           8
        .value_kind:     global_buffer
      - .offset:         80
        .size:           4
        .value_kind:     by_value
      - .offset:         88
        .size:           8
        .value_kind:     by_value
      - .offset:         96
        .size:           4
        .value_kind:     by_value
    .group_segment_fixed_size: 4096
    .kernarg_segment_align: 8
    .kernarg_segment_size: 100
    .language:       OpenCL C
    .language_version:
      - 2
      - 0
    .max_flat_workgroup_size: 256
    .name:           _ZL29rocblas_internal_gemmt_kernelIiLi16ELi32ELi8ELc67ELc67ELc85ELb1ELb1E19rocblas_complex_numIfES1_PKPKS1_PKPS1_EviT_T9_T10_S9_lSB_S9_lSA_T11_S9_li
    .private_segment_fixed_size: 0
    .sgpr_count:     29
    .sgpr_spill_count: 0
    .symbol:         _ZL29rocblas_internal_gemmt_kernelIiLi16ELi32ELi8ELc67ELc67ELc85ELb1ELb1E19rocblas_complex_numIfES1_PKPKS1_PKPS1_EviT_T9_T10_S9_lSB_S9_lSA_T11_S9_li.kd
    .uniform_work_group_size: 1
    .uses_dynamic_stack: false
    .vgpr_count:     59
    .vgpr_spill_count: 0
    .wavefront_size: 32
    .workgroup_processor_mode: 1
  - .args:
      - .offset:         0
        .size:           4
        .value_kind:     by_value
      - .offset:         4
        .size:           4
        .value_kind:     by_value
      - .offset:         8
        .size:           8
        .value_kind:     by_value
      - .address_space:  global
        .offset:         16
        .size:           8
        .value_kind:     global_buffer
      - .offset:         24
        .size:           4
        .value_kind:     by_value
      - .offset:         32
        .size:           8
        .value_kind:     by_value
      - .address_space:  global
        .offset:         40
        .size:           8
        .value_kind:     global_buffer
      - .offset:         48
        .size:           4
        .value_kind:     by_value
      - .offset:         56
        .size:           8
        .value_kind:     by_value
      - .offset:         64
        .size:           8
        .value_kind:     by_value
      - .address_space:  global
        .offset:         72
        .size:           8
        .value_kind:     global_buffer
      - .offset:         80
        .size:           4
        .value_kind:     by_value
      - .offset:         88
        .size:           8
        .value_kind:     by_value
      - .offset:         96
        .size:           4
        .value_kind:     by_value
    .group_segment_fixed_size: 4096
    .kernarg_segment_align: 8
    .kernarg_segment_size: 100
    .language:       OpenCL C
    .language_version:
      - 2
      - 0
    .max_flat_workgroup_size: 256
    .name:           _ZL29rocblas_internal_gemmt_kernelIiLi16ELi32ELi8ELc78ELc78ELc76ELb0ELb0E19rocblas_complex_numIfES1_PKPKS1_PKPS1_EviT_T9_T10_S9_lSB_S9_lSA_T11_S9_li
    .private_segment_fixed_size: 0
    .sgpr_count:     29
    .sgpr_spill_count: 0
    .symbol:         _ZL29rocblas_internal_gemmt_kernelIiLi16ELi32ELi8ELc78ELc78ELc76ELb0ELb0E19rocblas_complex_numIfES1_PKPKS1_PKPS1_EviT_T9_T10_S9_lSB_S9_lSA_T11_S9_li.kd
    .uniform_work_group_size: 1
    .uses_dynamic_stack: false
    .vgpr_count:     59
    .vgpr_spill_count: 0
    .wavefront_size: 32
    .workgroup_processor_mode: 1
  - .args:
      - .offset:         0
        .size:           4
        .value_kind:     by_value
      - .offset:         4
        .size:           4
        .value_kind:     by_value
      - .offset:         8
        .size:           8
        .value_kind:     by_value
      - .address_space:  global
        .offset:         16
        .size:           8
        .value_kind:     global_buffer
      - .offset:         24
        .size:           4
        .value_kind:     by_value
      - .offset:         32
        .size:           8
        .value_kind:     by_value
      - .address_space:  global
        .offset:         40
        .size:           8
        .value_kind:     global_buffer
      - .offset:         48
        .size:           4
        .value_kind:     by_value
      - .offset:         56
        .size:           8
        .value_kind:     by_value
      - .offset:         64
        .size:           8
        .value_kind:     by_value
      - .address_space:  global
        .offset:         72
        .size:           8
        .value_kind:     global_buffer
      - .offset:         80
        .size:           4
        .value_kind:     by_value
      - .offset:         88
        .size:           8
        .value_kind:     by_value
      - .offset:         96
        .size:           4
        .value_kind:     by_value
    .group_segment_fixed_size: 4096
    .kernarg_segment_align: 8
    .kernarg_segment_size: 100
    .language:       OpenCL C
    .language_version:
      - 2
      - 0
    .max_flat_workgroup_size: 256
    .name:           _ZL29rocblas_internal_gemmt_kernelIiLi16ELi32ELi8ELc78ELc84ELc76ELb0ELb0E19rocblas_complex_numIfES1_PKPKS1_PKPS1_EviT_T9_T10_S9_lSB_S9_lSA_T11_S9_li
    .private_segment_fixed_size: 0
    .sgpr_count:     30
    .sgpr_spill_count: 0
    .symbol:         _ZL29rocblas_internal_gemmt_kernelIiLi16ELi32ELi8ELc78ELc84ELc76ELb0ELb0E19rocblas_complex_numIfES1_PKPKS1_PKPS1_EviT_T9_T10_S9_lSB_S9_lSA_T11_S9_li.kd
    .uniform_work_group_size: 1
    .uses_dynamic_stack: false
    .vgpr_count:     59
    .vgpr_spill_count: 0
    .wavefront_size: 32
    .workgroup_processor_mode: 1
  - .args:
      - .offset:         0
        .size:           4
        .value_kind:     by_value
      - .offset:         4
        .size:           4
        .value_kind:     by_value
      - .offset:         8
        .size:           8
        .value_kind:     by_value
      - .address_space:  global
        .offset:         16
        .size:           8
        .value_kind:     global_buffer
      - .offset:         24
        .size:           4
        .value_kind:     by_value
      - .offset:         32
        .size:           8
        .value_kind:     by_value
      - .address_space:  global
        .offset:         40
        .size:           8
        .value_kind:     global_buffer
      - .offset:         48
        .size:           4
        .value_kind:     by_value
      - .offset:         56
        .size:           8
        .value_kind:     by_value
      - .offset:         64
        .size:           8
        .value_kind:     by_value
      - .address_space:  global
        .offset:         72
        .size:           8
        .value_kind:     global_buffer
      - .offset:         80
        .size:           4
        .value_kind:     by_value
      - .offset:         88
        .size:           8
        .value_kind:     by_value
      - .offset:         96
        .size:           4
        .value_kind:     by_value
    .group_segment_fixed_size: 4096
    .kernarg_segment_align: 8
    .kernarg_segment_size: 100
    .language:       OpenCL C
    .language_version:
      - 2
      - 0
    .max_flat_workgroup_size: 256
    .name:           _ZL29rocblas_internal_gemmt_kernelIiLi16ELi32ELi8ELc78ELc67ELc76ELb0ELb1E19rocblas_complex_numIfES1_PKPKS1_PKPS1_EviT_T9_T10_S9_lSB_S9_lSA_T11_S9_li
    .private_segment_fixed_size: 0
    .sgpr_count:     30
    .sgpr_spill_count: 0
    .symbol:         _ZL29rocblas_internal_gemmt_kernelIiLi16ELi32ELi8ELc78ELc67ELc76ELb0ELb1E19rocblas_complex_numIfES1_PKPKS1_PKPS1_EviT_T9_T10_S9_lSB_S9_lSA_T11_S9_li.kd
    .uniform_work_group_size: 1
    .uses_dynamic_stack: false
    .vgpr_count:     59
    .vgpr_spill_count: 0
    .wavefront_size: 32
    .workgroup_processor_mode: 1
  - .args:
      - .offset:         0
        .size:           4
        .value_kind:     by_value
      - .offset:         4
        .size:           4
        .value_kind:     by_value
      - .offset:         8
        .size:           8
        .value_kind:     by_value
      - .address_space:  global
        .offset:         16
        .size:           8
        .value_kind:     global_buffer
      - .offset:         24
        .size:           4
        .value_kind:     by_value
      - .offset:         32
        .size:           8
        .value_kind:     by_value
      - .address_space:  global
        .offset:         40
        .size:           8
        .value_kind:     global_buffer
      - .offset:         48
        .size:           4
        .value_kind:     by_value
      - .offset:         56
        .size:           8
        .value_kind:     by_value
      - .offset:         64
        .size:           8
        .value_kind:     by_value
      - .address_space:  global
        .offset:         72
        .size:           8
        .value_kind:     global_buffer
      - .offset:         80
        .size:           4
        .value_kind:     by_value
      - .offset:         88
        .size:           8
        .value_kind:     by_value
      - .offset:         96
        .size:           4
        .value_kind:     by_value
    .group_segment_fixed_size: 4096
    .kernarg_segment_align: 8
    .kernarg_segment_size: 100
    .language:       OpenCL C
    .language_version:
      - 2
      - 0
    .max_flat_workgroup_size: 256
    .name:           _ZL29rocblas_internal_gemmt_kernelIiLi16ELi32ELi8ELc84ELc78ELc76ELb0ELb0E19rocblas_complex_numIfES1_PKPKS1_PKPS1_EviT_T9_T10_S9_lSB_S9_lSA_T11_S9_li
    .private_segment_fixed_size: 0
    .sgpr_count:     28
    .sgpr_spill_count: 0
    .symbol:         _ZL29rocblas_internal_gemmt_kernelIiLi16ELi32ELi8ELc84ELc78ELc76ELb0ELb0E19rocblas_complex_numIfES1_PKPKS1_PKPS1_EviT_T9_T10_S9_lSB_S9_lSA_T11_S9_li.kd
    .uniform_work_group_size: 1
    .uses_dynamic_stack: false
    .vgpr_count:     59
    .vgpr_spill_count: 0
    .wavefront_size: 32
    .workgroup_processor_mode: 1
  - .args:
      - .offset:         0
        .size:           4
        .value_kind:     by_value
      - .offset:         4
        .size:           4
        .value_kind:     by_value
      - .offset:         8
        .size:           8
        .value_kind:     by_value
      - .address_space:  global
        .offset:         16
        .size:           8
        .value_kind:     global_buffer
      - .offset:         24
        .size:           4
        .value_kind:     by_value
      - .offset:         32
        .size:           8
        .value_kind:     by_value
      - .address_space:  global
        .offset:         40
        .size:           8
        .value_kind:     global_buffer
      - .offset:         48
        .size:           4
        .value_kind:     by_value
      - .offset:         56
        .size:           8
        .value_kind:     by_value
      - .offset:         64
        .size:           8
        .value_kind:     by_value
      - .address_space:  global
        .offset:         72
        .size:           8
        .value_kind:     global_buffer
      - .offset:         80
        .size:           4
        .value_kind:     by_value
      - .offset:         88
        .size:           8
        .value_kind:     by_value
      - .offset:         96
        .size:           4
        .value_kind:     by_value
    .group_segment_fixed_size: 4096
    .kernarg_segment_align: 8
    .kernarg_segment_size: 100
    .language:       OpenCL C
    .language_version:
      - 2
      - 0
    .max_flat_workgroup_size: 256
    .name:           _ZL29rocblas_internal_gemmt_kernelIiLi16ELi32ELi8ELc84ELc84ELc76ELb0ELb0E19rocblas_complex_numIfES1_PKPKS1_PKPS1_EviT_T9_T10_S9_lSB_S9_lSA_T11_S9_li
    .private_segment_fixed_size: 0
    .sgpr_count:     29
    .sgpr_spill_count: 0
    .symbol:         _ZL29rocblas_internal_gemmt_kernelIiLi16ELi32ELi8ELc84ELc84ELc76ELb0ELb0E19rocblas_complex_numIfES1_PKPKS1_PKPS1_EviT_T9_T10_S9_lSB_S9_lSA_T11_S9_li.kd
    .uniform_work_group_size: 1
    .uses_dynamic_stack: false
    .vgpr_count:     59
    .vgpr_spill_count: 0
    .wavefront_size: 32
    .workgroup_processor_mode: 1
  - .args:
      - .offset:         0
        .size:           4
        .value_kind:     by_value
      - .offset:         4
        .size:           4
        .value_kind:     by_value
      - .offset:         8
        .size:           8
        .value_kind:     by_value
      - .address_space:  global
        .offset:         16
        .size:           8
        .value_kind:     global_buffer
      - .offset:         24
        .size:           4
        .value_kind:     by_value
      - .offset:         32
        .size:           8
        .value_kind:     by_value
      - .address_space:  global
        .offset:         40
        .size:           8
        .value_kind:     global_buffer
      - .offset:         48
        .size:           4
        .value_kind:     by_value
      - .offset:         56
        .size:           8
        .value_kind:     by_value
      - .offset:         64
        .size:           8
        .value_kind:     by_value
      - .address_space:  global
        .offset:         72
        .size:           8
        .value_kind:     global_buffer
      - .offset:         80
        .size:           4
        .value_kind:     by_value
      - .offset:         88
        .size:           8
        .value_kind:     by_value
      - .offset:         96
        .size:           4
        .value_kind:     by_value
    .group_segment_fixed_size: 4096
    .kernarg_segment_align: 8
    .kernarg_segment_size: 100
    .language:       OpenCL C
    .language_version:
      - 2
      - 0
    .max_flat_workgroup_size: 256
    .name:           _ZL29rocblas_internal_gemmt_kernelIiLi16ELi32ELi8ELc84ELc67ELc76ELb0ELb1E19rocblas_complex_numIfES1_PKPKS1_PKPS1_EviT_T9_T10_S9_lSB_S9_lSA_T11_S9_li
    .private_segment_fixed_size: 0
    .sgpr_count:     29
    .sgpr_spill_count: 0
    .symbol:         _ZL29rocblas_internal_gemmt_kernelIiLi16ELi32ELi8ELc84ELc67ELc76ELb0ELb1E19rocblas_complex_numIfES1_PKPKS1_PKPS1_EviT_T9_T10_S9_lSB_S9_lSA_T11_S9_li.kd
    .uniform_work_group_size: 1
    .uses_dynamic_stack: false
    .vgpr_count:     59
    .vgpr_spill_count: 0
    .wavefront_size: 32
    .workgroup_processor_mode: 1
  - .args:
      - .offset:         0
        .size:           4
        .value_kind:     by_value
      - .offset:         4
        .size:           4
        .value_kind:     by_value
      - .offset:         8
        .size:           8
        .value_kind:     by_value
      - .address_space:  global
        .offset:         16
        .size:           8
        .value_kind:     global_buffer
      - .offset:         24
        .size:           4
        .value_kind:     by_value
      - .offset:         32
        .size:           8
        .value_kind:     by_value
      - .address_space:  global
        .offset:         40
        .size:           8
        .value_kind:     global_buffer
      - .offset:         48
        .size:           4
        .value_kind:     by_value
      - .offset:         56
        .size:           8
        .value_kind:     by_value
      - .offset:         64
        .size:           8
        .value_kind:     by_value
      - .address_space:  global
        .offset:         72
        .size:           8
        .value_kind:     global_buffer
      - .offset:         80
        .size:           4
        .value_kind:     by_value
      - .offset:         88
        .size:           8
        .value_kind:     by_value
      - .offset:         96
        .size:           4
        .value_kind:     by_value
    .group_segment_fixed_size: 4096
    .kernarg_segment_align: 8
    .kernarg_segment_size: 100
    .language:       OpenCL C
    .language_version:
      - 2
      - 0
    .max_flat_workgroup_size: 256
    .name:           _ZL29rocblas_internal_gemmt_kernelIiLi16ELi32ELi8ELc67ELc78ELc76ELb1ELb0E19rocblas_complex_numIfES1_PKPKS1_PKPS1_EviT_T9_T10_S9_lSB_S9_lSA_T11_S9_li
    .private_segment_fixed_size: 0
    .sgpr_count:     28
    .sgpr_spill_count: 0
    .symbol:         _ZL29rocblas_internal_gemmt_kernelIiLi16ELi32ELi8ELc67ELc78ELc76ELb1ELb0E19rocblas_complex_numIfES1_PKPKS1_PKPS1_EviT_T9_T10_S9_lSB_S9_lSA_T11_S9_li.kd
    .uniform_work_group_size: 1
    .uses_dynamic_stack: false
    .vgpr_count:     59
    .vgpr_spill_count: 0
    .wavefront_size: 32
    .workgroup_processor_mode: 1
  - .args:
      - .offset:         0
        .size:           4
        .value_kind:     by_value
      - .offset:         4
        .size:           4
        .value_kind:     by_value
      - .offset:         8
        .size:           8
        .value_kind:     by_value
      - .address_space:  global
        .offset:         16
        .size:           8
        .value_kind:     global_buffer
      - .offset:         24
        .size:           4
        .value_kind:     by_value
      - .offset:         32
        .size:           8
        .value_kind:     by_value
      - .address_space:  global
        .offset:         40
        .size:           8
        .value_kind:     global_buffer
      - .offset:         48
        .size:           4
        .value_kind:     by_value
      - .offset:         56
        .size:           8
        .value_kind:     by_value
      - .offset:         64
        .size:           8
        .value_kind:     by_value
      - .address_space:  global
        .offset:         72
        .size:           8
        .value_kind:     global_buffer
      - .offset:         80
        .size:           4
        .value_kind:     by_value
      - .offset:         88
        .size:           8
        .value_kind:     by_value
      - .offset:         96
        .size:           4
        .value_kind:     by_value
    .group_segment_fixed_size: 4096
    .kernarg_segment_align: 8
    .kernarg_segment_size: 100
    .language:       OpenCL C
    .language_version:
      - 2
      - 0
    .max_flat_workgroup_size: 256
    .name:           _ZL29rocblas_internal_gemmt_kernelIiLi16ELi32ELi8ELc67ELc84ELc76ELb1ELb0E19rocblas_complex_numIfES1_PKPKS1_PKPS1_EviT_T9_T10_S9_lSB_S9_lSA_T11_S9_li
    .private_segment_fixed_size: 0
    .sgpr_count:     29
    .sgpr_spill_count: 0
    .symbol:         _ZL29rocblas_internal_gemmt_kernelIiLi16ELi32ELi8ELc67ELc84ELc76ELb1ELb0E19rocblas_complex_numIfES1_PKPKS1_PKPS1_EviT_T9_T10_S9_lSB_S9_lSA_T11_S9_li.kd
    .uniform_work_group_size: 1
    .uses_dynamic_stack: false
    .vgpr_count:     59
    .vgpr_spill_count: 0
    .wavefront_size: 32
    .workgroup_processor_mode: 1
  - .args:
      - .offset:         0
        .size:           4
        .value_kind:     by_value
      - .offset:         4
        .size:           4
        .value_kind:     by_value
      - .offset:         8
        .size:           8
        .value_kind:     by_value
      - .address_space:  global
        .offset:         16
        .size:           8
        .value_kind:     global_buffer
      - .offset:         24
        .size:           4
        .value_kind:     by_value
      - .offset:         32
        .size:           8
        .value_kind:     by_value
      - .address_space:  global
        .offset:         40
        .size:           8
        .value_kind:     global_buffer
      - .offset:         48
        .size:           4
        .value_kind:     by_value
      - .offset:         56
        .size:           8
        .value_kind:     by_value
      - .offset:         64
        .size:           8
        .value_kind:     by_value
      - .address_space:  global
        .offset:         72
        .size:           8
        .value_kind:     global_buffer
      - .offset:         80
        .size:           4
        .value_kind:     by_value
      - .offset:         88
        .size:           8
        .value_kind:     by_value
      - .offset:         96
        .size:           4
        .value_kind:     by_value
    .group_segment_fixed_size: 4096
    .kernarg_segment_align: 8
    .kernarg_segment_size: 100
    .language:       OpenCL C
    .language_version:
      - 2
      - 0
    .max_flat_workgroup_size: 256
    .name:           _ZL29rocblas_internal_gemmt_kernelIiLi16ELi32ELi8ELc67ELc67ELc76ELb1ELb1E19rocblas_complex_numIfES1_PKPKS1_PKPS1_EviT_T9_T10_S9_lSB_S9_lSA_T11_S9_li
    .private_segment_fixed_size: 0
    .sgpr_count:     29
    .sgpr_spill_count: 0
    .symbol:         _ZL29rocblas_internal_gemmt_kernelIiLi16ELi32ELi8ELc67ELc67ELc76ELb1ELb1E19rocblas_complex_numIfES1_PKPKS1_PKPS1_EviT_T9_T10_S9_lSB_S9_lSA_T11_S9_li.kd
    .uniform_work_group_size: 1
    .uses_dynamic_stack: false
    .vgpr_count:     59
    .vgpr_spill_count: 0
    .wavefront_size: 32
    .workgroup_processor_mode: 1
  - .args:
      - .offset:         0
        .size:           4
        .value_kind:     by_value
      - .offset:         4
        .size:           4
        .value_kind:     by_value
      - .address_space:  global
        .offset:         8
        .size:           8
        .value_kind:     global_buffer
      - .address_space:  global
        .offset:         16
        .size:           8
        .value_kind:     global_buffer
      - .offset:         24
        .size:           4
        .value_kind:     by_value
      - .offset:         32
        .size:           8
        .value_kind:     by_value
      - .address_space:  global
        .offset:         40
        .size:           8
        .value_kind:     global_buffer
      - .offset:         48
        .size:           4
        .value_kind:     by_value
      - .offset:         56
        .size:           8
        .value_kind:     by_value
      - .address_space:  global
        .offset:         64
        .size:           8
        .value_kind:     global_buffer
      - .address_space:  global
        .offset:         72
        .size:           8
        .value_kind:     global_buffer
      - .offset:         80
        .size:           4
        .value_kind:     by_value
      - .offset:         88
        .size:           8
        .value_kind:     by_value
      - .offset:         96
        .size:           4
        .value_kind:     by_value
    .group_segment_fixed_size: 8192
    .kernarg_segment_align: 8
    .kernarg_segment_size: 100
    .language:       OpenCL C
    .language_version:
      - 2
      - 0
    .max_flat_workgroup_size: 256
    .name:           _ZL29rocblas_internal_gemmt_kernelIiLi16ELi32ELi8ELc78ELc78ELc85ELb0ELb0E19rocblas_complex_numIdEPKS1_PKS3_PKPS1_EviT_T9_T10_S9_lSB_S9_lSA_T11_S9_li
    .private_segment_fixed_size: 0
    .sgpr_count:     34
    .sgpr_spill_count: 0
    .symbol:         _ZL29rocblas_internal_gemmt_kernelIiLi16ELi32ELi8ELc78ELc78ELc85ELb0ELb0E19rocblas_complex_numIdEPKS1_PKS3_PKPS1_EviT_T9_T10_S9_lSB_S9_lSA_T11_S9_li.kd
    .uniform_work_group_size: 1
    .uses_dynamic_stack: false
    .vgpr_count:     128
    .vgpr_spill_count: 0
    .wavefront_size: 32
    .workgroup_processor_mode: 1
  - .args:
      - .offset:         0
        .size:           4
        .value_kind:     by_value
      - .offset:         4
        .size:           4
        .value_kind:     by_value
      - .address_space:  global
        .offset:         8
        .size:           8
        .value_kind:     global_buffer
      - .address_space:  global
        .offset:         16
        .size:           8
        .value_kind:     global_buffer
      - .offset:         24
        .size:           4
        .value_kind:     by_value
      - .offset:         32
        .size:           8
        .value_kind:     by_value
      - .address_space:  global
        .offset:         40
        .size:           8
        .value_kind:     global_buffer
      - .offset:         48
        .size:           4
        .value_kind:     by_value
      - .offset:         56
        .size:           8
        .value_kind:     by_value
      - .address_space:  global
        .offset:         64
        .size:           8
        .value_kind:     global_buffer
      - .address_space:  global
        .offset:         72
        .size:           8
        .value_kind:     global_buffer
      - .offset:         80
        .size:           4
        .value_kind:     by_value
      - .offset:         88
        .size:           8
        .value_kind:     by_value
      - .offset:         96
        .size:           4
        .value_kind:     by_value
    .group_segment_fixed_size: 8192
    .kernarg_segment_align: 8
    .kernarg_segment_size: 100
    .language:       OpenCL C
    .language_version:
      - 2
      - 0
    .max_flat_workgroup_size: 256
    .name:           _ZL29rocblas_internal_gemmt_kernelIiLi16ELi32ELi8ELc78ELc84ELc85ELb0ELb0E19rocblas_complex_numIdEPKS1_PKS3_PKPS1_EviT_T9_T10_S9_lSB_S9_lSA_T11_S9_li
    .private_segment_fixed_size: 0
    .sgpr_count:     37
    .sgpr_spill_count: 0
    .symbol:         _ZL29rocblas_internal_gemmt_kernelIiLi16ELi32ELi8ELc78ELc84ELc85ELb0ELb0E19rocblas_complex_numIdEPKS1_PKS3_PKPS1_EviT_T9_T10_S9_lSB_S9_lSA_T11_S9_li.kd
    .uniform_work_group_size: 1
    .uses_dynamic_stack: false
    .vgpr_count:     128
    .vgpr_spill_count: 0
    .wavefront_size: 32
    .workgroup_processor_mode: 1
  - .args:
      - .offset:         0
        .size:           4
        .value_kind:     by_value
      - .offset:         4
        .size:           4
        .value_kind:     by_value
      - .address_space:  global
        .offset:         8
        .size:           8
        .value_kind:     global_buffer
      - .address_space:  global
        .offset:         16
        .size:           8
        .value_kind:     global_buffer
      - .offset:         24
        .size:           4
        .value_kind:     by_value
      - .offset:         32
        .size:           8
        .value_kind:     by_value
      - .address_space:  global
        .offset:         40
        .size:           8
        .value_kind:     global_buffer
      - .offset:         48
        .size:           4
        .value_kind:     by_value
      - .offset:         56
        .size:           8
        .value_kind:     by_value
      - .address_space:  global
        .offset:         64
        .size:           8
        .value_kind:     global_buffer
      - .address_space:  global
        .offset:         72
        .size:           8
        .value_kind:     global_buffer
      - .offset:         80
        .size:           4
        .value_kind:     by_value
      - .offset:         88
        .size:           8
        .value_kind:     by_value
      - .offset:         96
        .size:           4
        .value_kind:     by_value
    .group_segment_fixed_size: 8192
    .kernarg_segment_align: 8
    .kernarg_segment_size: 100
    .language:       OpenCL C
    .language_version:
      - 2
      - 0
    .max_flat_workgroup_size: 256
    .name:           _ZL29rocblas_internal_gemmt_kernelIiLi16ELi32ELi8ELc78ELc67ELc85ELb0ELb1E19rocblas_complex_numIdEPKS1_PKS3_PKPS1_EviT_T9_T10_S9_lSB_S9_lSA_T11_S9_li
    .private_segment_fixed_size: 0
    .sgpr_count:     37
    .sgpr_spill_count: 0
    .symbol:         _ZL29rocblas_internal_gemmt_kernelIiLi16ELi32ELi8ELc78ELc67ELc85ELb0ELb1E19rocblas_complex_numIdEPKS1_PKS3_PKPS1_EviT_T9_T10_S9_lSB_S9_lSA_T11_S9_li.kd
    .uniform_work_group_size: 1
    .uses_dynamic_stack: false
    .vgpr_count:     127
    .vgpr_spill_count: 0
    .wavefront_size: 32
    .workgroup_processor_mode: 1
  - .args:
      - .offset:         0
        .size:           4
        .value_kind:     by_value
      - .offset:         4
        .size:           4
        .value_kind:     by_value
      - .address_space:  global
        .offset:         8
        .size:           8
        .value_kind:     global_buffer
      - .address_space:  global
        .offset:         16
        .size:           8
        .value_kind:     global_buffer
      - .offset:         24
        .size:           4
        .value_kind:     by_value
      - .offset:         32
        .size:           8
        .value_kind:     by_value
      - .address_space:  global
        .offset:         40
        .size:           8
        .value_kind:     global_buffer
      - .offset:         48
        .size:           4
        .value_kind:     by_value
      - .offset:         56
        .size:           8
        .value_kind:     by_value
      - .address_space:  global
        .offset:         64
        .size:           8
        .value_kind:     global_buffer
      - .address_space:  global
        .offset:         72
        .size:           8
        .value_kind:     global_buffer
      - .offset:         80
        .size:           4
        .value_kind:     by_value
      - .offset:         88
        .size:           8
        .value_kind:     by_value
      - .offset:         96
        .size:           4
        .value_kind:     by_value
    .group_segment_fixed_size: 8192
    .kernarg_segment_align: 8
    .kernarg_segment_size: 100
    .language:       OpenCL C
    .language_version:
      - 2
      - 0
    .max_flat_workgroup_size: 256
    .name:           _ZL29rocblas_internal_gemmt_kernelIiLi16ELi32ELi8ELc84ELc78ELc85ELb0ELb0E19rocblas_complex_numIdEPKS1_PKS3_PKPS1_EviT_T9_T10_S9_lSB_S9_lSA_T11_S9_li
    .private_segment_fixed_size: 0
    .sgpr_count:     33
    .sgpr_spill_count: 0
    .symbol:         _ZL29rocblas_internal_gemmt_kernelIiLi16ELi32ELi8ELc84ELc78ELc85ELb0ELb0E19rocblas_complex_numIdEPKS1_PKS3_PKPS1_EviT_T9_T10_S9_lSB_S9_lSA_T11_S9_li.kd
    .uniform_work_group_size: 1
    .uses_dynamic_stack: false
    .vgpr_count:     128
    .vgpr_spill_count: 0
    .wavefront_size: 32
    .workgroup_processor_mode: 1
  - .args:
      - .offset:         0
        .size:           4
        .value_kind:     by_value
      - .offset:         4
        .size:           4
        .value_kind:     by_value
      - .address_space:  global
        .offset:         8
        .size:           8
        .value_kind:     global_buffer
      - .address_space:  global
        .offset:         16
        .size:           8
        .value_kind:     global_buffer
      - .offset:         24
        .size:           4
        .value_kind:     by_value
      - .offset:         32
        .size:           8
        .value_kind:     by_value
      - .address_space:  global
        .offset:         40
        .size:           8
        .value_kind:     global_buffer
      - .offset:         48
        .size:           4
        .value_kind:     by_value
      - .offset:         56
        .size:           8
        .value_kind:     by_value
      - .address_space:  global
        .offset:         64
        .size:           8
        .value_kind:     global_buffer
      - .address_space:  global
        .offset:         72
        .size:           8
        .value_kind:     global_buffer
      - .offset:         80
        .size:           4
        .value_kind:     by_value
      - .offset:         88
        .size:           8
        .value_kind:     by_value
      - .offset:         96
        .size:           4
        .value_kind:     by_value
    .group_segment_fixed_size: 8192
    .kernarg_segment_align: 8
    .kernarg_segment_size: 100
    .language:       OpenCL C
    .language_version:
      - 2
      - 0
    .max_flat_workgroup_size: 256
    .name:           _ZL29rocblas_internal_gemmt_kernelIiLi16ELi32ELi8ELc84ELc84ELc85ELb0ELb0E19rocblas_complex_numIdEPKS1_PKS3_PKPS1_EviT_T9_T10_S9_lSB_S9_lSA_T11_S9_li
    .private_segment_fixed_size: 0
    .sgpr_count:     33
    .sgpr_spill_count: 0
    .symbol:         _ZL29rocblas_internal_gemmt_kernelIiLi16ELi32ELi8ELc84ELc84ELc85ELb0ELb0E19rocblas_complex_numIdEPKS1_PKS3_PKPS1_EviT_T9_T10_S9_lSB_S9_lSA_T11_S9_li.kd
    .uniform_work_group_size: 1
    .uses_dynamic_stack: false
    .vgpr_count:     128
    .vgpr_spill_count: 0
    .wavefront_size: 32
    .workgroup_processor_mode: 1
  - .args:
      - .offset:         0
        .size:           4
        .value_kind:     by_value
      - .offset:         4
        .size:           4
        .value_kind:     by_value
      - .address_space:  global
        .offset:         8
        .size:           8
        .value_kind:     global_buffer
      - .address_space:  global
        .offset:         16
        .size:           8
        .value_kind:     global_buffer
      - .offset:         24
        .size:           4
        .value_kind:     by_value
      - .offset:         32
        .size:           8
        .value_kind:     by_value
      - .address_space:  global
        .offset:         40
        .size:           8
        .value_kind:     global_buffer
      - .offset:         48
        .size:           4
        .value_kind:     by_value
      - .offset:         56
        .size:           8
        .value_kind:     by_value
      - .address_space:  global
        .offset:         64
        .size:           8
        .value_kind:     global_buffer
      - .address_space:  global
        .offset:         72
        .size:           8
        .value_kind:     global_buffer
      - .offset:         80
        .size:           4
        .value_kind:     by_value
      - .offset:         88
        .size:           8
        .value_kind:     by_value
      - .offset:         96
        .size:           4
        .value_kind:     by_value
    .group_segment_fixed_size: 8192
    .kernarg_segment_align: 8
    .kernarg_segment_size: 100
    .language:       OpenCL C
    .language_version:
      - 2
      - 0
    .max_flat_workgroup_size: 256
    .name:           _ZL29rocblas_internal_gemmt_kernelIiLi16ELi32ELi8ELc84ELc67ELc85ELb0ELb1E19rocblas_complex_numIdEPKS1_PKS3_PKPS1_EviT_T9_T10_S9_lSB_S9_lSA_T11_S9_li
    .private_segment_fixed_size: 0
    .sgpr_count:     34
    .sgpr_spill_count: 0
    .symbol:         _ZL29rocblas_internal_gemmt_kernelIiLi16ELi32ELi8ELc84ELc67ELc85ELb0ELb1E19rocblas_complex_numIdEPKS1_PKS3_PKPS1_EviT_T9_T10_S9_lSB_S9_lSA_T11_S9_li.kd
    .uniform_work_group_size: 1
    .uses_dynamic_stack: false
    .vgpr_count:     127
    .vgpr_spill_count: 0
    .wavefront_size: 32
    .workgroup_processor_mode: 1
  - .args:
      - .offset:         0
        .size:           4
        .value_kind:     by_value
      - .offset:         4
        .size:           4
        .value_kind:     by_value
      - .address_space:  global
        .offset:         8
        .size:           8
        .value_kind:     global_buffer
      - .address_space:  global
        .offset:         16
        .size:           8
        .value_kind:     global_buffer
      - .offset:         24
        .size:           4
        .value_kind:     by_value
      - .offset:         32
        .size:           8
        .value_kind:     by_value
      - .address_space:  global
        .offset:         40
        .size:           8
        .value_kind:     global_buffer
      - .offset:         48
        .size:           4
        .value_kind:     by_value
      - .offset:         56
        .size:           8
        .value_kind:     by_value
      - .address_space:  global
        .offset:         64
        .size:           8
        .value_kind:     global_buffer
      - .address_space:  global
        .offset:         72
        .size:           8
        .value_kind:     global_buffer
      - .offset:         80
        .size:           4
        .value_kind:     by_value
      - .offset:         88
        .size:           8
        .value_kind:     by_value
      - .offset:         96
        .size:           4
        .value_kind:     by_value
    .group_segment_fixed_size: 8192
    .kernarg_segment_align: 8
    .kernarg_segment_size: 100
    .language:       OpenCL C
    .language_version:
      - 2
      - 0
    .max_flat_workgroup_size: 256
    .name:           _ZL29rocblas_internal_gemmt_kernelIiLi16ELi32ELi8ELc67ELc78ELc85ELb1ELb0E19rocblas_complex_numIdEPKS1_PKS3_PKPS1_EviT_T9_T10_S9_lSB_S9_lSA_T11_S9_li
    .private_segment_fixed_size: 0
    .sgpr_count:     33
    .sgpr_spill_count: 0
    .symbol:         _ZL29rocblas_internal_gemmt_kernelIiLi16ELi32ELi8ELc67ELc78ELc85ELb1ELb0E19rocblas_complex_numIdEPKS1_PKS3_PKPS1_EviT_T9_T10_S9_lSB_S9_lSA_T11_S9_li.kd
    .uniform_work_group_size: 1
    .uses_dynamic_stack: false
    .vgpr_count:     127
    .vgpr_spill_count: 0
    .wavefront_size: 32
    .workgroup_processor_mode: 1
  - .args:
      - .offset:         0
        .size:           4
        .value_kind:     by_value
      - .offset:         4
        .size:           4
        .value_kind:     by_value
      - .address_space:  global
        .offset:         8
        .size:           8
        .value_kind:     global_buffer
      - .address_space:  global
        .offset:         16
        .size:           8
        .value_kind:     global_buffer
      - .offset:         24
        .size:           4
        .value_kind:     by_value
      - .offset:         32
        .size:           8
        .value_kind:     by_value
      - .address_space:  global
        .offset:         40
        .size:           8
        .value_kind:     global_buffer
      - .offset:         48
        .size:           4
        .value_kind:     by_value
      - .offset:         56
        .size:           8
        .value_kind:     by_value
      - .address_space:  global
        .offset:         64
        .size:           8
        .value_kind:     global_buffer
      - .address_space:  global
        .offset:         72
        .size:           8
        .value_kind:     global_buffer
      - .offset:         80
        .size:           4
        .value_kind:     by_value
      - .offset:         88
        .size:           8
        .value_kind:     by_value
      - .offset:         96
        .size:           4
        .value_kind:     by_value
    .group_segment_fixed_size: 8192
    .kernarg_segment_align: 8
    .kernarg_segment_size: 100
    .language:       OpenCL C
    .language_version:
      - 2
      - 0
    .max_flat_workgroup_size: 256
    .name:           _ZL29rocblas_internal_gemmt_kernelIiLi16ELi32ELi8ELc67ELc84ELc85ELb1ELb0E19rocblas_complex_numIdEPKS1_PKS3_PKPS1_EviT_T9_T10_S9_lSB_S9_lSA_T11_S9_li
    .private_segment_fixed_size: 0
    .sgpr_count:     33
    .sgpr_spill_count: 0
    .symbol:         _ZL29rocblas_internal_gemmt_kernelIiLi16ELi32ELi8ELc67ELc84ELc85ELb1ELb0E19rocblas_complex_numIdEPKS1_PKS3_PKPS1_EviT_T9_T10_S9_lSB_S9_lSA_T11_S9_li.kd
    .uniform_work_group_size: 1
    .uses_dynamic_stack: false
    .vgpr_count:     127
    .vgpr_spill_count: 0
    .wavefront_size: 32
    .workgroup_processor_mode: 1
  - .args:
      - .offset:         0
        .size:           4
        .value_kind:     by_value
      - .offset:         4
        .size:           4
        .value_kind:     by_value
      - .address_space:  global
        .offset:         8
        .size:           8
        .value_kind:     global_buffer
      - .address_space:  global
        .offset:         16
        .size:           8
        .value_kind:     global_buffer
      - .offset:         24
        .size:           4
        .value_kind:     by_value
      - .offset:         32
        .size:           8
        .value_kind:     by_value
      - .address_space:  global
        .offset:         40
        .size:           8
        .value_kind:     global_buffer
      - .offset:         48
        .size:           4
        .value_kind:     by_value
      - .offset:         56
        .size:           8
        .value_kind:     by_value
      - .address_space:  global
        .offset:         64
        .size:           8
        .value_kind:     global_buffer
      - .address_space:  global
        .offset:         72
        .size:           8
        .value_kind:     global_buffer
      - .offset:         80
        .size:           4
        .value_kind:     by_value
      - .offset:         88
        .size:           8
        .value_kind:     by_value
      - .offset:         96
        .size:           4
        .value_kind:     by_value
    .group_segment_fixed_size: 8192
    .kernarg_segment_align: 8
    .kernarg_segment_size: 100
    .language:       OpenCL C
    .language_version:
      - 2
      - 0
    .max_flat_workgroup_size: 256
    .name:           _ZL29rocblas_internal_gemmt_kernelIiLi16ELi32ELi8ELc67ELc67ELc85ELb1ELb1E19rocblas_complex_numIdEPKS1_PKS3_PKPS1_EviT_T9_T10_S9_lSB_S9_lSA_T11_S9_li
    .private_segment_fixed_size: 0
    .sgpr_count:     34
    .sgpr_spill_count: 0
    .symbol:         _ZL29rocblas_internal_gemmt_kernelIiLi16ELi32ELi8ELc67ELc67ELc85ELb1ELb1E19rocblas_complex_numIdEPKS1_PKS3_PKPS1_EviT_T9_T10_S9_lSB_S9_lSA_T11_S9_li.kd
    .uniform_work_group_size: 1
    .uses_dynamic_stack: false
    .vgpr_count:     126
    .vgpr_spill_count: 0
    .wavefront_size: 32
    .workgroup_processor_mode: 1
  - .args:
      - .offset:         0
        .size:           4
        .value_kind:     by_value
      - .offset:         4
        .size:           4
        .value_kind:     by_value
      - .address_space:  global
        .offset:         8
        .size:           8
        .value_kind:     global_buffer
      - .address_space:  global
        .offset:         16
        .size:           8
        .value_kind:     global_buffer
      - .offset:         24
        .size:           4
        .value_kind:     by_value
      - .offset:         32
        .size:           8
        .value_kind:     by_value
      - .address_space:  global
        .offset:         40
        .size:           8
        .value_kind:     global_buffer
      - .offset:         48
        .size:           4
        .value_kind:     by_value
      - .offset:         56
        .size:           8
        .value_kind:     by_value
      - .address_space:  global
        .offset:         64
        .size:           8
        .value_kind:     global_buffer
      - .address_space:  global
        .offset:         72
        .size:           8
        .value_kind:     global_buffer
      - .offset:         80
        .size:           4
        .value_kind:     by_value
      - .offset:         88
        .size:           8
        .value_kind:     by_value
      - .offset:         96
        .size:           4
        .value_kind:     by_value
    .group_segment_fixed_size: 8192
    .kernarg_segment_align: 8
    .kernarg_segment_size: 100
    .language:       OpenCL C
    .language_version:
      - 2
      - 0
    .max_flat_workgroup_size: 256
    .name:           _ZL29rocblas_internal_gemmt_kernelIiLi16ELi32ELi8ELc78ELc78ELc76ELb0ELb0E19rocblas_complex_numIdEPKS1_PKS3_PKPS1_EviT_T9_T10_S9_lSB_S9_lSA_T11_S9_li
    .private_segment_fixed_size: 0
    .sgpr_count:     34
    .sgpr_spill_count: 0
    .symbol:         _ZL29rocblas_internal_gemmt_kernelIiLi16ELi32ELi8ELc78ELc78ELc76ELb0ELb0E19rocblas_complex_numIdEPKS1_PKS3_PKPS1_EviT_T9_T10_S9_lSB_S9_lSA_T11_S9_li.kd
    .uniform_work_group_size: 1
    .uses_dynamic_stack: false
    .vgpr_count:     128
    .vgpr_spill_count: 0
    .wavefront_size: 32
    .workgroup_processor_mode: 1
  - .args:
      - .offset:         0
        .size:           4
        .value_kind:     by_value
      - .offset:         4
        .size:           4
        .value_kind:     by_value
      - .address_space:  global
        .offset:         8
        .size:           8
        .value_kind:     global_buffer
      - .address_space:  global
        .offset:         16
        .size:           8
        .value_kind:     global_buffer
      - .offset:         24
        .size:           4
        .value_kind:     by_value
      - .offset:         32
        .size:           8
        .value_kind:     by_value
      - .address_space:  global
        .offset:         40
        .size:           8
        .value_kind:     global_buffer
      - .offset:         48
        .size:           4
        .value_kind:     by_value
      - .offset:         56
        .size:           8
        .value_kind:     by_value
      - .address_space:  global
        .offset:         64
        .size:           8
        .value_kind:     global_buffer
      - .address_space:  global
        .offset:         72
        .size:           8
        .value_kind:     global_buffer
      - .offset:         80
        .size:           4
        .value_kind:     by_value
      - .offset:         88
        .size:           8
        .value_kind:     by_value
      - .offset:         96
        .size:           4
        .value_kind:     by_value
    .group_segment_fixed_size: 8192
    .kernarg_segment_align: 8
    .kernarg_segment_size: 100
    .language:       OpenCL C
    .language_version:
      - 2
      - 0
    .max_flat_workgroup_size: 256
    .name:           _ZL29rocblas_internal_gemmt_kernelIiLi16ELi32ELi8ELc78ELc84ELc76ELb0ELb0E19rocblas_complex_numIdEPKS1_PKS3_PKPS1_EviT_T9_T10_S9_lSB_S9_lSA_T11_S9_li
    .private_segment_fixed_size: 0
    .sgpr_count:     37
    .sgpr_spill_count: 0
    .symbol:         _ZL29rocblas_internal_gemmt_kernelIiLi16ELi32ELi8ELc78ELc84ELc76ELb0ELb0E19rocblas_complex_numIdEPKS1_PKS3_PKPS1_EviT_T9_T10_S9_lSB_S9_lSA_T11_S9_li.kd
    .uniform_work_group_size: 1
    .uses_dynamic_stack: false
    .vgpr_count:     128
    .vgpr_spill_count: 0
    .wavefront_size: 32
    .workgroup_processor_mode: 1
  - .args:
      - .offset:         0
        .size:           4
        .value_kind:     by_value
      - .offset:         4
        .size:           4
        .value_kind:     by_value
      - .address_space:  global
        .offset:         8
        .size:           8
        .value_kind:     global_buffer
      - .address_space:  global
        .offset:         16
        .size:           8
        .value_kind:     global_buffer
      - .offset:         24
        .size:           4
        .value_kind:     by_value
      - .offset:         32
        .size:           8
        .value_kind:     by_value
      - .address_space:  global
        .offset:         40
        .size:           8
        .value_kind:     global_buffer
      - .offset:         48
        .size:           4
        .value_kind:     by_value
      - .offset:         56
        .size:           8
        .value_kind:     by_value
      - .address_space:  global
        .offset:         64
        .size:           8
        .value_kind:     global_buffer
      - .address_space:  global
        .offset:         72
        .size:           8
        .value_kind:     global_buffer
      - .offset:         80
        .size:           4
        .value_kind:     by_value
      - .offset:         88
        .size:           8
        .value_kind:     by_value
      - .offset:         96
        .size:           4
        .value_kind:     by_value
    .group_segment_fixed_size: 8192
    .kernarg_segment_align: 8
    .kernarg_segment_size: 100
    .language:       OpenCL C
    .language_version:
      - 2
      - 0
    .max_flat_workgroup_size: 256
    .name:           _ZL29rocblas_internal_gemmt_kernelIiLi16ELi32ELi8ELc78ELc67ELc76ELb0ELb1E19rocblas_complex_numIdEPKS1_PKS3_PKPS1_EviT_T9_T10_S9_lSB_S9_lSA_T11_S9_li
    .private_segment_fixed_size: 0
    .sgpr_count:     37
    .sgpr_spill_count: 0
    .symbol:         _ZL29rocblas_internal_gemmt_kernelIiLi16ELi32ELi8ELc78ELc67ELc76ELb0ELb1E19rocblas_complex_numIdEPKS1_PKS3_PKPS1_EviT_T9_T10_S9_lSB_S9_lSA_T11_S9_li.kd
    .uniform_work_group_size: 1
    .uses_dynamic_stack: false
    .vgpr_count:     127
    .vgpr_spill_count: 0
    .wavefront_size: 32
    .workgroup_processor_mode: 1
  - .args:
      - .offset:         0
        .size:           4
        .value_kind:     by_value
      - .offset:         4
        .size:           4
        .value_kind:     by_value
      - .address_space:  global
        .offset:         8
        .size:           8
        .value_kind:     global_buffer
      - .address_space:  global
        .offset:         16
        .size:           8
        .value_kind:     global_buffer
      - .offset:         24
        .size:           4
        .value_kind:     by_value
      - .offset:         32
        .size:           8
        .value_kind:     by_value
      - .address_space:  global
        .offset:         40
        .size:           8
        .value_kind:     global_buffer
      - .offset:         48
        .size:           4
        .value_kind:     by_value
      - .offset:         56
        .size:           8
        .value_kind:     by_value
      - .address_space:  global
        .offset:         64
        .size:           8
        .value_kind:     global_buffer
      - .address_space:  global
        .offset:         72
        .size:           8
        .value_kind:     global_buffer
      - .offset:         80
        .size:           4
        .value_kind:     by_value
      - .offset:         88
        .size:           8
        .value_kind:     by_value
      - .offset:         96
        .size:           4
        .value_kind:     by_value
    .group_segment_fixed_size: 8192
    .kernarg_segment_align: 8
    .kernarg_segment_size: 100
    .language:       OpenCL C
    .language_version:
      - 2
      - 0
    .max_flat_workgroup_size: 256
    .name:           _ZL29rocblas_internal_gemmt_kernelIiLi16ELi32ELi8ELc84ELc78ELc76ELb0ELb0E19rocblas_complex_numIdEPKS1_PKS3_PKPS1_EviT_T9_T10_S9_lSB_S9_lSA_T11_S9_li
    .private_segment_fixed_size: 0
    .sgpr_count:     33
    .sgpr_spill_count: 0
    .symbol:         _ZL29rocblas_internal_gemmt_kernelIiLi16ELi32ELi8ELc84ELc78ELc76ELb0ELb0E19rocblas_complex_numIdEPKS1_PKS3_PKPS1_EviT_T9_T10_S9_lSB_S9_lSA_T11_S9_li.kd
    .uniform_work_group_size: 1
    .uses_dynamic_stack: false
    .vgpr_count:     128
    .vgpr_spill_count: 0
    .wavefront_size: 32
    .workgroup_processor_mode: 1
  - .args:
      - .offset:         0
        .size:           4
        .value_kind:     by_value
      - .offset:         4
        .size:           4
        .value_kind:     by_value
      - .address_space:  global
        .offset:         8
        .size:           8
        .value_kind:     global_buffer
      - .address_space:  global
        .offset:         16
        .size:           8
        .value_kind:     global_buffer
      - .offset:         24
        .size:           4
        .value_kind:     by_value
      - .offset:         32
        .size:           8
        .value_kind:     by_value
      - .address_space:  global
        .offset:         40
        .size:           8
        .value_kind:     global_buffer
      - .offset:         48
        .size:           4
        .value_kind:     by_value
      - .offset:         56
        .size:           8
        .value_kind:     by_value
      - .address_space:  global
        .offset:         64
        .size:           8
        .value_kind:     global_buffer
      - .address_space:  global
        .offset:         72
        .size:           8
        .value_kind:     global_buffer
      - .offset:         80
        .size:           4
        .value_kind:     by_value
      - .offset:         88
        .size:           8
        .value_kind:     by_value
      - .offset:         96
        .size:           4
        .value_kind:     by_value
    .group_segment_fixed_size: 8192
    .kernarg_segment_align: 8
    .kernarg_segment_size: 100
    .language:       OpenCL C
    .language_version:
      - 2
      - 0
    .max_flat_workgroup_size: 256
    .name:           _ZL29rocblas_internal_gemmt_kernelIiLi16ELi32ELi8ELc84ELc84ELc76ELb0ELb0E19rocblas_complex_numIdEPKS1_PKS3_PKPS1_EviT_T9_T10_S9_lSB_S9_lSA_T11_S9_li
    .private_segment_fixed_size: 0
    .sgpr_count:     33
    .sgpr_spill_count: 0
    .symbol:         _ZL29rocblas_internal_gemmt_kernelIiLi16ELi32ELi8ELc84ELc84ELc76ELb0ELb0E19rocblas_complex_numIdEPKS1_PKS3_PKPS1_EviT_T9_T10_S9_lSB_S9_lSA_T11_S9_li.kd
    .uniform_work_group_size: 1
    .uses_dynamic_stack: false
    .vgpr_count:     128
    .vgpr_spill_count: 0
    .wavefront_size: 32
    .workgroup_processor_mode: 1
  - .args:
      - .offset:         0
        .size:           4
        .value_kind:     by_value
      - .offset:         4
        .size:           4
        .value_kind:     by_value
      - .address_space:  global
        .offset:         8
        .size:           8
        .value_kind:     global_buffer
      - .address_space:  global
        .offset:         16
        .size:           8
        .value_kind:     global_buffer
      - .offset:         24
        .size:           4
        .value_kind:     by_value
      - .offset:         32
        .size:           8
        .value_kind:     by_value
      - .address_space:  global
        .offset:         40
        .size:           8
        .value_kind:     global_buffer
      - .offset:         48
        .size:           4
        .value_kind:     by_value
      - .offset:         56
        .size:           8
        .value_kind:     by_value
      - .address_space:  global
        .offset:         64
        .size:           8
        .value_kind:     global_buffer
      - .address_space:  global
        .offset:         72
        .size:           8
        .value_kind:     global_buffer
      - .offset:         80
        .size:           4
        .value_kind:     by_value
      - .offset:         88
        .size:           8
        .value_kind:     by_value
      - .offset:         96
        .size:           4
        .value_kind:     by_value
    .group_segment_fixed_size: 8192
    .kernarg_segment_align: 8
    .kernarg_segment_size: 100
    .language:       OpenCL C
    .language_version:
      - 2
      - 0
    .max_flat_workgroup_size: 256
    .name:           _ZL29rocblas_internal_gemmt_kernelIiLi16ELi32ELi8ELc84ELc67ELc76ELb0ELb1E19rocblas_complex_numIdEPKS1_PKS3_PKPS1_EviT_T9_T10_S9_lSB_S9_lSA_T11_S9_li
    .private_segment_fixed_size: 0
    .sgpr_count:     34
    .sgpr_spill_count: 0
    .symbol:         _ZL29rocblas_internal_gemmt_kernelIiLi16ELi32ELi8ELc84ELc67ELc76ELb0ELb1E19rocblas_complex_numIdEPKS1_PKS3_PKPS1_EviT_T9_T10_S9_lSB_S9_lSA_T11_S9_li.kd
    .uniform_work_group_size: 1
    .uses_dynamic_stack: false
    .vgpr_count:     127
    .vgpr_spill_count: 0
    .wavefront_size: 32
    .workgroup_processor_mode: 1
  - .args:
      - .offset:         0
        .size:           4
        .value_kind:     by_value
      - .offset:         4
        .size:           4
        .value_kind:     by_value
      - .address_space:  global
        .offset:         8
        .size:           8
        .value_kind:     global_buffer
      - .address_space:  global
        .offset:         16
        .size:           8
        .value_kind:     global_buffer
      - .offset:         24
        .size:           4
        .value_kind:     by_value
      - .offset:         32
        .size:           8
        .value_kind:     by_value
      - .address_space:  global
        .offset:         40
        .size:           8
        .value_kind:     global_buffer
      - .offset:         48
        .size:           4
        .value_kind:     by_value
      - .offset:         56
        .size:           8
        .value_kind:     by_value
      - .address_space:  global
        .offset:         64
        .size:           8
        .value_kind:     global_buffer
      - .address_space:  global
        .offset:         72
        .size:           8
        .value_kind:     global_buffer
      - .offset:         80
        .size:           4
        .value_kind:     by_value
      - .offset:         88
        .size:           8
        .value_kind:     by_value
      - .offset:         96
        .size:           4
        .value_kind:     by_value
    .group_segment_fixed_size: 8192
    .kernarg_segment_align: 8
    .kernarg_segment_size: 100
    .language:       OpenCL C
    .language_version:
      - 2
      - 0
    .max_flat_workgroup_size: 256
    .name:           _ZL29rocblas_internal_gemmt_kernelIiLi16ELi32ELi8ELc67ELc78ELc76ELb1ELb0E19rocblas_complex_numIdEPKS1_PKS3_PKPS1_EviT_T9_T10_S9_lSB_S9_lSA_T11_S9_li
    .private_segment_fixed_size: 0
    .sgpr_count:     33
    .sgpr_spill_count: 0
    .symbol:         _ZL29rocblas_internal_gemmt_kernelIiLi16ELi32ELi8ELc67ELc78ELc76ELb1ELb0E19rocblas_complex_numIdEPKS1_PKS3_PKPS1_EviT_T9_T10_S9_lSB_S9_lSA_T11_S9_li.kd
    .uniform_work_group_size: 1
    .uses_dynamic_stack: false
    .vgpr_count:     127
    .vgpr_spill_count: 0
    .wavefront_size: 32
    .workgroup_processor_mode: 1
  - .args:
      - .offset:         0
        .size:           4
        .value_kind:     by_value
      - .offset:         4
        .size:           4
        .value_kind:     by_value
      - .address_space:  global
        .offset:         8
        .size:           8
        .value_kind:     global_buffer
      - .address_space:  global
        .offset:         16
        .size:           8
        .value_kind:     global_buffer
      - .offset:         24
        .size:           4
        .value_kind:     by_value
      - .offset:         32
        .size:           8
        .value_kind:     by_value
      - .address_space:  global
        .offset:         40
        .size:           8
        .value_kind:     global_buffer
      - .offset:         48
        .size:           4
        .value_kind:     by_value
      - .offset:         56
        .size:           8
        .value_kind:     by_value
      - .address_space:  global
        .offset:         64
        .size:           8
        .value_kind:     global_buffer
      - .address_space:  global
        .offset:         72
        .size:           8
        .value_kind:     global_buffer
      - .offset:         80
        .size:           4
        .value_kind:     by_value
      - .offset:         88
        .size:           8
        .value_kind:     by_value
      - .offset:         96
        .size:           4
        .value_kind:     by_value
    .group_segment_fixed_size: 8192
    .kernarg_segment_align: 8
    .kernarg_segment_size: 100
    .language:       OpenCL C
    .language_version:
      - 2
      - 0
    .max_flat_workgroup_size: 256
    .name:           _ZL29rocblas_internal_gemmt_kernelIiLi16ELi32ELi8ELc67ELc84ELc76ELb1ELb0E19rocblas_complex_numIdEPKS1_PKS3_PKPS1_EviT_T9_T10_S9_lSB_S9_lSA_T11_S9_li
    .private_segment_fixed_size: 0
    .sgpr_count:     33
    .sgpr_spill_count: 0
    .symbol:         _ZL29rocblas_internal_gemmt_kernelIiLi16ELi32ELi8ELc67ELc84ELc76ELb1ELb0E19rocblas_complex_numIdEPKS1_PKS3_PKPS1_EviT_T9_T10_S9_lSB_S9_lSA_T11_S9_li.kd
    .uniform_work_group_size: 1
    .uses_dynamic_stack: false
    .vgpr_count:     127
    .vgpr_spill_count: 0
    .wavefront_size: 32
    .workgroup_processor_mode: 1
  - .args:
      - .offset:         0
        .size:           4
        .value_kind:     by_value
      - .offset:         4
        .size:           4
        .value_kind:     by_value
      - .address_space:  global
        .offset:         8
        .size:           8
        .value_kind:     global_buffer
      - .address_space:  global
        .offset:         16
        .size:           8
        .value_kind:     global_buffer
      - .offset:         24
        .size:           4
        .value_kind:     by_value
      - .offset:         32
        .size:           8
        .value_kind:     by_value
      - .address_space:  global
        .offset:         40
        .size:           8
        .value_kind:     global_buffer
      - .offset:         48
        .size:           4
        .value_kind:     by_value
      - .offset:         56
        .size:           8
        .value_kind:     by_value
      - .address_space:  global
        .offset:         64
        .size:           8
        .value_kind:     global_buffer
      - .address_space:  global
        .offset:         72
        .size:           8
        .value_kind:     global_buffer
      - .offset:         80
        .size:           4
        .value_kind:     by_value
      - .offset:         88
        .size:           8
        .value_kind:     by_value
      - .offset:         96
        .size:           4
        .value_kind:     by_value
    .group_segment_fixed_size: 8192
    .kernarg_segment_align: 8
    .kernarg_segment_size: 100
    .language:       OpenCL C
    .language_version:
      - 2
      - 0
    .max_flat_workgroup_size: 256
    .name:           _ZL29rocblas_internal_gemmt_kernelIiLi16ELi32ELi8ELc67ELc67ELc76ELb1ELb1E19rocblas_complex_numIdEPKS1_PKS3_PKPS1_EviT_T9_T10_S9_lSB_S9_lSA_T11_S9_li
    .private_segment_fixed_size: 0
    .sgpr_count:     34
    .sgpr_spill_count: 0
    .symbol:         _ZL29rocblas_internal_gemmt_kernelIiLi16ELi32ELi8ELc67ELc67ELc76ELb1ELb1E19rocblas_complex_numIdEPKS1_PKS3_PKPS1_EviT_T9_T10_S9_lSB_S9_lSA_T11_S9_li.kd
    .uniform_work_group_size: 1
    .uses_dynamic_stack: false
    .vgpr_count:     126
    .vgpr_spill_count: 0
    .wavefront_size: 32
    .workgroup_processor_mode: 1
  - .args:
      - .offset:         0
        .size:           4
        .value_kind:     by_value
      - .offset:         4
        .size:           4
        .value_kind:     by_value
      - .offset:         8
        .size:           16
        .value_kind:     by_value
      - .address_space:  global
        .offset:         24
        .size:           8
        .value_kind:     global_buffer
      - .offset:         32
        .size:           4
        .value_kind:     by_value
      - .offset:         40
        .size:           8
        .value_kind:     by_value
      - .address_space:  global
        .offset:         48
        .size:           8
        .value_kind:     global_buffer
      - .offset:         56
        .size:           4
        .value_kind:     by_value
      - .offset:         64
        .size:           8
        .value_kind:     by_value
      - .offset:         72
        .size:           16
        .value_kind:     by_value
      - .address_space:  global
        .offset:         88
        .size:           8
        .value_kind:     global_buffer
      - .offset:         96
        .size:           4
        .value_kind:     by_value
      - .offset:         104
        .size:           8
        .value_kind:     by_value
      - .offset:         112
        .size:           4
        .value_kind:     by_value
    .group_segment_fixed_size: 8192
    .kernarg_segment_align: 8
    .kernarg_segment_size: 116
    .language:       OpenCL C
    .language_version:
      - 2
      - 0
    .max_flat_workgroup_size: 256
    .name:           _ZL29rocblas_internal_gemmt_kernelIiLi16ELi32ELi8ELc78ELc78ELc85ELb0ELb0E19rocblas_complex_numIdES1_PKPKS1_PKPS1_EviT_T9_T10_S9_lSB_S9_lSA_T11_S9_li
    .private_segment_fixed_size: 0
    .sgpr_count:     38
    .sgpr_spill_count: 0
    .symbol:         _ZL29rocblas_internal_gemmt_kernelIiLi16ELi32ELi8ELc78ELc78ELc85ELb0ELb0E19rocblas_complex_numIdES1_PKPKS1_PKPS1_EviT_T9_T10_S9_lSB_S9_lSA_T11_S9_li.kd
    .uniform_work_group_size: 1
    .uses_dynamic_stack: false
    .vgpr_count:     128
    .vgpr_spill_count: 0
    .wavefront_size: 32
    .workgroup_processor_mode: 1
  - .args:
      - .offset:         0
        .size:           4
        .value_kind:     by_value
      - .offset:         4
        .size:           4
        .value_kind:     by_value
      - .offset:         8
        .size:           16
        .value_kind:     by_value
      - .address_space:  global
        .offset:         24
        .size:           8
        .value_kind:     global_buffer
      - .offset:         32
        .size:           4
        .value_kind:     by_value
      - .offset:         40
        .size:           8
        .value_kind:     by_value
      - .address_space:  global
        .offset:         48
        .size:           8
        .value_kind:     global_buffer
      - .offset:         56
        .size:           4
        .value_kind:     by_value
      - .offset:         64
        .size:           8
        .value_kind:     by_value
      - .offset:         72
        .size:           16
        .value_kind:     by_value
      - .address_space:  global
        .offset:         88
        .size:           8
        .value_kind:     global_buffer
      - .offset:         96
        .size:           4
        .value_kind:     by_value
      - .offset:         104
        .size:           8
        .value_kind:     by_value
      - .offset:         112
        .size:           4
        .value_kind:     by_value
    .group_segment_fixed_size: 8192
    .kernarg_segment_align: 8
    .kernarg_segment_size: 116
    .language:       OpenCL C
    .language_version:
      - 2
      - 0
    .max_flat_workgroup_size: 256
    .name:           _ZL29rocblas_internal_gemmt_kernelIiLi16ELi32ELi8ELc78ELc84ELc85ELb0ELb0E19rocblas_complex_numIdES1_PKPKS1_PKPS1_EviT_T9_T10_S9_lSB_S9_lSA_T11_S9_li
    .private_segment_fixed_size: 0
    .sgpr_count:     38
    .sgpr_spill_count: 0
    .symbol:         _ZL29rocblas_internal_gemmt_kernelIiLi16ELi32ELi8ELc78ELc84ELc85ELb0ELb0E19rocblas_complex_numIdES1_PKPKS1_PKPS1_EviT_T9_T10_S9_lSB_S9_lSA_T11_S9_li.kd
    .uniform_work_group_size: 1
    .uses_dynamic_stack: false
    .vgpr_count:     128
    .vgpr_spill_count: 0
    .wavefront_size: 32
    .workgroup_processor_mode: 1
  - .args:
      - .offset:         0
        .size:           4
        .value_kind:     by_value
      - .offset:         4
        .size:           4
        .value_kind:     by_value
      - .offset:         8
        .size:           16
        .value_kind:     by_value
      - .address_space:  global
        .offset:         24
        .size:           8
        .value_kind:     global_buffer
      - .offset:         32
        .size:           4
        .value_kind:     by_value
      - .offset:         40
        .size:           8
        .value_kind:     by_value
      - .address_space:  global
        .offset:         48
        .size:           8
        .value_kind:     global_buffer
      - .offset:         56
        .size:           4
        .value_kind:     by_value
      - .offset:         64
        .size:           8
        .value_kind:     by_value
      - .offset:         72
        .size:           16
        .value_kind:     by_value
      - .address_space:  global
        .offset:         88
        .size:           8
        .value_kind:     global_buffer
      - .offset:         96
        .size:           4
        .value_kind:     by_value
      - .offset:         104
        .size:           8
        .value_kind:     by_value
      - .offset:         112
        .size:           4
        .value_kind:     by_value
    .group_segment_fixed_size: 8192
    .kernarg_segment_align: 8
    .kernarg_segment_size: 116
    .language:       OpenCL C
    .language_version:
      - 2
      - 0
    .max_flat_workgroup_size: 256
    .name:           _ZL29rocblas_internal_gemmt_kernelIiLi16ELi32ELi8ELc78ELc67ELc85ELb0ELb1E19rocblas_complex_numIdES1_PKPKS1_PKPS1_EviT_T9_T10_S9_lSB_S9_lSA_T11_S9_li
    .private_segment_fixed_size: 0
    .sgpr_count:     38
    .sgpr_spill_count: 0
    .symbol:         _ZL29rocblas_internal_gemmt_kernelIiLi16ELi32ELi8ELc78ELc67ELc85ELb0ELb1E19rocblas_complex_numIdES1_PKPKS1_PKPS1_EviT_T9_T10_S9_lSB_S9_lSA_T11_S9_li.kd
    .uniform_work_group_size: 1
    .uses_dynamic_stack: false
    .vgpr_count:     127
    .vgpr_spill_count: 0
    .wavefront_size: 32
    .workgroup_processor_mode: 1
  - .args:
      - .offset:         0
        .size:           4
        .value_kind:     by_value
      - .offset:         4
        .size:           4
        .value_kind:     by_value
      - .offset:         8
        .size:           16
        .value_kind:     by_value
      - .address_space:  global
        .offset:         24
        .size:           8
        .value_kind:     global_buffer
      - .offset:         32
        .size:           4
        .value_kind:     by_value
      - .offset:         40
        .size:           8
        .value_kind:     by_value
      - .address_space:  global
        .offset:         48
        .size:           8
        .value_kind:     global_buffer
      - .offset:         56
        .size:           4
        .value_kind:     by_value
      - .offset:         64
        .size:           8
        .value_kind:     by_value
      - .offset:         72
        .size:           16
        .value_kind:     by_value
      - .address_space:  global
        .offset:         88
        .size:           8
        .value_kind:     global_buffer
      - .offset:         96
        .size:           4
        .value_kind:     by_value
      - .offset:         104
        .size:           8
        .value_kind:     by_value
      - .offset:         112
        .size:           4
        .value_kind:     by_value
    .group_segment_fixed_size: 8192
    .kernarg_segment_align: 8
    .kernarg_segment_size: 116
    .language:       OpenCL C
    .language_version:
      - 2
      - 0
    .max_flat_workgroup_size: 256
    .name:           _ZL29rocblas_internal_gemmt_kernelIiLi16ELi32ELi8ELc84ELc78ELc85ELb0ELb0E19rocblas_complex_numIdES1_PKPKS1_PKPS1_EviT_T9_T10_S9_lSB_S9_lSA_T11_S9_li
    .private_segment_fixed_size: 0
    .sgpr_count:     32
    .sgpr_spill_count: 0
    .symbol:         _ZL29rocblas_internal_gemmt_kernelIiLi16ELi32ELi8ELc84ELc78ELc85ELb0ELb0E19rocblas_complex_numIdES1_PKPKS1_PKPS1_EviT_T9_T10_S9_lSB_S9_lSA_T11_S9_li.kd
    .uniform_work_group_size: 1
    .uses_dynamic_stack: false
    .vgpr_count:     128
    .vgpr_spill_count: 0
    .wavefront_size: 32
    .workgroup_processor_mode: 1
  - .args:
      - .offset:         0
        .size:           4
        .value_kind:     by_value
      - .offset:         4
        .size:           4
        .value_kind:     by_value
      - .offset:         8
        .size:           16
        .value_kind:     by_value
      - .address_space:  global
        .offset:         24
        .size:           8
        .value_kind:     global_buffer
      - .offset:         32
        .size:           4
        .value_kind:     by_value
      - .offset:         40
        .size:           8
        .value_kind:     by_value
      - .address_space:  global
        .offset:         48
        .size:           8
        .value_kind:     global_buffer
      - .offset:         56
        .size:           4
        .value_kind:     by_value
      - .offset:         64
        .size:           8
        .value_kind:     by_value
      - .offset:         72
        .size:           16
        .value_kind:     by_value
      - .address_space:  global
        .offset:         88
        .size:           8
        .value_kind:     global_buffer
      - .offset:         96
        .size:           4
        .value_kind:     by_value
      - .offset:         104
        .size:           8
        .value_kind:     by_value
      - .offset:         112
        .size:           4
        .value_kind:     by_value
    .group_segment_fixed_size: 8192
    .kernarg_segment_align: 8
    .kernarg_segment_size: 116
    .language:       OpenCL C
    .language_version:
      - 2
      - 0
    .max_flat_workgroup_size: 256
    .name:           _ZL29rocblas_internal_gemmt_kernelIiLi16ELi32ELi8ELc84ELc84ELc85ELb0ELb0E19rocblas_complex_numIdES1_PKPKS1_PKPS1_EviT_T9_T10_S9_lSB_S9_lSA_T11_S9_li
    .private_segment_fixed_size: 0
    .sgpr_count:     34
    .sgpr_spill_count: 0
    .symbol:         _ZL29rocblas_internal_gemmt_kernelIiLi16ELi32ELi8ELc84ELc84ELc85ELb0ELb0E19rocblas_complex_numIdES1_PKPKS1_PKPS1_EviT_T9_T10_S9_lSB_S9_lSA_T11_S9_li.kd
    .uniform_work_group_size: 1
    .uses_dynamic_stack: false
    .vgpr_count:     128
    .vgpr_spill_count: 0
    .wavefront_size: 32
    .workgroup_processor_mode: 1
  - .args:
      - .offset:         0
        .size:           4
        .value_kind:     by_value
      - .offset:         4
        .size:           4
        .value_kind:     by_value
      - .offset:         8
        .size:           16
        .value_kind:     by_value
      - .address_space:  global
        .offset:         24
        .size:           8
        .value_kind:     global_buffer
      - .offset:         32
        .size:           4
        .value_kind:     by_value
      - .offset:         40
        .size:           8
        .value_kind:     by_value
      - .address_space:  global
        .offset:         48
        .size:           8
        .value_kind:     global_buffer
      - .offset:         56
        .size:           4
        .value_kind:     by_value
      - .offset:         64
        .size:           8
        .value_kind:     by_value
      - .offset:         72
        .size:           16
        .value_kind:     by_value
      - .address_space:  global
        .offset:         88
        .size:           8
        .value_kind:     global_buffer
      - .offset:         96
        .size:           4
        .value_kind:     by_value
      - .offset:         104
        .size:           8
        .value_kind:     by_value
      - .offset:         112
        .size:           4
        .value_kind:     by_value
    .group_segment_fixed_size: 8192
    .kernarg_segment_align: 8
    .kernarg_segment_size: 116
    .language:       OpenCL C
    .language_version:
      - 2
      - 0
    .max_flat_workgroup_size: 256
    .name:           _ZL29rocblas_internal_gemmt_kernelIiLi16ELi32ELi8ELc84ELc67ELc85ELb0ELb1E19rocblas_complex_numIdES1_PKPKS1_PKPS1_EviT_T9_T10_S9_lSB_S9_lSA_T11_S9_li
    .private_segment_fixed_size: 0
    .sgpr_count:     38
    .sgpr_spill_count: 0
    .symbol:         _ZL29rocblas_internal_gemmt_kernelIiLi16ELi32ELi8ELc84ELc67ELc85ELb0ELb1E19rocblas_complex_numIdES1_PKPKS1_PKPS1_EviT_T9_T10_S9_lSB_S9_lSA_T11_S9_li.kd
    .uniform_work_group_size: 1
    .uses_dynamic_stack: false
    .vgpr_count:     127
    .vgpr_spill_count: 0
    .wavefront_size: 32
    .workgroup_processor_mode: 1
  - .args:
      - .offset:         0
        .size:           4
        .value_kind:     by_value
      - .offset:         4
        .size:           4
        .value_kind:     by_value
      - .offset:         8
        .size:           16
        .value_kind:     by_value
      - .address_space:  global
        .offset:         24
        .size:           8
        .value_kind:     global_buffer
      - .offset:         32
        .size:           4
        .value_kind:     by_value
      - .offset:         40
        .size:           8
        .value_kind:     by_value
      - .address_space:  global
        .offset:         48
        .size:           8
        .value_kind:     global_buffer
      - .offset:         56
        .size:           4
        .value_kind:     by_value
      - .offset:         64
        .size:           8
        .value_kind:     by_value
      - .offset:         72
        .size:           16
        .value_kind:     by_value
      - .address_space:  global
        .offset:         88
        .size:           8
        .value_kind:     global_buffer
      - .offset:         96
        .size:           4
        .value_kind:     by_value
      - .offset:         104
        .size:           8
        .value_kind:     by_value
      - .offset:         112
        .size:           4
        .value_kind:     by_value
    .group_segment_fixed_size: 8192
    .kernarg_segment_align: 8
    .kernarg_segment_size: 116
    .language:       OpenCL C
    .language_version:
      - 2
      - 0
    .max_flat_workgroup_size: 256
    .name:           _ZL29rocblas_internal_gemmt_kernelIiLi16ELi32ELi8ELc67ELc78ELc85ELb1ELb0E19rocblas_complex_numIdES1_PKPKS1_PKPS1_EviT_T9_T10_S9_lSB_S9_lSA_T11_S9_li
    .private_segment_fixed_size: 0
    .sgpr_count:     32
    .sgpr_spill_count: 0
    .symbol:         _ZL29rocblas_internal_gemmt_kernelIiLi16ELi32ELi8ELc67ELc78ELc85ELb1ELb0E19rocblas_complex_numIdES1_PKPKS1_PKPS1_EviT_T9_T10_S9_lSB_S9_lSA_T11_S9_li.kd
    .uniform_work_group_size: 1
    .uses_dynamic_stack: false
    .vgpr_count:     127
    .vgpr_spill_count: 0
    .wavefront_size: 32
    .workgroup_processor_mode: 1
  - .args:
      - .offset:         0
        .size:           4
        .value_kind:     by_value
      - .offset:         4
        .size:           4
        .value_kind:     by_value
      - .offset:         8
        .size:           16
        .value_kind:     by_value
      - .address_space:  global
        .offset:         24
        .size:           8
        .value_kind:     global_buffer
      - .offset:         32
        .size:           4
        .value_kind:     by_value
      - .offset:         40
        .size:           8
        .value_kind:     by_value
      - .address_space:  global
        .offset:         48
        .size:           8
        .value_kind:     global_buffer
      - .offset:         56
        .size:           4
        .value_kind:     by_value
      - .offset:         64
        .size:           8
        .value_kind:     by_value
      - .offset:         72
        .size:           16
        .value_kind:     by_value
      - .address_space:  global
        .offset:         88
        .size:           8
        .value_kind:     global_buffer
      - .offset:         96
        .size:           4
        .value_kind:     by_value
      - .offset:         104
        .size:           8
        .value_kind:     by_value
      - .offset:         112
        .size:           4
        .value_kind:     by_value
    .group_segment_fixed_size: 8192
    .kernarg_segment_align: 8
    .kernarg_segment_size: 116
    .language:       OpenCL C
    .language_version:
      - 2
      - 0
    .max_flat_workgroup_size: 256
    .name:           _ZL29rocblas_internal_gemmt_kernelIiLi16ELi32ELi8ELc67ELc84ELc85ELb1ELb0E19rocblas_complex_numIdES1_PKPKS1_PKPS1_EviT_T9_T10_S9_lSB_S9_lSA_T11_S9_li
    .private_segment_fixed_size: 0
    .sgpr_count:     34
    .sgpr_spill_count: 0
    .symbol:         _ZL29rocblas_internal_gemmt_kernelIiLi16ELi32ELi8ELc67ELc84ELc85ELb1ELb0E19rocblas_complex_numIdES1_PKPKS1_PKPS1_EviT_T9_T10_S9_lSB_S9_lSA_T11_S9_li.kd
    .uniform_work_group_size: 1
    .uses_dynamic_stack: false
    .vgpr_count:     127
    .vgpr_spill_count: 0
    .wavefront_size: 32
    .workgroup_processor_mode: 1
  - .args:
      - .offset:         0
        .size:           4
        .value_kind:     by_value
      - .offset:         4
        .size:           4
        .value_kind:     by_value
      - .offset:         8
        .size:           16
        .value_kind:     by_value
      - .address_space:  global
        .offset:         24
        .size:           8
        .value_kind:     global_buffer
      - .offset:         32
        .size:           4
        .value_kind:     by_value
      - .offset:         40
        .size:           8
        .value_kind:     by_value
      - .address_space:  global
        .offset:         48
        .size:           8
        .value_kind:     global_buffer
      - .offset:         56
        .size:           4
        .value_kind:     by_value
      - .offset:         64
        .size:           8
        .value_kind:     by_value
      - .offset:         72
        .size:           16
        .value_kind:     by_value
      - .address_space:  global
        .offset:         88
        .size:           8
        .value_kind:     global_buffer
      - .offset:         96
        .size:           4
        .value_kind:     by_value
      - .offset:         104
        .size:           8
        .value_kind:     by_value
      - .offset:         112
        .size:           4
        .value_kind:     by_value
    .group_segment_fixed_size: 8192
    .kernarg_segment_align: 8
    .kernarg_segment_size: 116
    .language:       OpenCL C
    .language_version:
      - 2
      - 0
    .max_flat_workgroup_size: 256
    .name:           _ZL29rocblas_internal_gemmt_kernelIiLi16ELi32ELi8ELc67ELc67ELc85ELb1ELb1E19rocblas_complex_numIdES1_PKPKS1_PKPS1_EviT_T9_T10_S9_lSB_S9_lSA_T11_S9_li
    .private_segment_fixed_size: 0
    .sgpr_count:     38
    .sgpr_spill_count: 0
    .symbol:         _ZL29rocblas_internal_gemmt_kernelIiLi16ELi32ELi8ELc67ELc67ELc85ELb1ELb1E19rocblas_complex_numIdES1_PKPKS1_PKPS1_EviT_T9_T10_S9_lSB_S9_lSA_T11_S9_li.kd
    .uniform_work_group_size: 1
    .uses_dynamic_stack: false
    .vgpr_count:     126
    .vgpr_spill_count: 0
    .wavefront_size: 32
    .workgroup_processor_mode: 1
  - .args:
      - .offset:         0
        .size:           4
        .value_kind:     by_value
      - .offset:         4
        .size:           4
        .value_kind:     by_value
      - .offset:         8
        .size:           16
        .value_kind:     by_value
      - .address_space:  global
        .offset:         24
        .size:           8
        .value_kind:     global_buffer
      - .offset:         32
        .size:           4
        .value_kind:     by_value
      - .offset:         40
        .size:           8
        .value_kind:     by_value
      - .address_space:  global
        .offset:         48
        .size:           8
        .value_kind:     global_buffer
      - .offset:         56
        .size:           4
        .value_kind:     by_value
      - .offset:         64
        .size:           8
        .value_kind:     by_value
      - .offset:         72
        .size:           16
        .value_kind:     by_value
      - .address_space:  global
        .offset:         88
        .size:           8
        .value_kind:     global_buffer
      - .offset:         96
        .size:           4
        .value_kind:     by_value
      - .offset:         104
        .size:           8
        .value_kind:     by_value
      - .offset:         112
        .size:           4
        .value_kind:     by_value
    .group_segment_fixed_size: 8192
    .kernarg_segment_align: 8
    .kernarg_segment_size: 116
    .language:       OpenCL C
    .language_version:
      - 2
      - 0
    .max_flat_workgroup_size: 256
    .name:           _ZL29rocblas_internal_gemmt_kernelIiLi16ELi32ELi8ELc78ELc78ELc76ELb0ELb0E19rocblas_complex_numIdES1_PKPKS1_PKPS1_EviT_T9_T10_S9_lSB_S9_lSA_T11_S9_li
    .private_segment_fixed_size: 0
    .sgpr_count:     38
    .sgpr_spill_count: 0
    .symbol:         _ZL29rocblas_internal_gemmt_kernelIiLi16ELi32ELi8ELc78ELc78ELc76ELb0ELb0E19rocblas_complex_numIdES1_PKPKS1_PKPS1_EviT_T9_T10_S9_lSB_S9_lSA_T11_S9_li.kd
    .uniform_work_group_size: 1
    .uses_dynamic_stack: false
    .vgpr_count:     128
    .vgpr_spill_count: 0
    .wavefront_size: 32
    .workgroup_processor_mode: 1
  - .args:
      - .offset:         0
        .size:           4
        .value_kind:     by_value
      - .offset:         4
        .size:           4
        .value_kind:     by_value
      - .offset:         8
        .size:           16
        .value_kind:     by_value
      - .address_space:  global
        .offset:         24
        .size:           8
        .value_kind:     global_buffer
      - .offset:         32
        .size:           4
        .value_kind:     by_value
      - .offset:         40
        .size:           8
        .value_kind:     by_value
      - .address_space:  global
        .offset:         48
        .size:           8
        .value_kind:     global_buffer
      - .offset:         56
        .size:           4
        .value_kind:     by_value
      - .offset:         64
        .size:           8
        .value_kind:     by_value
      - .offset:         72
        .size:           16
        .value_kind:     by_value
      - .address_space:  global
        .offset:         88
        .size:           8
        .value_kind:     global_buffer
      - .offset:         96
        .size:           4
        .value_kind:     by_value
      - .offset:         104
        .size:           8
        .value_kind:     by_value
      - .offset:         112
        .size:           4
        .value_kind:     by_value
    .group_segment_fixed_size: 8192
    .kernarg_segment_align: 8
    .kernarg_segment_size: 116
    .language:       OpenCL C
    .language_version:
      - 2
      - 0
    .max_flat_workgroup_size: 256
    .name:           _ZL29rocblas_internal_gemmt_kernelIiLi16ELi32ELi8ELc78ELc84ELc76ELb0ELb0E19rocblas_complex_numIdES1_PKPKS1_PKPS1_EviT_T9_T10_S9_lSB_S9_lSA_T11_S9_li
    .private_segment_fixed_size: 0
    .sgpr_count:     38
    .sgpr_spill_count: 0
    .symbol:         _ZL29rocblas_internal_gemmt_kernelIiLi16ELi32ELi8ELc78ELc84ELc76ELb0ELb0E19rocblas_complex_numIdES1_PKPKS1_PKPS1_EviT_T9_T10_S9_lSB_S9_lSA_T11_S9_li.kd
    .uniform_work_group_size: 1
    .uses_dynamic_stack: false
    .vgpr_count:     128
    .vgpr_spill_count: 0
    .wavefront_size: 32
    .workgroup_processor_mode: 1
  - .args:
      - .offset:         0
        .size:           4
        .value_kind:     by_value
      - .offset:         4
        .size:           4
        .value_kind:     by_value
      - .offset:         8
        .size:           16
        .value_kind:     by_value
      - .address_space:  global
        .offset:         24
        .size:           8
        .value_kind:     global_buffer
      - .offset:         32
        .size:           4
        .value_kind:     by_value
      - .offset:         40
        .size:           8
        .value_kind:     by_value
      - .address_space:  global
        .offset:         48
        .size:           8
        .value_kind:     global_buffer
      - .offset:         56
        .size:           4
        .value_kind:     by_value
      - .offset:         64
        .size:           8
        .value_kind:     by_value
      - .offset:         72
        .size:           16
        .value_kind:     by_value
      - .address_space:  global
        .offset:         88
        .size:           8
        .value_kind:     global_buffer
      - .offset:         96
        .size:           4
        .value_kind:     by_value
      - .offset:         104
        .size:           8
        .value_kind:     by_value
      - .offset:         112
        .size:           4
        .value_kind:     by_value
    .group_segment_fixed_size: 8192
    .kernarg_segment_align: 8
    .kernarg_segment_size: 116
    .language:       OpenCL C
    .language_version:
      - 2
      - 0
    .max_flat_workgroup_size: 256
    .name:           _ZL29rocblas_internal_gemmt_kernelIiLi16ELi32ELi8ELc78ELc67ELc76ELb0ELb1E19rocblas_complex_numIdES1_PKPKS1_PKPS1_EviT_T9_T10_S9_lSB_S9_lSA_T11_S9_li
    .private_segment_fixed_size: 0
    .sgpr_count:     38
    .sgpr_spill_count: 0
    .symbol:         _ZL29rocblas_internal_gemmt_kernelIiLi16ELi32ELi8ELc78ELc67ELc76ELb0ELb1E19rocblas_complex_numIdES1_PKPKS1_PKPS1_EviT_T9_T10_S9_lSB_S9_lSA_T11_S9_li.kd
    .uniform_work_group_size: 1
    .uses_dynamic_stack: false
    .vgpr_count:     127
    .vgpr_spill_count: 0
    .wavefront_size: 32
    .workgroup_processor_mode: 1
  - .args:
      - .offset:         0
        .size:           4
        .value_kind:     by_value
      - .offset:         4
        .size:           4
        .value_kind:     by_value
      - .offset:         8
        .size:           16
        .value_kind:     by_value
      - .address_space:  global
        .offset:         24
        .size:           8
        .value_kind:     global_buffer
      - .offset:         32
        .size:           4
        .value_kind:     by_value
      - .offset:         40
        .size:           8
        .value_kind:     by_value
      - .address_space:  global
        .offset:         48
        .size:           8
        .value_kind:     global_buffer
      - .offset:         56
        .size:           4
        .value_kind:     by_value
      - .offset:         64
        .size:           8
        .value_kind:     by_value
      - .offset:         72
        .size:           16
        .value_kind:     by_value
      - .address_space:  global
        .offset:         88
        .size:           8
        .value_kind:     global_buffer
      - .offset:         96
        .size:           4
        .value_kind:     by_value
      - .offset:         104
        .size:           8
        .value_kind:     by_value
      - .offset:         112
        .size:           4
        .value_kind:     by_value
    .group_segment_fixed_size: 8192
    .kernarg_segment_align: 8
    .kernarg_segment_size: 116
    .language:       OpenCL C
    .language_version:
      - 2
      - 0
    .max_flat_workgroup_size: 256
    .name:           _ZL29rocblas_internal_gemmt_kernelIiLi16ELi32ELi8ELc84ELc78ELc76ELb0ELb0E19rocblas_complex_numIdES1_PKPKS1_PKPS1_EviT_T9_T10_S9_lSB_S9_lSA_T11_S9_li
    .private_segment_fixed_size: 0
    .sgpr_count:     32
    .sgpr_spill_count: 0
    .symbol:         _ZL29rocblas_internal_gemmt_kernelIiLi16ELi32ELi8ELc84ELc78ELc76ELb0ELb0E19rocblas_complex_numIdES1_PKPKS1_PKPS1_EviT_T9_T10_S9_lSB_S9_lSA_T11_S9_li.kd
    .uniform_work_group_size: 1
    .uses_dynamic_stack: false
    .vgpr_count:     128
    .vgpr_spill_count: 0
    .wavefront_size: 32
    .workgroup_processor_mode: 1
  - .args:
      - .offset:         0
        .size:           4
        .value_kind:     by_value
      - .offset:         4
        .size:           4
        .value_kind:     by_value
      - .offset:         8
        .size:           16
        .value_kind:     by_value
      - .address_space:  global
        .offset:         24
        .size:           8
        .value_kind:     global_buffer
      - .offset:         32
        .size:           4
        .value_kind:     by_value
      - .offset:         40
        .size:           8
        .value_kind:     by_value
      - .address_space:  global
        .offset:         48
        .size:           8
        .value_kind:     global_buffer
      - .offset:         56
        .size:           4
        .value_kind:     by_value
      - .offset:         64
        .size:           8
        .value_kind:     by_value
      - .offset:         72
        .size:           16
        .value_kind:     by_value
      - .address_space:  global
        .offset:         88
        .size:           8
        .value_kind:     global_buffer
      - .offset:         96
        .size:           4
        .value_kind:     by_value
      - .offset:         104
        .size:           8
        .value_kind:     by_value
      - .offset:         112
        .size:           4
        .value_kind:     by_value
    .group_segment_fixed_size: 8192
    .kernarg_segment_align: 8
    .kernarg_segment_size: 116
    .language:       OpenCL C
    .language_version:
      - 2
      - 0
    .max_flat_workgroup_size: 256
    .name:           _ZL29rocblas_internal_gemmt_kernelIiLi16ELi32ELi8ELc84ELc84ELc76ELb0ELb0E19rocblas_complex_numIdES1_PKPKS1_PKPS1_EviT_T9_T10_S9_lSB_S9_lSA_T11_S9_li
    .private_segment_fixed_size: 0
    .sgpr_count:     34
    .sgpr_spill_count: 0
    .symbol:         _ZL29rocblas_internal_gemmt_kernelIiLi16ELi32ELi8ELc84ELc84ELc76ELb0ELb0E19rocblas_complex_numIdES1_PKPKS1_PKPS1_EviT_T9_T10_S9_lSB_S9_lSA_T11_S9_li.kd
    .uniform_work_group_size: 1
    .uses_dynamic_stack: false
    .vgpr_count:     128
    .vgpr_spill_count: 0
    .wavefront_size: 32
    .workgroup_processor_mode: 1
  - .args:
      - .offset:         0
        .size:           4
        .value_kind:     by_value
      - .offset:         4
        .size:           4
        .value_kind:     by_value
      - .offset:         8
        .size:           16
        .value_kind:     by_value
      - .address_space:  global
        .offset:         24
        .size:           8
        .value_kind:     global_buffer
      - .offset:         32
        .size:           4
        .value_kind:     by_value
      - .offset:         40
        .size:           8
        .value_kind:     by_value
      - .address_space:  global
        .offset:         48
        .size:           8
        .value_kind:     global_buffer
      - .offset:         56
        .size:           4
        .value_kind:     by_value
      - .offset:         64
        .size:           8
        .value_kind:     by_value
      - .offset:         72
        .size:           16
        .value_kind:     by_value
      - .address_space:  global
        .offset:         88
        .size:           8
        .value_kind:     global_buffer
      - .offset:         96
        .size:           4
        .value_kind:     by_value
      - .offset:         104
        .size:           8
        .value_kind:     by_value
      - .offset:         112
        .size:           4
        .value_kind:     by_value
    .group_segment_fixed_size: 8192
    .kernarg_segment_align: 8
    .kernarg_segment_size: 116
    .language:       OpenCL C
    .language_version:
      - 2
      - 0
    .max_flat_workgroup_size: 256
    .name:           _ZL29rocblas_internal_gemmt_kernelIiLi16ELi32ELi8ELc84ELc67ELc76ELb0ELb1E19rocblas_complex_numIdES1_PKPKS1_PKPS1_EviT_T9_T10_S9_lSB_S9_lSA_T11_S9_li
    .private_segment_fixed_size: 0
    .sgpr_count:     38
    .sgpr_spill_count: 0
    .symbol:         _ZL29rocblas_internal_gemmt_kernelIiLi16ELi32ELi8ELc84ELc67ELc76ELb0ELb1E19rocblas_complex_numIdES1_PKPKS1_PKPS1_EviT_T9_T10_S9_lSB_S9_lSA_T11_S9_li.kd
    .uniform_work_group_size: 1
    .uses_dynamic_stack: false
    .vgpr_count:     127
    .vgpr_spill_count: 0
    .wavefront_size: 32
    .workgroup_processor_mode: 1
  - .args:
      - .offset:         0
        .size:           4
        .value_kind:     by_value
      - .offset:         4
        .size:           4
        .value_kind:     by_value
      - .offset:         8
        .size:           16
        .value_kind:     by_value
      - .address_space:  global
        .offset:         24
        .size:           8
        .value_kind:     global_buffer
      - .offset:         32
        .size:           4
        .value_kind:     by_value
      - .offset:         40
        .size:           8
        .value_kind:     by_value
      - .address_space:  global
        .offset:         48
        .size:           8
        .value_kind:     global_buffer
      - .offset:         56
        .size:           4
        .value_kind:     by_value
      - .offset:         64
        .size:           8
        .value_kind:     by_value
      - .offset:         72
        .size:           16
        .value_kind:     by_value
      - .address_space:  global
        .offset:         88
        .size:           8
        .value_kind:     global_buffer
      - .offset:         96
        .size:           4
        .value_kind:     by_value
      - .offset:         104
        .size:           8
        .value_kind:     by_value
      - .offset:         112
        .size:           4
        .value_kind:     by_value
    .group_segment_fixed_size: 8192
    .kernarg_segment_align: 8
    .kernarg_segment_size: 116
    .language:       OpenCL C
    .language_version:
      - 2
      - 0
    .max_flat_workgroup_size: 256
    .name:           _ZL29rocblas_internal_gemmt_kernelIiLi16ELi32ELi8ELc67ELc78ELc76ELb1ELb0E19rocblas_complex_numIdES1_PKPKS1_PKPS1_EviT_T9_T10_S9_lSB_S9_lSA_T11_S9_li
    .private_segment_fixed_size: 0
    .sgpr_count:     32
    .sgpr_spill_count: 0
    .symbol:         _ZL29rocblas_internal_gemmt_kernelIiLi16ELi32ELi8ELc67ELc78ELc76ELb1ELb0E19rocblas_complex_numIdES1_PKPKS1_PKPS1_EviT_T9_T10_S9_lSB_S9_lSA_T11_S9_li.kd
    .uniform_work_group_size: 1
    .uses_dynamic_stack: false
    .vgpr_count:     127
    .vgpr_spill_count: 0
    .wavefront_size: 32
    .workgroup_processor_mode: 1
  - .args:
      - .offset:         0
        .size:           4
        .value_kind:     by_value
      - .offset:         4
        .size:           4
        .value_kind:     by_value
      - .offset:         8
        .size:           16
        .value_kind:     by_value
      - .address_space:  global
        .offset:         24
        .size:           8
        .value_kind:     global_buffer
      - .offset:         32
        .size:           4
        .value_kind:     by_value
      - .offset:         40
        .size:           8
        .value_kind:     by_value
      - .address_space:  global
        .offset:         48
        .size:           8
        .value_kind:     global_buffer
      - .offset:         56
        .size:           4
        .value_kind:     by_value
      - .offset:         64
        .size:           8
        .value_kind:     by_value
      - .offset:         72
        .size:           16
        .value_kind:     by_value
      - .address_space:  global
        .offset:         88
        .size:           8
        .value_kind:     global_buffer
      - .offset:         96
        .size:           4
        .value_kind:     by_value
      - .offset:         104
        .size:           8
        .value_kind:     by_value
      - .offset:         112
        .size:           4
        .value_kind:     by_value
    .group_segment_fixed_size: 8192
    .kernarg_segment_align: 8
    .kernarg_segment_size: 116
    .language:       OpenCL C
    .language_version:
      - 2
      - 0
    .max_flat_workgroup_size: 256
    .name:           _ZL29rocblas_internal_gemmt_kernelIiLi16ELi32ELi8ELc67ELc84ELc76ELb1ELb0E19rocblas_complex_numIdES1_PKPKS1_PKPS1_EviT_T9_T10_S9_lSB_S9_lSA_T11_S9_li
    .private_segment_fixed_size: 0
    .sgpr_count:     34
    .sgpr_spill_count: 0
    .symbol:         _ZL29rocblas_internal_gemmt_kernelIiLi16ELi32ELi8ELc67ELc84ELc76ELb1ELb0E19rocblas_complex_numIdES1_PKPKS1_PKPS1_EviT_T9_T10_S9_lSB_S9_lSA_T11_S9_li.kd
    .uniform_work_group_size: 1
    .uses_dynamic_stack: false
    .vgpr_count:     127
    .vgpr_spill_count: 0
    .wavefront_size: 32
    .workgroup_processor_mode: 1
  - .args:
      - .offset:         0
        .size:           4
        .value_kind:     by_value
      - .offset:         4
        .size:           4
        .value_kind:     by_value
      - .offset:         8
        .size:           16
        .value_kind:     by_value
      - .address_space:  global
        .offset:         24
        .size:           8
        .value_kind:     global_buffer
      - .offset:         32
        .size:           4
        .value_kind:     by_value
      - .offset:         40
        .size:           8
        .value_kind:     by_value
      - .address_space:  global
        .offset:         48
        .size:           8
        .value_kind:     global_buffer
      - .offset:         56
        .size:           4
        .value_kind:     by_value
      - .offset:         64
        .size:           8
        .value_kind:     by_value
      - .offset:         72
        .size:           16
        .value_kind:     by_value
      - .address_space:  global
        .offset:         88
        .size:           8
        .value_kind:     global_buffer
      - .offset:         96
        .size:           4
        .value_kind:     by_value
      - .offset:         104
        .size:           8
        .value_kind:     by_value
      - .offset:         112
        .size:           4
        .value_kind:     by_value
    .group_segment_fixed_size: 8192
    .kernarg_segment_align: 8
    .kernarg_segment_size: 116
    .language:       OpenCL C
    .language_version:
      - 2
      - 0
    .max_flat_workgroup_size: 256
    .name:           _ZL29rocblas_internal_gemmt_kernelIiLi16ELi32ELi8ELc67ELc67ELc76ELb1ELb1E19rocblas_complex_numIdES1_PKPKS1_PKPS1_EviT_T9_T10_S9_lSB_S9_lSA_T11_S9_li
    .private_segment_fixed_size: 0
    .sgpr_count:     38
    .sgpr_spill_count: 0
    .symbol:         _ZL29rocblas_internal_gemmt_kernelIiLi16ELi32ELi8ELc67ELc67ELc76ELb1ELb1E19rocblas_complex_numIdES1_PKPKS1_PKPS1_EviT_T9_T10_S9_lSB_S9_lSA_T11_S9_li.kd
    .uniform_work_group_size: 1
    .uses_dynamic_stack: false
    .vgpr_count:     126
    .vgpr_spill_count: 0
    .wavefront_size: 32
    .workgroup_processor_mode: 1
  - .args:
      - .offset:         0
        .size:           4
        .value_kind:     by_value
      - .offset:         8
        .size:           8
        .value_kind:     by_value
      - .address_space:  global
        .offset:         16
        .size:           8
        .value_kind:     global_buffer
      - .address_space:  global
        .offset:         24
        .size:           8
        .value_kind:     global_buffer
      - .offset:         32
        .size:           8
        .value_kind:     by_value
      - .offset:         40
        .size:           8
        .value_kind:     by_value
      - .address_space:  global
        .offset:         48
        .size:           8
        .value_kind:     global_buffer
      - .offset:         56
        .size:           8
        .value_kind:     by_value
      - .offset:         64
        .size:           8
        .value_kind:     by_value
      - .address_space:  global
        .offset:         72
        .size:           8
        .value_kind:     global_buffer
      - .address_space:  global
        .offset:         80
        .size:           8
        .value_kind:     global_buffer
      - .offset:         88
        .size:           8
        .value_kind:     by_value
      - .offset:         96
        .size:           8
        .value_kind:     by_value
      - .offset:         104
        .size:           4
        .value_kind:     by_value
    .group_segment_fixed_size: 2048
    .kernarg_segment_align: 8
    .kernarg_segment_size: 108
    .language:       OpenCL C
    .language_version:
      - 2
      - 0
    .max_flat_workgroup_size: 256
    .name:           _ZL29rocblas_internal_gemmt_kernelIlLi16ELi32ELi8ELc78ELc78ELc85ELb0ELb0EfPKfPKS1_PKPfEviT_T9_T10_S7_lS9_S7_lS8_T11_S7_li
    .private_segment_fixed_size: 0
    .sgpr_count:     46
    .sgpr_spill_count: 0
    .symbol:         _ZL29rocblas_internal_gemmt_kernelIlLi16ELi32ELi8ELc78ELc78ELc85ELb0ELb0EfPKfPKS1_PKPfEviT_T9_T10_S7_lS9_S7_lS8_T11_S7_li.kd
    .uniform_work_group_size: 1
    .uses_dynamic_stack: false
    .vgpr_count:     46
    .vgpr_spill_count: 0
    .wavefront_size: 32
    .workgroup_processor_mode: 1
  - .args:
      - .offset:         0
        .size:           4
        .value_kind:     by_value
      - .offset:         8
        .size:           8
        .value_kind:     by_value
      - .address_space:  global
        .offset:         16
        .size:           8
        .value_kind:     global_buffer
      - .address_space:  global
        .offset:         24
        .size:           8
        .value_kind:     global_buffer
      - .offset:         32
        .size:           8
        .value_kind:     by_value
      - .offset:         40
        .size:           8
        .value_kind:     by_value
      - .address_space:  global
        .offset:         48
        .size:           8
        .value_kind:     global_buffer
      - .offset:         56
        .size:           8
        .value_kind:     by_value
      - .offset:         64
        .size:           8
        .value_kind:     by_value
      - .address_space:  global
        .offset:         72
        .size:           8
        .value_kind:     global_buffer
      - .address_space:  global
        .offset:         80
        .size:           8
        .value_kind:     global_buffer
      - .offset:         88
        .size:           8
        .value_kind:     by_value
      - .offset:         96
        .size:           8
        .value_kind:     by_value
      - .offset:         104
        .size:           4
        .value_kind:     by_value
    .group_segment_fixed_size: 2048
    .kernarg_segment_align: 8
    .kernarg_segment_size: 108
    .language:       OpenCL C
    .language_version:
      - 2
      - 0
    .max_flat_workgroup_size: 256
    .name:           _ZL29rocblas_internal_gemmt_kernelIlLi16ELi32ELi8ELc78ELc84ELc85ELb0ELb0EfPKfPKS1_PKPfEviT_T9_T10_S7_lS9_S7_lS8_T11_S7_li
    .private_segment_fixed_size: 0
    .sgpr_count:     46
    .sgpr_spill_count: 0
    .symbol:         _ZL29rocblas_internal_gemmt_kernelIlLi16ELi32ELi8ELc78ELc84ELc85ELb0ELb0EfPKfPKS1_PKPfEviT_T9_T10_S7_lS9_S7_lS8_T11_S7_li.kd
    .uniform_work_group_size: 1
    .uses_dynamic_stack: false
    .vgpr_count:     46
    .vgpr_spill_count: 0
    .wavefront_size: 32
    .workgroup_processor_mode: 1
  - .args:
      - .offset:         0
        .size:           4
        .value_kind:     by_value
      - .offset:         8
        .size:           8
        .value_kind:     by_value
      - .address_space:  global
        .offset:         16
        .size:           8
        .value_kind:     global_buffer
      - .address_space:  global
        .offset:         24
        .size:           8
        .value_kind:     global_buffer
      - .offset:         32
        .size:           8
        .value_kind:     by_value
      - .offset:         40
        .size:           8
        .value_kind:     by_value
      - .address_space:  global
        .offset:         48
        .size:           8
        .value_kind:     global_buffer
      - .offset:         56
        .size:           8
        .value_kind:     by_value
      - .offset:         64
        .size:           8
        .value_kind:     by_value
      - .address_space:  global
        .offset:         72
        .size:           8
        .value_kind:     global_buffer
      - .address_space:  global
        .offset:         80
        .size:           8
        .value_kind:     global_buffer
      - .offset:         88
        .size:           8
        .value_kind:     by_value
      - .offset:         96
        .size:           8
        .value_kind:     by_value
      - .offset:         104
        .size:           4
        .value_kind:     by_value
    .group_segment_fixed_size: 2048
    .kernarg_segment_align: 8
    .kernarg_segment_size: 108
    .language:       OpenCL C
    .language_version:
      - 2
      - 0
    .max_flat_workgroup_size: 256
    .name:           _ZL29rocblas_internal_gemmt_kernelIlLi16ELi32ELi8ELc78ELc67ELc85ELb0ELb0EfPKfPKS1_PKPfEviT_T9_T10_S7_lS9_S7_lS8_T11_S7_li
    .private_segment_fixed_size: 0
    .sgpr_count:     46
    .sgpr_spill_count: 0
    .symbol:         _ZL29rocblas_internal_gemmt_kernelIlLi16ELi32ELi8ELc78ELc67ELc85ELb0ELb0EfPKfPKS1_PKPfEviT_T9_T10_S7_lS9_S7_lS8_T11_S7_li.kd
    .uniform_work_group_size: 1
    .uses_dynamic_stack: false
    .vgpr_count:     46
    .vgpr_spill_count: 0
    .wavefront_size: 32
    .workgroup_processor_mode: 1
  - .args:
      - .offset:         0
        .size:           4
        .value_kind:     by_value
      - .offset:         8
        .size:           8
        .value_kind:     by_value
      - .address_space:  global
        .offset:         16
        .size:           8
        .value_kind:     global_buffer
      - .address_space:  global
        .offset:         24
        .size:           8
        .value_kind:     global_buffer
      - .offset:         32
        .size:           8
        .value_kind:     by_value
      - .offset:         40
        .size:           8
        .value_kind:     by_value
      - .address_space:  global
        .offset:         48
        .size:           8
        .value_kind:     global_buffer
      - .offset:         56
        .size:           8
        .value_kind:     by_value
      - .offset:         64
        .size:           8
        .value_kind:     by_value
      - .address_space:  global
        .offset:         72
        .size:           8
        .value_kind:     global_buffer
      - .address_space:  global
        .offset:         80
        .size:           8
        .value_kind:     global_buffer
      - .offset:         88
        .size:           8
        .value_kind:     by_value
      - .offset:         96
        .size:           8
        .value_kind:     by_value
      - .offset:         104
        .size:           4
        .value_kind:     by_value
    .group_segment_fixed_size: 2048
    .kernarg_segment_align: 8
    .kernarg_segment_size: 108
    .language:       OpenCL C
    .language_version:
      - 2
      - 0
    .max_flat_workgroup_size: 256
    .name:           _ZL29rocblas_internal_gemmt_kernelIlLi16ELi32ELi8ELc84ELc78ELc85ELb0ELb0EfPKfPKS1_PKPfEviT_T9_T10_S7_lS9_S7_lS8_T11_S7_li
    .private_segment_fixed_size: 0
    .sgpr_count:     46
    .sgpr_spill_count: 0
    .symbol:         _ZL29rocblas_internal_gemmt_kernelIlLi16ELi32ELi8ELc84ELc78ELc85ELb0ELb0EfPKfPKS1_PKPfEviT_T9_T10_S7_lS9_S7_lS8_T11_S7_li.kd
    .uniform_work_group_size: 1
    .uses_dynamic_stack: false
    .vgpr_count:     46
    .vgpr_spill_count: 0
    .wavefront_size: 32
    .workgroup_processor_mode: 1
  - .args:
      - .offset:         0
        .size:           4
        .value_kind:     by_value
      - .offset:         8
        .size:           8
        .value_kind:     by_value
      - .address_space:  global
        .offset:         16
        .size:           8
        .value_kind:     global_buffer
      - .address_space:  global
        .offset:         24
        .size:           8
        .value_kind:     global_buffer
      - .offset:         32
        .size:           8
        .value_kind:     by_value
      - .offset:         40
        .size:           8
        .value_kind:     by_value
      - .address_space:  global
        .offset:         48
        .size:           8
        .value_kind:     global_buffer
      - .offset:         56
        .size:           8
        .value_kind:     by_value
      - .offset:         64
        .size:           8
        .value_kind:     by_value
      - .address_space:  global
        .offset:         72
        .size:           8
        .value_kind:     global_buffer
      - .address_space:  global
        .offset:         80
        .size:           8
        .value_kind:     global_buffer
      - .offset:         88
        .size:           8
        .value_kind:     by_value
      - .offset:         96
        .size:           8
        .value_kind:     by_value
      - .offset:         104
        .size:           4
        .value_kind:     by_value
    .group_segment_fixed_size: 2048
    .kernarg_segment_align: 8
    .kernarg_segment_size: 108
    .language:       OpenCL C
    .language_version:
      - 2
      - 0
    .max_flat_workgroup_size: 256
    .name:           _ZL29rocblas_internal_gemmt_kernelIlLi16ELi32ELi8ELc84ELc84ELc85ELb0ELb0EfPKfPKS1_PKPfEviT_T9_T10_S7_lS9_S7_lS8_T11_S7_li
    .private_segment_fixed_size: 0
    .sgpr_count:     46
    .sgpr_spill_count: 0
    .symbol:         _ZL29rocblas_internal_gemmt_kernelIlLi16ELi32ELi8ELc84ELc84ELc85ELb0ELb0EfPKfPKS1_PKPfEviT_T9_T10_S7_lS9_S7_lS8_T11_S7_li.kd
    .uniform_work_group_size: 1
    .uses_dynamic_stack: false
    .vgpr_count:     46
    .vgpr_spill_count: 0
    .wavefront_size: 32
    .workgroup_processor_mode: 1
  - .args:
      - .offset:         0
        .size:           4
        .value_kind:     by_value
      - .offset:         8
        .size:           8
        .value_kind:     by_value
      - .address_space:  global
        .offset:         16
        .size:           8
        .value_kind:     global_buffer
      - .address_space:  global
        .offset:         24
        .size:           8
        .value_kind:     global_buffer
      - .offset:         32
        .size:           8
        .value_kind:     by_value
      - .offset:         40
        .size:           8
        .value_kind:     by_value
      - .address_space:  global
        .offset:         48
        .size:           8
        .value_kind:     global_buffer
      - .offset:         56
        .size:           8
        .value_kind:     by_value
      - .offset:         64
        .size:           8
        .value_kind:     by_value
      - .address_space:  global
        .offset:         72
        .size:           8
        .value_kind:     global_buffer
      - .address_space:  global
        .offset:         80
        .size:           8
        .value_kind:     global_buffer
      - .offset:         88
        .size:           8
        .value_kind:     by_value
      - .offset:         96
        .size:           8
        .value_kind:     by_value
      - .offset:         104
        .size:           4
        .value_kind:     by_value
    .group_segment_fixed_size: 2048
    .kernarg_segment_align: 8
    .kernarg_segment_size: 108
    .language:       OpenCL C
    .language_version:
      - 2
      - 0
    .max_flat_workgroup_size: 256
    .name:           _ZL29rocblas_internal_gemmt_kernelIlLi16ELi32ELi8ELc84ELc67ELc85ELb0ELb0EfPKfPKS1_PKPfEviT_T9_T10_S7_lS9_S7_lS8_T11_S7_li
    .private_segment_fixed_size: 0
    .sgpr_count:     46
    .sgpr_spill_count: 0
    .symbol:         _ZL29rocblas_internal_gemmt_kernelIlLi16ELi32ELi8ELc84ELc67ELc85ELb0ELb0EfPKfPKS1_PKPfEviT_T9_T10_S7_lS9_S7_lS8_T11_S7_li.kd
    .uniform_work_group_size: 1
    .uses_dynamic_stack: false
    .vgpr_count:     46
    .vgpr_spill_count: 0
    .wavefront_size: 32
    .workgroup_processor_mode: 1
  - .args:
      - .offset:         0
        .size:           4
        .value_kind:     by_value
      - .offset:         8
        .size:           8
        .value_kind:     by_value
      - .address_space:  global
        .offset:         16
        .size:           8
        .value_kind:     global_buffer
      - .address_space:  global
        .offset:         24
        .size:           8
        .value_kind:     global_buffer
      - .offset:         32
        .size:           8
        .value_kind:     by_value
      - .offset:         40
        .size:           8
        .value_kind:     by_value
      - .address_space:  global
        .offset:         48
        .size:           8
        .value_kind:     global_buffer
      - .offset:         56
        .size:           8
        .value_kind:     by_value
      - .offset:         64
        .size:           8
        .value_kind:     by_value
      - .address_space:  global
        .offset:         72
        .size:           8
        .value_kind:     global_buffer
      - .address_space:  global
        .offset:         80
        .size:           8
        .value_kind:     global_buffer
      - .offset:         88
        .size:           8
        .value_kind:     by_value
      - .offset:         96
        .size:           8
        .value_kind:     by_value
      - .offset:         104
        .size:           4
        .value_kind:     by_value
    .group_segment_fixed_size: 2048
    .kernarg_segment_align: 8
    .kernarg_segment_size: 108
    .language:       OpenCL C
    .language_version:
      - 2
      - 0
    .max_flat_workgroup_size: 256
    .name:           _ZL29rocblas_internal_gemmt_kernelIlLi16ELi32ELi8ELc67ELc78ELc85ELb0ELb0EfPKfPKS1_PKPfEviT_T9_T10_S7_lS9_S7_lS8_T11_S7_li
    .private_segment_fixed_size: 0
    .sgpr_count:     46
    .sgpr_spill_count: 0
    .symbol:         _ZL29rocblas_internal_gemmt_kernelIlLi16ELi32ELi8ELc67ELc78ELc85ELb0ELb0EfPKfPKS1_PKPfEviT_T9_T10_S7_lS9_S7_lS8_T11_S7_li.kd
    .uniform_work_group_size: 1
    .uses_dynamic_stack: false
    .vgpr_count:     46
    .vgpr_spill_count: 0
    .wavefront_size: 32
    .workgroup_processor_mode: 1
  - .args:
      - .offset:         0
        .size:           4
        .value_kind:     by_value
      - .offset:         8
        .size:           8
        .value_kind:     by_value
      - .address_space:  global
        .offset:         16
        .size:           8
        .value_kind:     global_buffer
      - .address_space:  global
        .offset:         24
        .size:           8
        .value_kind:     global_buffer
      - .offset:         32
        .size:           8
        .value_kind:     by_value
      - .offset:         40
        .size:           8
        .value_kind:     by_value
      - .address_space:  global
        .offset:         48
        .size:           8
        .value_kind:     global_buffer
      - .offset:         56
        .size:           8
        .value_kind:     by_value
      - .offset:         64
        .size:           8
        .value_kind:     by_value
      - .address_space:  global
        .offset:         72
        .size:           8
        .value_kind:     global_buffer
      - .address_space:  global
        .offset:         80
        .size:           8
        .value_kind:     global_buffer
      - .offset:         88
        .size:           8
        .value_kind:     by_value
      - .offset:         96
        .size:           8
        .value_kind:     by_value
      - .offset:         104
        .size:           4
        .value_kind:     by_value
    .group_segment_fixed_size: 2048
    .kernarg_segment_align: 8
    .kernarg_segment_size: 108
    .language:       OpenCL C
    .language_version:
      - 2
      - 0
    .max_flat_workgroup_size: 256
    .name:           _ZL29rocblas_internal_gemmt_kernelIlLi16ELi32ELi8ELc67ELc84ELc85ELb0ELb0EfPKfPKS1_PKPfEviT_T9_T10_S7_lS9_S7_lS8_T11_S7_li
    .private_segment_fixed_size: 0
    .sgpr_count:     46
    .sgpr_spill_count: 0
    .symbol:         _ZL29rocblas_internal_gemmt_kernelIlLi16ELi32ELi8ELc67ELc84ELc85ELb0ELb0EfPKfPKS1_PKPfEviT_T9_T10_S7_lS9_S7_lS8_T11_S7_li.kd
    .uniform_work_group_size: 1
    .uses_dynamic_stack: false
    .vgpr_count:     46
    .vgpr_spill_count: 0
    .wavefront_size: 32
    .workgroup_processor_mode: 1
  - .args:
      - .offset:         0
        .size:           4
        .value_kind:     by_value
      - .offset:         8
        .size:           8
        .value_kind:     by_value
      - .address_space:  global
        .offset:         16
        .size:           8
        .value_kind:     global_buffer
      - .address_space:  global
        .offset:         24
        .size:           8
        .value_kind:     global_buffer
      - .offset:         32
        .size:           8
        .value_kind:     by_value
      - .offset:         40
        .size:           8
        .value_kind:     by_value
      - .address_space:  global
        .offset:         48
        .size:           8
        .value_kind:     global_buffer
      - .offset:         56
        .size:           8
        .value_kind:     by_value
      - .offset:         64
        .size:           8
        .value_kind:     by_value
      - .address_space:  global
        .offset:         72
        .size:           8
        .value_kind:     global_buffer
      - .address_space:  global
        .offset:         80
        .size:           8
        .value_kind:     global_buffer
      - .offset:         88
        .size:           8
        .value_kind:     by_value
      - .offset:         96
        .size:           8
        .value_kind:     by_value
      - .offset:         104
        .size:           4
        .value_kind:     by_value
    .group_segment_fixed_size: 2048
    .kernarg_segment_align: 8
    .kernarg_segment_size: 108
    .language:       OpenCL C
    .language_version:
      - 2
      - 0
    .max_flat_workgroup_size: 256
    .name:           _ZL29rocblas_internal_gemmt_kernelIlLi16ELi32ELi8ELc67ELc67ELc85ELb0ELb0EfPKfPKS1_PKPfEviT_T9_T10_S7_lS9_S7_lS8_T11_S7_li
    .private_segment_fixed_size: 0
    .sgpr_count:     46
    .sgpr_spill_count: 0
    .symbol:         _ZL29rocblas_internal_gemmt_kernelIlLi16ELi32ELi8ELc67ELc67ELc85ELb0ELb0EfPKfPKS1_PKPfEviT_T9_T10_S7_lS9_S7_lS8_T11_S7_li.kd
    .uniform_work_group_size: 1
    .uses_dynamic_stack: false
    .vgpr_count:     46
    .vgpr_spill_count: 0
    .wavefront_size: 32
    .workgroup_processor_mode: 1
  - .args:
      - .offset:         0
        .size:           4
        .value_kind:     by_value
      - .offset:         8
        .size:           8
        .value_kind:     by_value
      - .address_space:  global
        .offset:         16
        .size:           8
        .value_kind:     global_buffer
      - .address_space:  global
        .offset:         24
        .size:           8
        .value_kind:     global_buffer
      - .offset:         32
        .size:           8
        .value_kind:     by_value
      - .offset:         40
        .size:           8
        .value_kind:     by_value
      - .address_space:  global
        .offset:         48
        .size:           8
        .value_kind:     global_buffer
      - .offset:         56
        .size:           8
        .value_kind:     by_value
      - .offset:         64
        .size:           8
        .value_kind:     by_value
      - .address_space:  global
        .offset:         72
        .size:           8
        .value_kind:     global_buffer
      - .address_space:  global
        .offset:         80
        .size:           8
        .value_kind:     global_buffer
      - .offset:         88
        .size:           8
        .value_kind:     by_value
      - .offset:         96
        .size:           8
        .value_kind:     by_value
      - .offset:         104
        .size:           4
        .value_kind:     by_value
    .group_segment_fixed_size: 2048
    .kernarg_segment_align: 8
    .kernarg_segment_size: 108
    .language:       OpenCL C
    .language_version:
      - 2
      - 0
    .max_flat_workgroup_size: 256
    .name:           _ZL29rocblas_internal_gemmt_kernelIlLi16ELi32ELi8ELc78ELc78ELc76ELb0ELb0EfPKfPKS1_PKPfEviT_T9_T10_S7_lS9_S7_lS8_T11_S7_li
    .private_segment_fixed_size: 0
    .sgpr_count:     46
    .sgpr_spill_count: 0
    .symbol:         _ZL29rocblas_internal_gemmt_kernelIlLi16ELi32ELi8ELc78ELc78ELc76ELb0ELb0EfPKfPKS1_PKPfEviT_T9_T10_S7_lS9_S7_lS8_T11_S7_li.kd
    .uniform_work_group_size: 1
    .uses_dynamic_stack: false
    .vgpr_count:     46
    .vgpr_spill_count: 0
    .wavefront_size: 32
    .workgroup_processor_mode: 1
  - .args:
      - .offset:         0
        .size:           4
        .value_kind:     by_value
      - .offset:         8
        .size:           8
        .value_kind:     by_value
      - .address_space:  global
        .offset:         16
        .size:           8
        .value_kind:     global_buffer
      - .address_space:  global
        .offset:         24
        .size:           8
        .value_kind:     global_buffer
      - .offset:         32
        .size:           8
        .value_kind:     by_value
      - .offset:         40
        .size:           8
        .value_kind:     by_value
      - .address_space:  global
        .offset:         48
        .size:           8
        .value_kind:     global_buffer
      - .offset:         56
        .size:           8
        .value_kind:     by_value
      - .offset:         64
        .size:           8
        .value_kind:     by_value
      - .address_space:  global
        .offset:         72
        .size:           8
        .value_kind:     global_buffer
      - .address_space:  global
        .offset:         80
        .size:           8
        .value_kind:     global_buffer
      - .offset:         88
        .size:           8
        .value_kind:     by_value
      - .offset:         96
        .size:           8
        .value_kind:     by_value
      - .offset:         104
        .size:           4
        .value_kind:     by_value
    .group_segment_fixed_size: 2048
    .kernarg_segment_align: 8
    .kernarg_segment_size: 108
    .language:       OpenCL C
    .language_version:
      - 2
      - 0
    .max_flat_workgroup_size: 256
    .name:           _ZL29rocblas_internal_gemmt_kernelIlLi16ELi32ELi8ELc78ELc84ELc76ELb0ELb0EfPKfPKS1_PKPfEviT_T9_T10_S7_lS9_S7_lS8_T11_S7_li
    .private_segment_fixed_size: 0
    .sgpr_count:     46
    .sgpr_spill_count: 0
    .symbol:         _ZL29rocblas_internal_gemmt_kernelIlLi16ELi32ELi8ELc78ELc84ELc76ELb0ELb0EfPKfPKS1_PKPfEviT_T9_T10_S7_lS9_S7_lS8_T11_S7_li.kd
    .uniform_work_group_size: 1
    .uses_dynamic_stack: false
    .vgpr_count:     46
    .vgpr_spill_count: 0
    .wavefront_size: 32
    .workgroup_processor_mode: 1
  - .args:
      - .offset:         0
        .size:           4
        .value_kind:     by_value
      - .offset:         8
        .size:           8
        .value_kind:     by_value
      - .address_space:  global
        .offset:         16
        .size:           8
        .value_kind:     global_buffer
      - .address_space:  global
        .offset:         24
        .size:           8
        .value_kind:     global_buffer
      - .offset:         32
        .size:           8
        .value_kind:     by_value
      - .offset:         40
        .size:           8
        .value_kind:     by_value
      - .address_space:  global
        .offset:         48
        .size:           8
        .value_kind:     global_buffer
      - .offset:         56
        .size:           8
        .value_kind:     by_value
      - .offset:         64
        .size:           8
        .value_kind:     by_value
      - .address_space:  global
        .offset:         72
        .size:           8
        .value_kind:     global_buffer
      - .address_space:  global
        .offset:         80
        .size:           8
        .value_kind:     global_buffer
      - .offset:         88
        .size:           8
        .value_kind:     by_value
      - .offset:         96
        .size:           8
        .value_kind:     by_value
      - .offset:         104
        .size:           4
        .value_kind:     by_value
    .group_segment_fixed_size: 2048
    .kernarg_segment_align: 8
    .kernarg_segment_size: 108
    .language:       OpenCL C
    .language_version:
      - 2
      - 0
    .max_flat_workgroup_size: 256
    .name:           _ZL29rocblas_internal_gemmt_kernelIlLi16ELi32ELi8ELc78ELc67ELc76ELb0ELb0EfPKfPKS1_PKPfEviT_T9_T10_S7_lS9_S7_lS8_T11_S7_li
    .private_segment_fixed_size: 0
    .sgpr_count:     46
    .sgpr_spill_count: 0
    .symbol:         _ZL29rocblas_internal_gemmt_kernelIlLi16ELi32ELi8ELc78ELc67ELc76ELb0ELb0EfPKfPKS1_PKPfEviT_T9_T10_S7_lS9_S7_lS8_T11_S7_li.kd
    .uniform_work_group_size: 1
    .uses_dynamic_stack: false
    .vgpr_count:     46
    .vgpr_spill_count: 0
    .wavefront_size: 32
    .workgroup_processor_mode: 1
  - .args:
      - .offset:         0
        .size:           4
        .value_kind:     by_value
      - .offset:         8
        .size:           8
        .value_kind:     by_value
      - .address_space:  global
        .offset:         16
        .size:           8
        .value_kind:     global_buffer
      - .address_space:  global
        .offset:         24
        .size:           8
        .value_kind:     global_buffer
      - .offset:         32
        .size:           8
        .value_kind:     by_value
      - .offset:         40
        .size:           8
        .value_kind:     by_value
      - .address_space:  global
        .offset:         48
        .size:           8
        .value_kind:     global_buffer
      - .offset:         56
        .size:           8
        .value_kind:     by_value
      - .offset:         64
        .size:           8
        .value_kind:     by_value
      - .address_space:  global
        .offset:         72
        .size:           8
        .value_kind:     global_buffer
      - .address_space:  global
        .offset:         80
        .size:           8
        .value_kind:     global_buffer
      - .offset:         88
        .size:           8
        .value_kind:     by_value
      - .offset:         96
        .size:           8
        .value_kind:     by_value
      - .offset:         104
        .size:           4
        .value_kind:     by_value
    .group_segment_fixed_size: 2048
    .kernarg_segment_align: 8
    .kernarg_segment_size: 108
    .language:       OpenCL C
    .language_version:
      - 2
      - 0
    .max_flat_workgroup_size: 256
    .name:           _ZL29rocblas_internal_gemmt_kernelIlLi16ELi32ELi8ELc84ELc78ELc76ELb0ELb0EfPKfPKS1_PKPfEviT_T9_T10_S7_lS9_S7_lS8_T11_S7_li
    .private_segment_fixed_size: 0
    .sgpr_count:     46
    .sgpr_spill_count: 0
    .symbol:         _ZL29rocblas_internal_gemmt_kernelIlLi16ELi32ELi8ELc84ELc78ELc76ELb0ELb0EfPKfPKS1_PKPfEviT_T9_T10_S7_lS9_S7_lS8_T11_S7_li.kd
    .uniform_work_group_size: 1
    .uses_dynamic_stack: false
    .vgpr_count:     46
    .vgpr_spill_count: 0
    .wavefront_size: 32
    .workgroup_processor_mode: 1
  - .args:
      - .offset:         0
        .size:           4
        .value_kind:     by_value
      - .offset:         8
        .size:           8
        .value_kind:     by_value
      - .address_space:  global
        .offset:         16
        .size:           8
        .value_kind:     global_buffer
      - .address_space:  global
        .offset:         24
        .size:           8
        .value_kind:     global_buffer
      - .offset:         32
        .size:           8
        .value_kind:     by_value
      - .offset:         40
        .size:           8
        .value_kind:     by_value
      - .address_space:  global
        .offset:         48
        .size:           8
        .value_kind:     global_buffer
      - .offset:         56
        .size:           8
        .value_kind:     by_value
      - .offset:         64
        .size:           8
        .value_kind:     by_value
      - .address_space:  global
        .offset:         72
        .size:           8
        .value_kind:     global_buffer
      - .address_space:  global
        .offset:         80
        .size:           8
        .value_kind:     global_buffer
      - .offset:         88
        .size:           8
        .value_kind:     by_value
      - .offset:         96
        .size:           8
        .value_kind:     by_value
      - .offset:         104
        .size:           4
        .value_kind:     by_value
    .group_segment_fixed_size: 2048
    .kernarg_segment_align: 8
    .kernarg_segment_size: 108
    .language:       OpenCL C
    .language_version:
      - 2
      - 0
    .max_flat_workgroup_size: 256
    .name:           _ZL29rocblas_internal_gemmt_kernelIlLi16ELi32ELi8ELc84ELc84ELc76ELb0ELb0EfPKfPKS1_PKPfEviT_T9_T10_S7_lS9_S7_lS8_T11_S7_li
    .private_segment_fixed_size: 0
    .sgpr_count:     46
    .sgpr_spill_count: 0
    .symbol:         _ZL29rocblas_internal_gemmt_kernelIlLi16ELi32ELi8ELc84ELc84ELc76ELb0ELb0EfPKfPKS1_PKPfEviT_T9_T10_S7_lS9_S7_lS8_T11_S7_li.kd
    .uniform_work_group_size: 1
    .uses_dynamic_stack: false
    .vgpr_count:     46
    .vgpr_spill_count: 0
    .wavefront_size: 32
    .workgroup_processor_mode: 1
  - .args:
      - .offset:         0
        .size:           4
        .value_kind:     by_value
      - .offset:         8
        .size:           8
        .value_kind:     by_value
      - .address_space:  global
        .offset:         16
        .size:           8
        .value_kind:     global_buffer
      - .address_space:  global
        .offset:         24
        .size:           8
        .value_kind:     global_buffer
      - .offset:         32
        .size:           8
        .value_kind:     by_value
      - .offset:         40
        .size:           8
        .value_kind:     by_value
      - .address_space:  global
        .offset:         48
        .size:           8
        .value_kind:     global_buffer
      - .offset:         56
        .size:           8
        .value_kind:     by_value
      - .offset:         64
        .size:           8
        .value_kind:     by_value
      - .address_space:  global
        .offset:         72
        .size:           8
        .value_kind:     global_buffer
      - .address_space:  global
        .offset:         80
        .size:           8
        .value_kind:     global_buffer
      - .offset:         88
        .size:           8
        .value_kind:     by_value
      - .offset:         96
        .size:           8
        .value_kind:     by_value
      - .offset:         104
        .size:           4
        .value_kind:     by_value
    .group_segment_fixed_size: 2048
    .kernarg_segment_align: 8
    .kernarg_segment_size: 108
    .language:       OpenCL C
    .language_version:
      - 2
      - 0
    .max_flat_workgroup_size: 256
    .name:           _ZL29rocblas_internal_gemmt_kernelIlLi16ELi32ELi8ELc84ELc67ELc76ELb0ELb0EfPKfPKS1_PKPfEviT_T9_T10_S7_lS9_S7_lS8_T11_S7_li
    .private_segment_fixed_size: 0
    .sgpr_count:     46
    .sgpr_spill_count: 0
    .symbol:         _ZL29rocblas_internal_gemmt_kernelIlLi16ELi32ELi8ELc84ELc67ELc76ELb0ELb0EfPKfPKS1_PKPfEviT_T9_T10_S7_lS9_S7_lS8_T11_S7_li.kd
    .uniform_work_group_size: 1
    .uses_dynamic_stack: false
    .vgpr_count:     46
    .vgpr_spill_count: 0
    .wavefront_size: 32
    .workgroup_processor_mode: 1
  - .args:
      - .offset:         0
        .size:           4
        .value_kind:     by_value
      - .offset:         8
        .size:           8
        .value_kind:     by_value
      - .address_space:  global
        .offset:         16
        .size:           8
        .value_kind:     global_buffer
      - .address_space:  global
        .offset:         24
        .size:           8
        .value_kind:     global_buffer
      - .offset:         32
        .size:           8
        .value_kind:     by_value
      - .offset:         40
        .size:           8
        .value_kind:     by_value
      - .address_space:  global
        .offset:         48
        .size:           8
        .value_kind:     global_buffer
      - .offset:         56
        .size:           8
        .value_kind:     by_value
      - .offset:         64
        .size:           8
        .value_kind:     by_value
      - .address_space:  global
        .offset:         72
        .size:           8
        .value_kind:     global_buffer
      - .address_space:  global
        .offset:         80
        .size:           8
        .value_kind:     global_buffer
      - .offset:         88
        .size:           8
        .value_kind:     by_value
      - .offset:         96
        .size:           8
        .value_kind:     by_value
      - .offset:         104
        .size:           4
        .value_kind:     by_value
    .group_segment_fixed_size: 2048
    .kernarg_segment_align: 8
    .kernarg_segment_size: 108
    .language:       OpenCL C
    .language_version:
      - 2
      - 0
    .max_flat_workgroup_size: 256
    .name:           _ZL29rocblas_internal_gemmt_kernelIlLi16ELi32ELi8ELc67ELc78ELc76ELb0ELb0EfPKfPKS1_PKPfEviT_T9_T10_S7_lS9_S7_lS8_T11_S7_li
    .private_segment_fixed_size: 0
    .sgpr_count:     46
    .sgpr_spill_count: 0
    .symbol:         _ZL29rocblas_internal_gemmt_kernelIlLi16ELi32ELi8ELc67ELc78ELc76ELb0ELb0EfPKfPKS1_PKPfEviT_T9_T10_S7_lS9_S7_lS8_T11_S7_li.kd
    .uniform_work_group_size: 1
    .uses_dynamic_stack: false
    .vgpr_count:     46
    .vgpr_spill_count: 0
    .wavefront_size: 32
    .workgroup_processor_mode: 1
  - .args:
      - .offset:         0
        .size:           4
        .value_kind:     by_value
      - .offset:         8
        .size:           8
        .value_kind:     by_value
      - .address_space:  global
        .offset:         16
        .size:           8
        .value_kind:     global_buffer
      - .address_space:  global
        .offset:         24
        .size:           8
        .value_kind:     global_buffer
      - .offset:         32
        .size:           8
        .value_kind:     by_value
      - .offset:         40
        .size:           8
        .value_kind:     by_value
      - .address_space:  global
        .offset:         48
        .size:           8
        .value_kind:     global_buffer
      - .offset:         56
        .size:           8
        .value_kind:     by_value
      - .offset:         64
        .size:           8
        .value_kind:     by_value
      - .address_space:  global
        .offset:         72
        .size:           8
        .value_kind:     global_buffer
      - .address_space:  global
        .offset:         80
        .size:           8
        .value_kind:     global_buffer
      - .offset:         88
        .size:           8
        .value_kind:     by_value
      - .offset:         96
        .size:           8
        .value_kind:     by_value
      - .offset:         104
        .size:           4
        .value_kind:     by_value
    .group_segment_fixed_size: 2048
    .kernarg_segment_align: 8
    .kernarg_segment_size: 108
    .language:       OpenCL C
    .language_version:
      - 2
      - 0
    .max_flat_workgroup_size: 256
    .name:           _ZL29rocblas_internal_gemmt_kernelIlLi16ELi32ELi8ELc67ELc84ELc76ELb0ELb0EfPKfPKS1_PKPfEviT_T9_T10_S7_lS9_S7_lS8_T11_S7_li
    .private_segment_fixed_size: 0
    .sgpr_count:     46
    .sgpr_spill_count: 0
    .symbol:         _ZL29rocblas_internal_gemmt_kernelIlLi16ELi32ELi8ELc67ELc84ELc76ELb0ELb0EfPKfPKS1_PKPfEviT_T9_T10_S7_lS9_S7_lS8_T11_S7_li.kd
    .uniform_work_group_size: 1
    .uses_dynamic_stack: false
    .vgpr_count:     46
    .vgpr_spill_count: 0
    .wavefront_size: 32
    .workgroup_processor_mode: 1
  - .args:
      - .offset:         0
        .size:           4
        .value_kind:     by_value
      - .offset:         8
        .size:           8
        .value_kind:     by_value
      - .address_space:  global
        .offset:         16
        .size:           8
        .value_kind:     global_buffer
      - .address_space:  global
        .offset:         24
        .size:           8
        .value_kind:     global_buffer
      - .offset:         32
        .size:           8
        .value_kind:     by_value
      - .offset:         40
        .size:           8
        .value_kind:     by_value
      - .address_space:  global
        .offset:         48
        .size:           8
        .value_kind:     global_buffer
      - .offset:         56
        .size:           8
        .value_kind:     by_value
      - .offset:         64
        .size:           8
        .value_kind:     by_value
      - .address_space:  global
        .offset:         72
        .size:           8
        .value_kind:     global_buffer
      - .address_space:  global
        .offset:         80
        .size:           8
        .value_kind:     global_buffer
      - .offset:         88
        .size:           8
        .value_kind:     by_value
      - .offset:         96
        .size:           8
        .value_kind:     by_value
      - .offset:         104
        .size:           4
        .value_kind:     by_value
    .group_segment_fixed_size: 2048
    .kernarg_segment_align: 8
    .kernarg_segment_size: 108
    .language:       OpenCL C
    .language_version:
      - 2
      - 0
    .max_flat_workgroup_size: 256
    .name:           _ZL29rocblas_internal_gemmt_kernelIlLi16ELi32ELi8ELc67ELc67ELc76ELb0ELb0EfPKfPKS1_PKPfEviT_T9_T10_S7_lS9_S7_lS8_T11_S7_li
    .private_segment_fixed_size: 0
    .sgpr_count:     46
    .sgpr_spill_count: 0
    .symbol:         _ZL29rocblas_internal_gemmt_kernelIlLi16ELi32ELi8ELc67ELc67ELc76ELb0ELb0EfPKfPKS1_PKPfEviT_T9_T10_S7_lS9_S7_lS8_T11_S7_li.kd
    .uniform_work_group_size: 1
    .uses_dynamic_stack: false
    .vgpr_count:     46
    .vgpr_spill_count: 0
    .wavefront_size: 32
    .workgroup_processor_mode: 1
  - .args:
      - .offset:         0
        .size:           4
        .value_kind:     by_value
      - .offset:         8
        .size:           8
        .value_kind:     by_value
      - .offset:         16
        .size:           4
        .value_kind:     by_value
      - .address_space:  global
        .offset:         24
        .size:           8
        .value_kind:     global_buffer
      - .offset:         32
        .size:           8
        .value_kind:     by_value
      - .offset:         40
        .size:           8
        .value_kind:     by_value
      - .address_space:  global
        .offset:         48
        .size:           8
        .value_kind:     global_buffer
      - .offset:         56
        .size:           8
        .value_kind:     by_value
      - .offset:         64
        .size:           8
        .value_kind:     by_value
      - .offset:         72
        .size:           4
        .value_kind:     by_value
      - .address_space:  global
        .offset:         80
        .size:           8
        .value_kind:     global_buffer
      - .offset:         88
        .size:           8
        .value_kind:     by_value
      - .offset:         96
        .size:           8
        .value_kind:     by_value
      - .offset:         104
        .size:           4
        .value_kind:     by_value
    .group_segment_fixed_size: 2048
    .kernarg_segment_align: 8
    .kernarg_segment_size: 108
    .language:       OpenCL C
    .language_version:
      - 2
      - 0
    .max_flat_workgroup_size: 256
    .name:           _ZL29rocblas_internal_gemmt_kernelIlLi16ELi32ELi8ELc78ELc78ELc85ELb0ELb0EffPKPKfPKPfEviT_T9_T10_S7_lS9_S7_lS8_T11_S7_li
    .private_segment_fixed_size: 0
    .sgpr_count:     31
    .sgpr_spill_count: 0
    .symbol:         _ZL29rocblas_internal_gemmt_kernelIlLi16ELi32ELi8ELc78ELc78ELc85ELb0ELb0EffPKPKfPKPfEviT_T9_T10_S7_lS9_S7_lS8_T11_S7_li.kd
    .uniform_work_group_size: 1
    .uses_dynamic_stack: false
    .vgpr_count:     46
    .vgpr_spill_count: 0
    .wavefront_size: 32
    .workgroup_processor_mode: 1
  - .args:
      - .offset:         0
        .size:           4
        .value_kind:     by_value
      - .offset:         8
        .size:           8
        .value_kind:     by_value
      - .offset:         16
        .size:           4
        .value_kind:     by_value
      - .address_space:  global
        .offset:         24
        .size:           8
        .value_kind:     global_buffer
      - .offset:         32
        .size:           8
        .value_kind:     by_value
      - .offset:         40
        .size:           8
        .value_kind:     by_value
      - .address_space:  global
        .offset:         48
        .size:           8
        .value_kind:     global_buffer
      - .offset:         56
        .size:           8
        .value_kind:     by_value
      - .offset:         64
        .size:           8
        .value_kind:     by_value
      - .offset:         72
        .size:           4
        .value_kind:     by_value
      - .address_space:  global
        .offset:         80
        .size:           8
        .value_kind:     global_buffer
      - .offset:         88
        .size:           8
        .value_kind:     by_value
      - .offset:         96
        .size:           8
        .value_kind:     by_value
      - .offset:         104
        .size:           4
        .value_kind:     by_value
    .group_segment_fixed_size: 2048
    .kernarg_segment_align: 8
    .kernarg_segment_size: 108
    .language:       OpenCL C
    .language_version:
      - 2
      - 0
    .max_flat_workgroup_size: 256
    .name:           _ZL29rocblas_internal_gemmt_kernelIlLi16ELi32ELi8ELc78ELc84ELc85ELb0ELb0EffPKPKfPKPfEviT_T9_T10_S7_lS9_S7_lS8_T11_S7_li
    .private_segment_fixed_size: 0
    .sgpr_count:     31
    .sgpr_spill_count: 0
    .symbol:         _ZL29rocblas_internal_gemmt_kernelIlLi16ELi32ELi8ELc78ELc84ELc85ELb0ELb0EffPKPKfPKPfEviT_T9_T10_S7_lS9_S7_lS8_T11_S7_li.kd
    .uniform_work_group_size: 1
    .uses_dynamic_stack: false
    .vgpr_count:     46
    .vgpr_spill_count: 0
    .wavefront_size: 32
    .workgroup_processor_mode: 1
  - .args:
      - .offset:         0
        .size:           4
        .value_kind:     by_value
      - .offset:         8
        .size:           8
        .value_kind:     by_value
      - .offset:         16
        .size:           4
        .value_kind:     by_value
      - .address_space:  global
        .offset:         24
        .size:           8
        .value_kind:     global_buffer
      - .offset:         32
        .size:           8
        .value_kind:     by_value
      - .offset:         40
        .size:           8
        .value_kind:     by_value
      - .address_space:  global
        .offset:         48
        .size:           8
        .value_kind:     global_buffer
      - .offset:         56
        .size:           8
        .value_kind:     by_value
      - .offset:         64
        .size:           8
        .value_kind:     by_value
      - .offset:         72
        .size:           4
        .value_kind:     by_value
      - .address_space:  global
        .offset:         80
        .size:           8
        .value_kind:     global_buffer
      - .offset:         88
        .size:           8
        .value_kind:     by_value
      - .offset:         96
        .size:           8
        .value_kind:     by_value
      - .offset:         104
        .size:           4
        .value_kind:     by_value
    .group_segment_fixed_size: 2048
    .kernarg_segment_align: 8
    .kernarg_segment_size: 108
    .language:       OpenCL C
    .language_version:
      - 2
      - 0
    .max_flat_workgroup_size: 256
    .name:           _ZL29rocblas_internal_gemmt_kernelIlLi16ELi32ELi8ELc78ELc67ELc85ELb0ELb0EffPKPKfPKPfEviT_T9_T10_S7_lS9_S7_lS8_T11_S7_li
    .private_segment_fixed_size: 0
    .sgpr_count:     31
    .sgpr_spill_count: 0
    .symbol:         _ZL29rocblas_internal_gemmt_kernelIlLi16ELi32ELi8ELc78ELc67ELc85ELb0ELb0EffPKPKfPKPfEviT_T9_T10_S7_lS9_S7_lS8_T11_S7_li.kd
    .uniform_work_group_size: 1
    .uses_dynamic_stack: false
    .vgpr_count:     46
    .vgpr_spill_count: 0
    .wavefront_size: 32
    .workgroup_processor_mode: 1
  - .args:
      - .offset:         0
        .size:           4
        .value_kind:     by_value
      - .offset:         8
        .size:           8
        .value_kind:     by_value
      - .offset:         16
        .size:           4
        .value_kind:     by_value
      - .address_space:  global
        .offset:         24
        .size:           8
        .value_kind:     global_buffer
      - .offset:         32
        .size:           8
        .value_kind:     by_value
      - .offset:         40
        .size:           8
        .value_kind:     by_value
      - .address_space:  global
        .offset:         48
        .size:           8
        .value_kind:     global_buffer
      - .offset:         56
        .size:           8
        .value_kind:     by_value
      - .offset:         64
        .size:           8
        .value_kind:     by_value
      - .offset:         72
        .size:           4
        .value_kind:     by_value
      - .address_space:  global
        .offset:         80
        .size:           8
        .value_kind:     global_buffer
      - .offset:         88
        .size:           8
        .value_kind:     by_value
      - .offset:         96
        .size:           8
        .value_kind:     by_value
      - .offset:         104
        .size:           4
        .value_kind:     by_value
    .group_segment_fixed_size: 2048
    .kernarg_segment_align: 8
    .kernarg_segment_size: 108
    .language:       OpenCL C
    .language_version:
      - 2
      - 0
    .max_flat_workgroup_size: 256
    .name:           _ZL29rocblas_internal_gemmt_kernelIlLi16ELi32ELi8ELc84ELc78ELc85ELb0ELb0EffPKPKfPKPfEviT_T9_T10_S7_lS9_S7_lS8_T11_S7_li
    .private_segment_fixed_size: 0
    .sgpr_count:     31
    .sgpr_spill_count: 0
    .symbol:         _ZL29rocblas_internal_gemmt_kernelIlLi16ELi32ELi8ELc84ELc78ELc85ELb0ELb0EffPKPKfPKPfEviT_T9_T10_S7_lS9_S7_lS8_T11_S7_li.kd
    .uniform_work_group_size: 1
    .uses_dynamic_stack: false
    .vgpr_count:     46
    .vgpr_spill_count: 0
    .wavefront_size: 32
    .workgroup_processor_mode: 1
  - .args:
      - .offset:         0
        .size:           4
        .value_kind:     by_value
      - .offset:         8
        .size:           8
        .value_kind:     by_value
      - .offset:         16
        .size:           4
        .value_kind:     by_value
      - .address_space:  global
        .offset:         24
        .size:           8
        .value_kind:     global_buffer
      - .offset:         32
        .size:           8
        .value_kind:     by_value
      - .offset:         40
        .size:           8
        .value_kind:     by_value
      - .address_space:  global
        .offset:         48
        .size:           8
        .value_kind:     global_buffer
      - .offset:         56
        .size:           8
        .value_kind:     by_value
      - .offset:         64
        .size:           8
        .value_kind:     by_value
      - .offset:         72
        .size:           4
        .value_kind:     by_value
      - .address_space:  global
        .offset:         80
        .size:           8
        .value_kind:     global_buffer
      - .offset:         88
        .size:           8
        .value_kind:     by_value
      - .offset:         96
        .size:           8
        .value_kind:     by_value
      - .offset:         104
        .size:           4
        .value_kind:     by_value
    .group_segment_fixed_size: 2048
    .kernarg_segment_align: 8
    .kernarg_segment_size: 108
    .language:       OpenCL C
    .language_version:
      - 2
      - 0
    .max_flat_workgroup_size: 256
    .name:           _ZL29rocblas_internal_gemmt_kernelIlLi16ELi32ELi8ELc84ELc84ELc85ELb0ELb0EffPKPKfPKPfEviT_T9_T10_S7_lS9_S7_lS8_T11_S7_li
    .private_segment_fixed_size: 0
    .sgpr_count:     31
    .sgpr_spill_count: 0
    .symbol:         _ZL29rocblas_internal_gemmt_kernelIlLi16ELi32ELi8ELc84ELc84ELc85ELb0ELb0EffPKPKfPKPfEviT_T9_T10_S7_lS9_S7_lS8_T11_S7_li.kd
    .uniform_work_group_size: 1
    .uses_dynamic_stack: false
    .vgpr_count:     46
    .vgpr_spill_count: 0
    .wavefront_size: 32
    .workgroup_processor_mode: 1
  - .args:
      - .offset:         0
        .size:           4
        .value_kind:     by_value
      - .offset:         8
        .size:           8
        .value_kind:     by_value
      - .offset:         16
        .size:           4
        .value_kind:     by_value
      - .address_space:  global
        .offset:         24
        .size:           8
        .value_kind:     global_buffer
      - .offset:         32
        .size:           8
        .value_kind:     by_value
      - .offset:         40
        .size:           8
        .value_kind:     by_value
      - .address_space:  global
        .offset:         48
        .size:           8
        .value_kind:     global_buffer
      - .offset:         56
        .size:           8
        .value_kind:     by_value
      - .offset:         64
        .size:           8
        .value_kind:     by_value
      - .offset:         72
        .size:           4
        .value_kind:     by_value
      - .address_space:  global
        .offset:         80
        .size:           8
        .value_kind:     global_buffer
      - .offset:         88
        .size:           8
        .value_kind:     by_value
      - .offset:         96
        .size:           8
        .value_kind:     by_value
      - .offset:         104
        .size:           4
        .value_kind:     by_value
    .group_segment_fixed_size: 2048
    .kernarg_segment_align: 8
    .kernarg_segment_size: 108
    .language:       OpenCL C
    .language_version:
      - 2
      - 0
    .max_flat_workgroup_size: 256
    .name:           _ZL29rocblas_internal_gemmt_kernelIlLi16ELi32ELi8ELc84ELc67ELc85ELb0ELb0EffPKPKfPKPfEviT_T9_T10_S7_lS9_S7_lS8_T11_S7_li
    .private_segment_fixed_size: 0
    .sgpr_count:     31
    .sgpr_spill_count: 0
    .symbol:         _ZL29rocblas_internal_gemmt_kernelIlLi16ELi32ELi8ELc84ELc67ELc85ELb0ELb0EffPKPKfPKPfEviT_T9_T10_S7_lS9_S7_lS8_T11_S7_li.kd
    .uniform_work_group_size: 1
    .uses_dynamic_stack: false
    .vgpr_count:     46
    .vgpr_spill_count: 0
    .wavefront_size: 32
    .workgroup_processor_mode: 1
  - .args:
      - .offset:         0
        .size:           4
        .value_kind:     by_value
      - .offset:         8
        .size:           8
        .value_kind:     by_value
      - .offset:         16
        .size:           4
        .value_kind:     by_value
      - .address_space:  global
        .offset:         24
        .size:           8
        .value_kind:     global_buffer
      - .offset:         32
        .size:           8
        .value_kind:     by_value
      - .offset:         40
        .size:           8
        .value_kind:     by_value
      - .address_space:  global
        .offset:         48
        .size:           8
        .value_kind:     global_buffer
      - .offset:         56
        .size:           8
        .value_kind:     by_value
      - .offset:         64
        .size:           8
        .value_kind:     by_value
      - .offset:         72
        .size:           4
        .value_kind:     by_value
      - .address_space:  global
        .offset:         80
        .size:           8
        .value_kind:     global_buffer
      - .offset:         88
        .size:           8
        .value_kind:     by_value
      - .offset:         96
        .size:           8
        .value_kind:     by_value
      - .offset:         104
        .size:           4
        .value_kind:     by_value
    .group_segment_fixed_size: 2048
    .kernarg_segment_align: 8
    .kernarg_segment_size: 108
    .language:       OpenCL C
    .language_version:
      - 2
      - 0
    .max_flat_workgroup_size: 256
    .name:           _ZL29rocblas_internal_gemmt_kernelIlLi16ELi32ELi8ELc67ELc78ELc85ELb0ELb0EffPKPKfPKPfEviT_T9_T10_S7_lS9_S7_lS8_T11_S7_li
    .private_segment_fixed_size: 0
    .sgpr_count:     31
    .sgpr_spill_count: 0
    .symbol:         _ZL29rocblas_internal_gemmt_kernelIlLi16ELi32ELi8ELc67ELc78ELc85ELb0ELb0EffPKPKfPKPfEviT_T9_T10_S7_lS9_S7_lS8_T11_S7_li.kd
    .uniform_work_group_size: 1
    .uses_dynamic_stack: false
    .vgpr_count:     46
    .vgpr_spill_count: 0
    .wavefront_size: 32
    .workgroup_processor_mode: 1
  - .args:
      - .offset:         0
        .size:           4
        .value_kind:     by_value
      - .offset:         8
        .size:           8
        .value_kind:     by_value
      - .offset:         16
        .size:           4
        .value_kind:     by_value
      - .address_space:  global
        .offset:         24
        .size:           8
        .value_kind:     global_buffer
      - .offset:         32
        .size:           8
        .value_kind:     by_value
      - .offset:         40
        .size:           8
        .value_kind:     by_value
      - .address_space:  global
        .offset:         48
        .size:           8
        .value_kind:     global_buffer
      - .offset:         56
        .size:           8
        .value_kind:     by_value
      - .offset:         64
        .size:           8
        .value_kind:     by_value
      - .offset:         72
        .size:           4
        .value_kind:     by_value
      - .address_space:  global
        .offset:         80
        .size:           8
        .value_kind:     global_buffer
      - .offset:         88
        .size:           8
        .value_kind:     by_value
      - .offset:         96
        .size:           8
        .value_kind:     by_value
      - .offset:         104
        .size:           4
        .value_kind:     by_value
    .group_segment_fixed_size: 2048
    .kernarg_segment_align: 8
    .kernarg_segment_size: 108
    .language:       OpenCL C
    .language_version:
      - 2
      - 0
    .max_flat_workgroup_size: 256
    .name:           _ZL29rocblas_internal_gemmt_kernelIlLi16ELi32ELi8ELc67ELc84ELc85ELb0ELb0EffPKPKfPKPfEviT_T9_T10_S7_lS9_S7_lS8_T11_S7_li
    .private_segment_fixed_size: 0
    .sgpr_count:     31
    .sgpr_spill_count: 0
    .symbol:         _ZL29rocblas_internal_gemmt_kernelIlLi16ELi32ELi8ELc67ELc84ELc85ELb0ELb0EffPKPKfPKPfEviT_T9_T10_S7_lS9_S7_lS8_T11_S7_li.kd
    .uniform_work_group_size: 1
    .uses_dynamic_stack: false
    .vgpr_count:     46
    .vgpr_spill_count: 0
    .wavefront_size: 32
    .workgroup_processor_mode: 1
  - .args:
      - .offset:         0
        .size:           4
        .value_kind:     by_value
      - .offset:         8
        .size:           8
        .value_kind:     by_value
      - .offset:         16
        .size:           4
        .value_kind:     by_value
      - .address_space:  global
        .offset:         24
        .size:           8
        .value_kind:     global_buffer
      - .offset:         32
        .size:           8
        .value_kind:     by_value
      - .offset:         40
        .size:           8
        .value_kind:     by_value
      - .address_space:  global
        .offset:         48
        .size:           8
        .value_kind:     global_buffer
      - .offset:         56
        .size:           8
        .value_kind:     by_value
      - .offset:         64
        .size:           8
        .value_kind:     by_value
      - .offset:         72
        .size:           4
        .value_kind:     by_value
      - .address_space:  global
        .offset:         80
        .size:           8
        .value_kind:     global_buffer
      - .offset:         88
        .size:           8
        .value_kind:     by_value
      - .offset:         96
        .size:           8
        .value_kind:     by_value
      - .offset:         104
        .size:           4
        .value_kind:     by_value
    .group_segment_fixed_size: 2048
    .kernarg_segment_align: 8
    .kernarg_segment_size: 108
    .language:       OpenCL C
    .language_version:
      - 2
      - 0
    .max_flat_workgroup_size: 256
    .name:           _ZL29rocblas_internal_gemmt_kernelIlLi16ELi32ELi8ELc67ELc67ELc85ELb0ELb0EffPKPKfPKPfEviT_T9_T10_S7_lS9_S7_lS8_T11_S7_li
    .private_segment_fixed_size: 0
    .sgpr_count:     31
    .sgpr_spill_count: 0
    .symbol:         _ZL29rocblas_internal_gemmt_kernelIlLi16ELi32ELi8ELc67ELc67ELc85ELb0ELb0EffPKPKfPKPfEviT_T9_T10_S7_lS9_S7_lS8_T11_S7_li.kd
    .uniform_work_group_size: 1
    .uses_dynamic_stack: false
    .vgpr_count:     46
    .vgpr_spill_count: 0
    .wavefront_size: 32
    .workgroup_processor_mode: 1
  - .args:
      - .offset:         0
        .size:           4
        .value_kind:     by_value
      - .offset:         8
        .size:           8
        .value_kind:     by_value
      - .offset:         16
        .size:           4
        .value_kind:     by_value
      - .address_space:  global
        .offset:         24
        .size:           8
        .value_kind:     global_buffer
      - .offset:         32
        .size:           8
        .value_kind:     by_value
      - .offset:         40
        .size:           8
        .value_kind:     by_value
      - .address_space:  global
        .offset:         48
        .size:           8
        .value_kind:     global_buffer
      - .offset:         56
        .size:           8
        .value_kind:     by_value
      - .offset:         64
        .size:           8
        .value_kind:     by_value
      - .offset:         72
        .size:           4
        .value_kind:     by_value
      - .address_space:  global
        .offset:         80
        .size:           8
        .value_kind:     global_buffer
      - .offset:         88
        .size:           8
        .value_kind:     by_value
      - .offset:         96
        .size:           8
        .value_kind:     by_value
      - .offset:         104
        .size:           4
        .value_kind:     by_value
    .group_segment_fixed_size: 2048
    .kernarg_segment_align: 8
    .kernarg_segment_size: 108
    .language:       OpenCL C
    .language_version:
      - 2
      - 0
    .max_flat_workgroup_size: 256
    .name:           _ZL29rocblas_internal_gemmt_kernelIlLi16ELi32ELi8ELc78ELc78ELc76ELb0ELb0EffPKPKfPKPfEviT_T9_T10_S7_lS9_S7_lS8_T11_S7_li
    .private_segment_fixed_size: 0
    .sgpr_count:     31
    .sgpr_spill_count: 0
    .symbol:         _ZL29rocblas_internal_gemmt_kernelIlLi16ELi32ELi8ELc78ELc78ELc76ELb0ELb0EffPKPKfPKPfEviT_T9_T10_S7_lS9_S7_lS8_T11_S7_li.kd
    .uniform_work_group_size: 1
    .uses_dynamic_stack: false
    .vgpr_count:     46
    .vgpr_spill_count: 0
    .wavefront_size: 32
    .workgroup_processor_mode: 1
  - .args:
      - .offset:         0
        .size:           4
        .value_kind:     by_value
      - .offset:         8
        .size:           8
        .value_kind:     by_value
      - .offset:         16
        .size:           4
        .value_kind:     by_value
      - .address_space:  global
        .offset:         24
        .size:           8
        .value_kind:     global_buffer
      - .offset:         32
        .size:           8
        .value_kind:     by_value
      - .offset:         40
        .size:           8
        .value_kind:     by_value
      - .address_space:  global
        .offset:         48
        .size:           8
        .value_kind:     global_buffer
      - .offset:         56
        .size:           8
        .value_kind:     by_value
      - .offset:         64
        .size:           8
        .value_kind:     by_value
      - .offset:         72
        .size:           4
        .value_kind:     by_value
      - .address_space:  global
        .offset:         80
        .size:           8
        .value_kind:     global_buffer
      - .offset:         88
        .size:           8
        .value_kind:     by_value
      - .offset:         96
        .size:           8
        .value_kind:     by_value
      - .offset:         104
        .size:           4
        .value_kind:     by_value
    .group_segment_fixed_size: 2048
    .kernarg_segment_align: 8
    .kernarg_segment_size: 108
    .language:       OpenCL C
    .language_version:
      - 2
      - 0
    .max_flat_workgroup_size: 256
    .name:           _ZL29rocblas_internal_gemmt_kernelIlLi16ELi32ELi8ELc78ELc84ELc76ELb0ELb0EffPKPKfPKPfEviT_T9_T10_S7_lS9_S7_lS8_T11_S7_li
    .private_segment_fixed_size: 0
    .sgpr_count:     29
    .sgpr_spill_count: 0
    .symbol:         _ZL29rocblas_internal_gemmt_kernelIlLi16ELi32ELi8ELc78ELc84ELc76ELb0ELb0EffPKPKfPKPfEviT_T9_T10_S7_lS9_S7_lS8_T11_S7_li.kd
    .uniform_work_group_size: 1
    .uses_dynamic_stack: false
    .vgpr_count:     46
    .vgpr_spill_count: 0
    .wavefront_size: 32
    .workgroup_processor_mode: 1
  - .args:
      - .offset:         0
        .size:           4
        .value_kind:     by_value
      - .offset:         8
        .size:           8
        .value_kind:     by_value
      - .offset:         16
        .size:           4
        .value_kind:     by_value
      - .address_space:  global
        .offset:         24
        .size:           8
        .value_kind:     global_buffer
      - .offset:         32
        .size:           8
        .value_kind:     by_value
      - .offset:         40
        .size:           8
        .value_kind:     by_value
      - .address_space:  global
        .offset:         48
        .size:           8
        .value_kind:     global_buffer
      - .offset:         56
        .size:           8
        .value_kind:     by_value
      - .offset:         64
        .size:           8
        .value_kind:     by_value
      - .offset:         72
        .size:           4
        .value_kind:     by_value
      - .address_space:  global
        .offset:         80
        .size:           8
        .value_kind:     global_buffer
      - .offset:         88
        .size:           8
        .value_kind:     by_value
      - .offset:         96
        .size:           8
        .value_kind:     by_value
      - .offset:         104
        .size:           4
        .value_kind:     by_value
    .group_segment_fixed_size: 2048
    .kernarg_segment_align: 8
    .kernarg_segment_size: 108
    .language:       OpenCL C
    .language_version:
      - 2
      - 0
    .max_flat_workgroup_size: 256
    .name:           _ZL29rocblas_internal_gemmt_kernelIlLi16ELi32ELi8ELc78ELc67ELc76ELb0ELb0EffPKPKfPKPfEviT_T9_T10_S7_lS9_S7_lS8_T11_S7_li
    .private_segment_fixed_size: 0
    .sgpr_count:     29
    .sgpr_spill_count: 0
    .symbol:         _ZL29rocblas_internal_gemmt_kernelIlLi16ELi32ELi8ELc78ELc67ELc76ELb0ELb0EffPKPKfPKPfEviT_T9_T10_S7_lS9_S7_lS8_T11_S7_li.kd
    .uniform_work_group_size: 1
    .uses_dynamic_stack: false
    .vgpr_count:     46
    .vgpr_spill_count: 0
    .wavefront_size: 32
    .workgroup_processor_mode: 1
  - .args:
      - .offset:         0
        .size:           4
        .value_kind:     by_value
      - .offset:         8
        .size:           8
        .value_kind:     by_value
      - .offset:         16
        .size:           4
        .value_kind:     by_value
      - .address_space:  global
        .offset:         24
        .size:           8
        .value_kind:     global_buffer
      - .offset:         32
        .size:           8
        .value_kind:     by_value
      - .offset:         40
        .size:           8
        .value_kind:     by_value
      - .address_space:  global
        .offset:         48
        .size:           8
        .value_kind:     global_buffer
      - .offset:         56
        .size:           8
        .value_kind:     by_value
      - .offset:         64
        .size:           8
        .value_kind:     by_value
      - .offset:         72
        .size:           4
        .value_kind:     by_value
      - .address_space:  global
        .offset:         80
        .size:           8
        .value_kind:     global_buffer
      - .offset:         88
        .size:           8
        .value_kind:     by_value
      - .offset:         96
        .size:           8
        .value_kind:     by_value
      - .offset:         104
        .size:           4
        .value_kind:     by_value
    .group_segment_fixed_size: 2048
    .kernarg_segment_align: 8
    .kernarg_segment_size: 108
    .language:       OpenCL C
    .language_version:
      - 2
      - 0
    .max_flat_workgroup_size: 256
    .name:           _ZL29rocblas_internal_gemmt_kernelIlLi16ELi32ELi8ELc84ELc78ELc76ELb0ELb0EffPKPKfPKPfEviT_T9_T10_S7_lS9_S7_lS8_T11_S7_li
    .private_segment_fixed_size: 0
    .sgpr_count:     31
    .sgpr_spill_count: 0
    .symbol:         _ZL29rocblas_internal_gemmt_kernelIlLi16ELi32ELi8ELc84ELc78ELc76ELb0ELb0EffPKPKfPKPfEviT_T9_T10_S7_lS9_S7_lS8_T11_S7_li.kd
    .uniform_work_group_size: 1
    .uses_dynamic_stack: false
    .vgpr_count:     46
    .vgpr_spill_count: 0
    .wavefront_size: 32
    .workgroup_processor_mode: 1
  - .args:
      - .offset:         0
        .size:           4
        .value_kind:     by_value
      - .offset:         8
        .size:           8
        .value_kind:     by_value
      - .offset:         16
        .size:           4
        .value_kind:     by_value
      - .address_space:  global
        .offset:         24
        .size:           8
        .value_kind:     global_buffer
      - .offset:         32
        .size:           8
        .value_kind:     by_value
      - .offset:         40
        .size:           8
        .value_kind:     by_value
      - .address_space:  global
        .offset:         48
        .size:           8
        .value_kind:     global_buffer
      - .offset:         56
        .size:           8
        .value_kind:     by_value
      - .offset:         64
        .size:           8
        .value_kind:     by_value
      - .offset:         72
        .size:           4
        .value_kind:     by_value
      - .address_space:  global
        .offset:         80
        .size:           8
        .value_kind:     global_buffer
      - .offset:         88
        .size:           8
        .value_kind:     by_value
      - .offset:         96
        .size:           8
        .value_kind:     by_value
      - .offset:         104
        .size:           4
        .value_kind:     by_value
    .group_segment_fixed_size: 2048
    .kernarg_segment_align: 8
    .kernarg_segment_size: 108
    .language:       OpenCL C
    .language_version:
      - 2
      - 0
    .max_flat_workgroup_size: 256
    .name:           _ZL29rocblas_internal_gemmt_kernelIlLi16ELi32ELi8ELc84ELc84ELc76ELb0ELb0EffPKPKfPKPfEviT_T9_T10_S7_lS9_S7_lS8_T11_S7_li
    .private_segment_fixed_size: 0
    .sgpr_count:     29
    .sgpr_spill_count: 0
    .symbol:         _ZL29rocblas_internal_gemmt_kernelIlLi16ELi32ELi8ELc84ELc84ELc76ELb0ELb0EffPKPKfPKPfEviT_T9_T10_S7_lS9_S7_lS8_T11_S7_li.kd
    .uniform_work_group_size: 1
    .uses_dynamic_stack: false
    .vgpr_count:     46
    .vgpr_spill_count: 0
    .wavefront_size: 32
    .workgroup_processor_mode: 1
  - .args:
      - .offset:         0
        .size:           4
        .value_kind:     by_value
      - .offset:         8
        .size:           8
        .value_kind:     by_value
      - .offset:         16
        .size:           4
        .value_kind:     by_value
      - .address_space:  global
        .offset:         24
        .size:           8
        .value_kind:     global_buffer
      - .offset:         32
        .size:           8
        .value_kind:     by_value
      - .offset:         40
        .size:           8
        .value_kind:     by_value
      - .address_space:  global
        .offset:         48
        .size:           8
        .value_kind:     global_buffer
      - .offset:         56
        .size:           8
        .value_kind:     by_value
      - .offset:         64
        .size:           8
        .value_kind:     by_value
      - .offset:         72
        .size:           4
        .value_kind:     by_value
      - .address_space:  global
        .offset:         80
        .size:           8
        .value_kind:     global_buffer
      - .offset:         88
        .size:           8
        .value_kind:     by_value
      - .offset:         96
        .size:           8
        .value_kind:     by_value
      - .offset:         104
        .size:           4
        .value_kind:     by_value
    .group_segment_fixed_size: 2048
    .kernarg_segment_align: 8
    .kernarg_segment_size: 108
    .language:       OpenCL C
    .language_version:
      - 2
      - 0
    .max_flat_workgroup_size: 256
    .name:           _ZL29rocblas_internal_gemmt_kernelIlLi16ELi32ELi8ELc84ELc67ELc76ELb0ELb0EffPKPKfPKPfEviT_T9_T10_S7_lS9_S7_lS8_T11_S7_li
    .private_segment_fixed_size: 0
    .sgpr_count:     29
    .sgpr_spill_count: 0
    .symbol:         _ZL29rocblas_internal_gemmt_kernelIlLi16ELi32ELi8ELc84ELc67ELc76ELb0ELb0EffPKPKfPKPfEviT_T9_T10_S7_lS9_S7_lS8_T11_S7_li.kd
    .uniform_work_group_size: 1
    .uses_dynamic_stack: false
    .vgpr_count:     46
    .vgpr_spill_count: 0
    .wavefront_size: 32
    .workgroup_processor_mode: 1
  - .args:
      - .offset:         0
        .size:           4
        .value_kind:     by_value
      - .offset:         8
        .size:           8
        .value_kind:     by_value
      - .offset:         16
        .size:           4
        .value_kind:     by_value
      - .address_space:  global
        .offset:         24
        .size:           8
        .value_kind:     global_buffer
      - .offset:         32
        .size:           8
        .value_kind:     by_value
      - .offset:         40
        .size:           8
        .value_kind:     by_value
      - .address_space:  global
        .offset:         48
        .size:           8
        .value_kind:     global_buffer
      - .offset:         56
        .size:           8
        .value_kind:     by_value
      - .offset:         64
        .size:           8
        .value_kind:     by_value
      - .offset:         72
        .size:           4
        .value_kind:     by_value
      - .address_space:  global
        .offset:         80
        .size:           8
        .value_kind:     global_buffer
      - .offset:         88
        .size:           8
        .value_kind:     by_value
      - .offset:         96
        .size:           8
        .value_kind:     by_value
      - .offset:         104
        .size:           4
        .value_kind:     by_value
    .group_segment_fixed_size: 2048
    .kernarg_segment_align: 8
    .kernarg_segment_size: 108
    .language:       OpenCL C
    .language_version:
      - 2
      - 0
    .max_flat_workgroup_size: 256
    .name:           _ZL29rocblas_internal_gemmt_kernelIlLi16ELi32ELi8ELc67ELc78ELc76ELb0ELb0EffPKPKfPKPfEviT_T9_T10_S7_lS9_S7_lS8_T11_S7_li
    .private_segment_fixed_size: 0
    .sgpr_count:     31
    .sgpr_spill_count: 0
    .symbol:         _ZL29rocblas_internal_gemmt_kernelIlLi16ELi32ELi8ELc67ELc78ELc76ELb0ELb0EffPKPKfPKPfEviT_T9_T10_S7_lS9_S7_lS8_T11_S7_li.kd
    .uniform_work_group_size: 1
    .uses_dynamic_stack: false
    .vgpr_count:     46
    .vgpr_spill_count: 0
    .wavefront_size: 32
    .workgroup_processor_mode: 1
  - .args:
      - .offset:         0
        .size:           4
        .value_kind:     by_value
      - .offset:         8
        .size:           8
        .value_kind:     by_value
      - .offset:         16
        .size:           4
        .value_kind:     by_value
      - .address_space:  global
        .offset:         24
        .size:           8
        .value_kind:     global_buffer
      - .offset:         32
        .size:           8
        .value_kind:     by_value
      - .offset:         40
        .size:           8
        .value_kind:     by_value
      - .address_space:  global
        .offset:         48
        .size:           8
        .value_kind:     global_buffer
      - .offset:         56
        .size:           8
        .value_kind:     by_value
      - .offset:         64
        .size:           8
        .value_kind:     by_value
      - .offset:         72
        .size:           4
        .value_kind:     by_value
      - .address_space:  global
        .offset:         80
        .size:           8
        .value_kind:     global_buffer
      - .offset:         88
        .size:           8
        .value_kind:     by_value
      - .offset:         96
        .size:           8
        .value_kind:     by_value
      - .offset:         104
        .size:           4
        .value_kind:     by_value
    .group_segment_fixed_size: 2048
    .kernarg_segment_align: 8
    .kernarg_segment_size: 108
    .language:       OpenCL C
    .language_version:
      - 2
      - 0
    .max_flat_workgroup_size: 256
    .name:           _ZL29rocblas_internal_gemmt_kernelIlLi16ELi32ELi8ELc67ELc84ELc76ELb0ELb0EffPKPKfPKPfEviT_T9_T10_S7_lS9_S7_lS8_T11_S7_li
    .private_segment_fixed_size: 0
    .sgpr_count:     29
    .sgpr_spill_count: 0
    .symbol:         _ZL29rocblas_internal_gemmt_kernelIlLi16ELi32ELi8ELc67ELc84ELc76ELb0ELb0EffPKPKfPKPfEviT_T9_T10_S7_lS9_S7_lS8_T11_S7_li.kd
    .uniform_work_group_size: 1
    .uses_dynamic_stack: false
    .vgpr_count:     46
    .vgpr_spill_count: 0
    .wavefront_size: 32
    .workgroup_processor_mode: 1
  - .args:
      - .offset:         0
        .size:           4
        .value_kind:     by_value
      - .offset:         8
        .size:           8
        .value_kind:     by_value
      - .offset:         16
        .size:           4
        .value_kind:     by_value
      - .address_space:  global
        .offset:         24
        .size:           8
        .value_kind:     global_buffer
      - .offset:         32
        .size:           8
        .value_kind:     by_value
      - .offset:         40
        .size:           8
        .value_kind:     by_value
      - .address_space:  global
        .offset:         48
        .size:           8
        .value_kind:     global_buffer
      - .offset:         56
        .size:           8
        .value_kind:     by_value
      - .offset:         64
        .size:           8
        .value_kind:     by_value
      - .offset:         72
        .size:           4
        .value_kind:     by_value
      - .address_space:  global
        .offset:         80
        .size:           8
        .value_kind:     global_buffer
      - .offset:         88
        .size:           8
        .value_kind:     by_value
      - .offset:         96
        .size:           8
        .value_kind:     by_value
      - .offset:         104
        .size:           4
        .value_kind:     by_value
    .group_segment_fixed_size: 2048
    .kernarg_segment_align: 8
    .kernarg_segment_size: 108
    .language:       OpenCL C
    .language_version:
      - 2
      - 0
    .max_flat_workgroup_size: 256
    .name:           _ZL29rocblas_internal_gemmt_kernelIlLi16ELi32ELi8ELc67ELc67ELc76ELb0ELb0EffPKPKfPKPfEviT_T9_T10_S7_lS9_S7_lS8_T11_S7_li
    .private_segment_fixed_size: 0
    .sgpr_count:     29
    .sgpr_spill_count: 0
    .symbol:         _ZL29rocblas_internal_gemmt_kernelIlLi16ELi32ELi8ELc67ELc67ELc76ELb0ELb0EffPKPKfPKPfEviT_T9_T10_S7_lS9_S7_lS8_T11_S7_li.kd
    .uniform_work_group_size: 1
    .uses_dynamic_stack: false
    .vgpr_count:     46
    .vgpr_spill_count: 0
    .wavefront_size: 32
    .workgroup_processor_mode: 1
  - .args:
      - .offset:         0
        .size:           4
        .value_kind:     by_value
      - .offset:         8
        .size:           8
        .value_kind:     by_value
      - .address_space:  global
        .offset:         16
        .size:           8
        .value_kind:     global_buffer
      - .address_space:  global
        .offset:         24
        .size:           8
        .value_kind:     global_buffer
      - .offset:         32
        .size:           8
        .value_kind:     by_value
      - .offset:         40
        .size:           8
        .value_kind:     by_value
      - .address_space:  global
        .offset:         48
        .size:           8
        .value_kind:     global_buffer
      - .offset:         56
        .size:           8
        .value_kind:     by_value
      - .offset:         64
        .size:           8
        .value_kind:     by_value
      - .address_space:  global
        .offset:         72
        .size:           8
        .value_kind:     global_buffer
      - .address_space:  global
        .offset:         80
        .size:           8
        .value_kind:     global_buffer
      - .offset:         88
        .size:           8
        .value_kind:     by_value
      - .offset:         96
        .size:           8
        .value_kind:     by_value
      - .offset:         104
        .size:           4
        .value_kind:     by_value
    .group_segment_fixed_size: 4096
    .kernarg_segment_align: 8
    .kernarg_segment_size: 108
    .language:       OpenCL C
    .language_version:
      - 2
      - 0
    .max_flat_workgroup_size: 256
    .name:           _ZL29rocblas_internal_gemmt_kernelIlLi16ELi32ELi8ELc78ELc78ELc85ELb0ELb0EdPKdPKS1_PKPdEviT_T9_T10_S7_lS9_S7_lS8_T11_S7_li
    .private_segment_fixed_size: 0
    .sgpr_count:     46
    .sgpr_spill_count: 0
    .symbol:         _ZL29rocblas_internal_gemmt_kernelIlLi16ELi32ELi8ELc78ELc78ELc85ELb0ELb0EdPKdPKS1_PKPdEviT_T9_T10_S7_lS9_S7_lS8_T11_S7_li.kd
    .uniform_work_group_size: 1
    .uses_dynamic_stack: false
    .vgpr_count:     46
    .vgpr_spill_count: 0
    .wavefront_size: 32
    .workgroup_processor_mode: 1
  - .args:
      - .offset:         0
        .size:           4
        .value_kind:     by_value
      - .offset:         8
        .size:           8
        .value_kind:     by_value
      - .address_space:  global
        .offset:         16
        .size:           8
        .value_kind:     global_buffer
      - .address_space:  global
        .offset:         24
        .size:           8
        .value_kind:     global_buffer
      - .offset:         32
        .size:           8
        .value_kind:     by_value
      - .offset:         40
        .size:           8
        .value_kind:     by_value
      - .address_space:  global
        .offset:         48
        .size:           8
        .value_kind:     global_buffer
      - .offset:         56
        .size:           8
        .value_kind:     by_value
      - .offset:         64
        .size:           8
        .value_kind:     by_value
      - .address_space:  global
        .offset:         72
        .size:           8
        .value_kind:     global_buffer
      - .address_space:  global
        .offset:         80
        .size:           8
        .value_kind:     global_buffer
      - .offset:         88
        .size:           8
        .value_kind:     by_value
      - .offset:         96
        .size:           8
        .value_kind:     by_value
      - .offset:         104
        .size:           4
        .value_kind:     by_value
    .group_segment_fixed_size: 4096
    .kernarg_segment_align: 8
    .kernarg_segment_size: 108
    .language:       OpenCL C
    .language_version:
      - 2
      - 0
    .max_flat_workgroup_size: 256
    .name:           _ZL29rocblas_internal_gemmt_kernelIlLi16ELi32ELi8ELc78ELc84ELc85ELb0ELb0EdPKdPKS1_PKPdEviT_T9_T10_S7_lS9_S7_lS8_T11_S7_li
    .private_segment_fixed_size: 0
    .sgpr_count:     46
    .sgpr_spill_count: 0
    .symbol:         _ZL29rocblas_internal_gemmt_kernelIlLi16ELi32ELi8ELc78ELc84ELc85ELb0ELb0EdPKdPKS1_PKPdEviT_T9_T10_S7_lS9_S7_lS8_T11_S7_li.kd
    .uniform_work_group_size: 1
    .uses_dynamic_stack: false
    .vgpr_count:     46
    .vgpr_spill_count: 0
    .wavefront_size: 32
    .workgroup_processor_mode: 1
  - .args:
      - .offset:         0
        .size:           4
        .value_kind:     by_value
      - .offset:         8
        .size:           8
        .value_kind:     by_value
      - .address_space:  global
        .offset:         16
        .size:           8
        .value_kind:     global_buffer
      - .address_space:  global
        .offset:         24
        .size:           8
        .value_kind:     global_buffer
      - .offset:         32
        .size:           8
        .value_kind:     by_value
      - .offset:         40
        .size:           8
        .value_kind:     by_value
      - .address_space:  global
        .offset:         48
        .size:           8
        .value_kind:     global_buffer
      - .offset:         56
        .size:           8
        .value_kind:     by_value
      - .offset:         64
        .size:           8
        .value_kind:     by_value
      - .address_space:  global
        .offset:         72
        .size:           8
        .value_kind:     global_buffer
      - .address_space:  global
        .offset:         80
        .size:           8
        .value_kind:     global_buffer
      - .offset:         88
        .size:           8
        .value_kind:     by_value
      - .offset:         96
        .size:           8
        .value_kind:     by_value
      - .offset:         104
        .size:           4
        .value_kind:     by_value
    .group_segment_fixed_size: 4096
    .kernarg_segment_align: 8
    .kernarg_segment_size: 108
    .language:       OpenCL C
    .language_version:
      - 2
      - 0
    .max_flat_workgroup_size: 256
    .name:           _ZL29rocblas_internal_gemmt_kernelIlLi16ELi32ELi8ELc78ELc67ELc85ELb0ELb0EdPKdPKS1_PKPdEviT_T9_T10_S7_lS9_S7_lS8_T11_S7_li
    .private_segment_fixed_size: 0
    .sgpr_count:     46
    .sgpr_spill_count: 0
    .symbol:         _ZL29rocblas_internal_gemmt_kernelIlLi16ELi32ELi8ELc78ELc67ELc85ELb0ELb0EdPKdPKS1_PKPdEviT_T9_T10_S7_lS9_S7_lS8_T11_S7_li.kd
    .uniform_work_group_size: 1
    .uses_dynamic_stack: false
    .vgpr_count:     46
    .vgpr_spill_count: 0
    .wavefront_size: 32
    .workgroup_processor_mode: 1
  - .args:
      - .offset:         0
        .size:           4
        .value_kind:     by_value
      - .offset:         8
        .size:           8
        .value_kind:     by_value
      - .address_space:  global
        .offset:         16
        .size:           8
        .value_kind:     global_buffer
      - .address_space:  global
        .offset:         24
        .size:           8
        .value_kind:     global_buffer
      - .offset:         32
        .size:           8
        .value_kind:     by_value
      - .offset:         40
        .size:           8
        .value_kind:     by_value
      - .address_space:  global
        .offset:         48
        .size:           8
        .value_kind:     global_buffer
      - .offset:         56
        .size:           8
        .value_kind:     by_value
      - .offset:         64
        .size:           8
        .value_kind:     by_value
      - .address_space:  global
        .offset:         72
        .size:           8
        .value_kind:     global_buffer
      - .address_space:  global
        .offset:         80
        .size:           8
        .value_kind:     global_buffer
      - .offset:         88
        .size:           8
        .value_kind:     by_value
      - .offset:         96
        .size:           8
        .value_kind:     by_value
      - .offset:         104
        .size:           4
        .value_kind:     by_value
    .group_segment_fixed_size: 4096
    .kernarg_segment_align: 8
    .kernarg_segment_size: 108
    .language:       OpenCL C
    .language_version:
      - 2
      - 0
    .max_flat_workgroup_size: 256
    .name:           _ZL29rocblas_internal_gemmt_kernelIlLi16ELi32ELi8ELc84ELc78ELc85ELb0ELb0EdPKdPKS1_PKPdEviT_T9_T10_S7_lS9_S7_lS8_T11_S7_li
    .private_segment_fixed_size: 0
    .sgpr_count:     46
    .sgpr_spill_count: 0
    .symbol:         _ZL29rocblas_internal_gemmt_kernelIlLi16ELi32ELi8ELc84ELc78ELc85ELb0ELb0EdPKdPKS1_PKPdEviT_T9_T10_S7_lS9_S7_lS8_T11_S7_li.kd
    .uniform_work_group_size: 1
    .uses_dynamic_stack: false
    .vgpr_count:     46
    .vgpr_spill_count: 0
    .wavefront_size: 32
    .workgroup_processor_mode: 1
  - .args:
      - .offset:         0
        .size:           4
        .value_kind:     by_value
      - .offset:         8
        .size:           8
        .value_kind:     by_value
      - .address_space:  global
        .offset:         16
        .size:           8
        .value_kind:     global_buffer
      - .address_space:  global
        .offset:         24
        .size:           8
        .value_kind:     global_buffer
      - .offset:         32
        .size:           8
        .value_kind:     by_value
      - .offset:         40
        .size:           8
        .value_kind:     by_value
      - .address_space:  global
        .offset:         48
        .size:           8
        .value_kind:     global_buffer
      - .offset:         56
        .size:           8
        .value_kind:     by_value
      - .offset:         64
        .size:           8
        .value_kind:     by_value
      - .address_space:  global
        .offset:         72
        .size:           8
        .value_kind:     global_buffer
      - .address_space:  global
        .offset:         80
        .size:           8
        .value_kind:     global_buffer
      - .offset:         88
        .size:           8
        .value_kind:     by_value
      - .offset:         96
        .size:           8
        .value_kind:     by_value
      - .offset:         104
        .size:           4
        .value_kind:     by_value
    .group_segment_fixed_size: 4096
    .kernarg_segment_align: 8
    .kernarg_segment_size: 108
    .language:       OpenCL C
    .language_version:
      - 2
      - 0
    .max_flat_workgroup_size: 256
    .name:           _ZL29rocblas_internal_gemmt_kernelIlLi16ELi32ELi8ELc84ELc84ELc85ELb0ELb0EdPKdPKS1_PKPdEviT_T9_T10_S7_lS9_S7_lS8_T11_S7_li
    .private_segment_fixed_size: 0
    .sgpr_count:     46
    .sgpr_spill_count: 0
    .symbol:         _ZL29rocblas_internal_gemmt_kernelIlLi16ELi32ELi8ELc84ELc84ELc85ELb0ELb0EdPKdPKS1_PKPdEviT_T9_T10_S7_lS9_S7_lS8_T11_S7_li.kd
    .uniform_work_group_size: 1
    .uses_dynamic_stack: false
    .vgpr_count:     46
    .vgpr_spill_count: 0
    .wavefront_size: 32
    .workgroup_processor_mode: 1
  - .args:
      - .offset:         0
        .size:           4
        .value_kind:     by_value
      - .offset:         8
        .size:           8
        .value_kind:     by_value
      - .address_space:  global
        .offset:         16
        .size:           8
        .value_kind:     global_buffer
      - .address_space:  global
        .offset:         24
        .size:           8
        .value_kind:     global_buffer
      - .offset:         32
        .size:           8
        .value_kind:     by_value
      - .offset:         40
        .size:           8
        .value_kind:     by_value
      - .address_space:  global
        .offset:         48
        .size:           8
        .value_kind:     global_buffer
      - .offset:         56
        .size:           8
        .value_kind:     by_value
      - .offset:         64
        .size:           8
        .value_kind:     by_value
      - .address_space:  global
        .offset:         72
        .size:           8
        .value_kind:     global_buffer
      - .address_space:  global
        .offset:         80
        .size:           8
        .value_kind:     global_buffer
      - .offset:         88
        .size:           8
        .value_kind:     by_value
      - .offset:         96
        .size:           8
        .value_kind:     by_value
      - .offset:         104
        .size:           4
        .value_kind:     by_value
    .group_segment_fixed_size: 4096
    .kernarg_segment_align: 8
    .kernarg_segment_size: 108
    .language:       OpenCL C
    .language_version:
      - 2
      - 0
    .max_flat_workgroup_size: 256
    .name:           _ZL29rocblas_internal_gemmt_kernelIlLi16ELi32ELi8ELc84ELc67ELc85ELb0ELb0EdPKdPKS1_PKPdEviT_T9_T10_S7_lS9_S7_lS8_T11_S7_li
    .private_segment_fixed_size: 0
    .sgpr_count:     46
    .sgpr_spill_count: 0
    .symbol:         _ZL29rocblas_internal_gemmt_kernelIlLi16ELi32ELi8ELc84ELc67ELc85ELb0ELb0EdPKdPKS1_PKPdEviT_T9_T10_S7_lS9_S7_lS8_T11_S7_li.kd
    .uniform_work_group_size: 1
    .uses_dynamic_stack: false
    .vgpr_count:     46
    .vgpr_spill_count: 0
    .wavefront_size: 32
    .workgroup_processor_mode: 1
  - .args:
      - .offset:         0
        .size:           4
        .value_kind:     by_value
      - .offset:         8
        .size:           8
        .value_kind:     by_value
      - .address_space:  global
        .offset:         16
        .size:           8
        .value_kind:     global_buffer
      - .address_space:  global
        .offset:         24
        .size:           8
        .value_kind:     global_buffer
      - .offset:         32
        .size:           8
        .value_kind:     by_value
      - .offset:         40
        .size:           8
        .value_kind:     by_value
      - .address_space:  global
        .offset:         48
        .size:           8
        .value_kind:     global_buffer
      - .offset:         56
        .size:           8
        .value_kind:     by_value
      - .offset:         64
        .size:           8
        .value_kind:     by_value
      - .address_space:  global
        .offset:         72
        .size:           8
        .value_kind:     global_buffer
      - .address_space:  global
        .offset:         80
        .size:           8
        .value_kind:     global_buffer
      - .offset:         88
        .size:           8
        .value_kind:     by_value
      - .offset:         96
        .size:           8
        .value_kind:     by_value
      - .offset:         104
        .size:           4
        .value_kind:     by_value
    .group_segment_fixed_size: 4096
    .kernarg_segment_align: 8
    .kernarg_segment_size: 108
    .language:       OpenCL C
    .language_version:
      - 2
      - 0
    .max_flat_workgroup_size: 256
    .name:           _ZL29rocblas_internal_gemmt_kernelIlLi16ELi32ELi8ELc67ELc78ELc85ELb0ELb0EdPKdPKS1_PKPdEviT_T9_T10_S7_lS9_S7_lS8_T11_S7_li
    .private_segment_fixed_size: 0
    .sgpr_count:     46
    .sgpr_spill_count: 0
    .symbol:         _ZL29rocblas_internal_gemmt_kernelIlLi16ELi32ELi8ELc67ELc78ELc85ELb0ELb0EdPKdPKS1_PKPdEviT_T9_T10_S7_lS9_S7_lS8_T11_S7_li.kd
    .uniform_work_group_size: 1
    .uses_dynamic_stack: false
    .vgpr_count:     46
    .vgpr_spill_count: 0
    .wavefront_size: 32
    .workgroup_processor_mode: 1
  - .args:
      - .offset:         0
        .size:           4
        .value_kind:     by_value
      - .offset:         8
        .size:           8
        .value_kind:     by_value
      - .address_space:  global
        .offset:         16
        .size:           8
        .value_kind:     global_buffer
      - .address_space:  global
        .offset:         24
        .size:           8
        .value_kind:     global_buffer
      - .offset:         32
        .size:           8
        .value_kind:     by_value
      - .offset:         40
        .size:           8
        .value_kind:     by_value
      - .address_space:  global
        .offset:         48
        .size:           8
        .value_kind:     global_buffer
      - .offset:         56
        .size:           8
        .value_kind:     by_value
      - .offset:         64
        .size:           8
        .value_kind:     by_value
      - .address_space:  global
        .offset:         72
        .size:           8
        .value_kind:     global_buffer
      - .address_space:  global
        .offset:         80
        .size:           8
        .value_kind:     global_buffer
      - .offset:         88
        .size:           8
        .value_kind:     by_value
      - .offset:         96
        .size:           8
        .value_kind:     by_value
      - .offset:         104
        .size:           4
        .value_kind:     by_value
    .group_segment_fixed_size: 4096
    .kernarg_segment_align: 8
    .kernarg_segment_size: 108
    .language:       OpenCL C
    .language_version:
      - 2
      - 0
    .max_flat_workgroup_size: 256
    .name:           _ZL29rocblas_internal_gemmt_kernelIlLi16ELi32ELi8ELc67ELc84ELc85ELb0ELb0EdPKdPKS1_PKPdEviT_T9_T10_S7_lS9_S7_lS8_T11_S7_li
    .private_segment_fixed_size: 0
    .sgpr_count:     46
    .sgpr_spill_count: 0
    .symbol:         _ZL29rocblas_internal_gemmt_kernelIlLi16ELi32ELi8ELc67ELc84ELc85ELb0ELb0EdPKdPKS1_PKPdEviT_T9_T10_S7_lS9_S7_lS8_T11_S7_li.kd
    .uniform_work_group_size: 1
    .uses_dynamic_stack: false
    .vgpr_count:     46
    .vgpr_spill_count: 0
    .wavefront_size: 32
    .workgroup_processor_mode: 1
  - .args:
      - .offset:         0
        .size:           4
        .value_kind:     by_value
      - .offset:         8
        .size:           8
        .value_kind:     by_value
      - .address_space:  global
        .offset:         16
        .size:           8
        .value_kind:     global_buffer
      - .address_space:  global
        .offset:         24
        .size:           8
        .value_kind:     global_buffer
      - .offset:         32
        .size:           8
        .value_kind:     by_value
      - .offset:         40
        .size:           8
        .value_kind:     by_value
      - .address_space:  global
        .offset:         48
        .size:           8
        .value_kind:     global_buffer
      - .offset:         56
        .size:           8
        .value_kind:     by_value
      - .offset:         64
        .size:           8
        .value_kind:     by_value
      - .address_space:  global
        .offset:         72
        .size:           8
        .value_kind:     global_buffer
      - .address_space:  global
        .offset:         80
        .size:           8
        .value_kind:     global_buffer
      - .offset:         88
        .size:           8
        .value_kind:     by_value
      - .offset:         96
        .size:           8
        .value_kind:     by_value
      - .offset:         104
        .size:           4
        .value_kind:     by_value
    .group_segment_fixed_size: 4096
    .kernarg_segment_align: 8
    .kernarg_segment_size: 108
    .language:       OpenCL C
    .language_version:
      - 2
      - 0
    .max_flat_workgroup_size: 256
    .name:           _ZL29rocblas_internal_gemmt_kernelIlLi16ELi32ELi8ELc67ELc67ELc85ELb0ELb0EdPKdPKS1_PKPdEviT_T9_T10_S7_lS9_S7_lS8_T11_S7_li
    .private_segment_fixed_size: 0
    .sgpr_count:     46
    .sgpr_spill_count: 0
    .symbol:         _ZL29rocblas_internal_gemmt_kernelIlLi16ELi32ELi8ELc67ELc67ELc85ELb0ELb0EdPKdPKS1_PKPdEviT_T9_T10_S7_lS9_S7_lS8_T11_S7_li.kd
    .uniform_work_group_size: 1
    .uses_dynamic_stack: false
    .vgpr_count:     46
    .vgpr_spill_count: 0
    .wavefront_size: 32
    .workgroup_processor_mode: 1
  - .args:
      - .offset:         0
        .size:           4
        .value_kind:     by_value
      - .offset:         8
        .size:           8
        .value_kind:     by_value
      - .address_space:  global
        .offset:         16
        .size:           8
        .value_kind:     global_buffer
      - .address_space:  global
        .offset:         24
        .size:           8
        .value_kind:     global_buffer
      - .offset:         32
        .size:           8
        .value_kind:     by_value
      - .offset:         40
        .size:           8
        .value_kind:     by_value
      - .address_space:  global
        .offset:         48
        .size:           8
        .value_kind:     global_buffer
      - .offset:         56
        .size:           8
        .value_kind:     by_value
      - .offset:         64
        .size:           8
        .value_kind:     by_value
      - .address_space:  global
        .offset:         72
        .size:           8
        .value_kind:     global_buffer
      - .address_space:  global
        .offset:         80
        .size:           8
        .value_kind:     global_buffer
      - .offset:         88
        .size:           8
        .value_kind:     by_value
      - .offset:         96
        .size:           8
        .value_kind:     by_value
      - .offset:         104
        .size:           4
        .value_kind:     by_value
    .group_segment_fixed_size: 4096
    .kernarg_segment_align: 8
    .kernarg_segment_size: 108
    .language:       OpenCL C
    .language_version:
      - 2
      - 0
    .max_flat_workgroup_size: 256
    .name:           _ZL29rocblas_internal_gemmt_kernelIlLi16ELi32ELi8ELc78ELc78ELc76ELb0ELb0EdPKdPKS1_PKPdEviT_T9_T10_S7_lS9_S7_lS8_T11_S7_li
    .private_segment_fixed_size: 0
    .sgpr_count:     46
    .sgpr_spill_count: 0
    .symbol:         _ZL29rocblas_internal_gemmt_kernelIlLi16ELi32ELi8ELc78ELc78ELc76ELb0ELb0EdPKdPKS1_PKPdEviT_T9_T10_S7_lS9_S7_lS8_T11_S7_li.kd
    .uniform_work_group_size: 1
    .uses_dynamic_stack: false
    .vgpr_count:     46
    .vgpr_spill_count: 0
    .wavefront_size: 32
    .workgroup_processor_mode: 1
  - .args:
      - .offset:         0
        .size:           4
        .value_kind:     by_value
      - .offset:         8
        .size:           8
        .value_kind:     by_value
      - .address_space:  global
        .offset:         16
        .size:           8
        .value_kind:     global_buffer
      - .address_space:  global
        .offset:         24
        .size:           8
        .value_kind:     global_buffer
      - .offset:         32
        .size:           8
        .value_kind:     by_value
      - .offset:         40
        .size:           8
        .value_kind:     by_value
      - .address_space:  global
        .offset:         48
        .size:           8
        .value_kind:     global_buffer
      - .offset:         56
        .size:           8
        .value_kind:     by_value
      - .offset:         64
        .size:           8
        .value_kind:     by_value
      - .address_space:  global
        .offset:         72
        .size:           8
        .value_kind:     global_buffer
      - .address_space:  global
        .offset:         80
        .size:           8
        .value_kind:     global_buffer
      - .offset:         88
        .size:           8
        .value_kind:     by_value
      - .offset:         96
        .size:           8
        .value_kind:     by_value
      - .offset:         104
        .size:           4
        .value_kind:     by_value
    .group_segment_fixed_size: 4096
    .kernarg_segment_align: 8
    .kernarg_segment_size: 108
    .language:       OpenCL C
    .language_version:
      - 2
      - 0
    .max_flat_workgroup_size: 256
    .name:           _ZL29rocblas_internal_gemmt_kernelIlLi16ELi32ELi8ELc78ELc84ELc76ELb0ELb0EdPKdPKS1_PKPdEviT_T9_T10_S7_lS9_S7_lS8_T11_S7_li
    .private_segment_fixed_size: 0
    .sgpr_count:     46
    .sgpr_spill_count: 0
    .symbol:         _ZL29rocblas_internal_gemmt_kernelIlLi16ELi32ELi8ELc78ELc84ELc76ELb0ELb0EdPKdPKS1_PKPdEviT_T9_T10_S7_lS9_S7_lS8_T11_S7_li.kd
    .uniform_work_group_size: 1
    .uses_dynamic_stack: false
    .vgpr_count:     46
    .vgpr_spill_count: 0
    .wavefront_size: 32
    .workgroup_processor_mode: 1
  - .args:
      - .offset:         0
        .size:           4
        .value_kind:     by_value
      - .offset:         8
        .size:           8
        .value_kind:     by_value
      - .address_space:  global
        .offset:         16
        .size:           8
        .value_kind:     global_buffer
      - .address_space:  global
        .offset:         24
        .size:           8
        .value_kind:     global_buffer
      - .offset:         32
        .size:           8
        .value_kind:     by_value
      - .offset:         40
        .size:           8
        .value_kind:     by_value
      - .address_space:  global
        .offset:         48
        .size:           8
        .value_kind:     global_buffer
      - .offset:         56
        .size:           8
        .value_kind:     by_value
      - .offset:         64
        .size:           8
        .value_kind:     by_value
      - .address_space:  global
        .offset:         72
        .size:           8
        .value_kind:     global_buffer
      - .address_space:  global
        .offset:         80
        .size:           8
        .value_kind:     global_buffer
      - .offset:         88
        .size:           8
        .value_kind:     by_value
      - .offset:         96
        .size:           8
        .value_kind:     by_value
      - .offset:         104
        .size:           4
        .value_kind:     by_value
    .group_segment_fixed_size: 4096
    .kernarg_segment_align: 8
    .kernarg_segment_size: 108
    .language:       OpenCL C
    .language_version:
      - 2
      - 0
    .max_flat_workgroup_size: 256
    .name:           _ZL29rocblas_internal_gemmt_kernelIlLi16ELi32ELi8ELc78ELc67ELc76ELb0ELb0EdPKdPKS1_PKPdEviT_T9_T10_S7_lS9_S7_lS8_T11_S7_li
    .private_segment_fixed_size: 0
    .sgpr_count:     46
    .sgpr_spill_count: 0
    .symbol:         _ZL29rocblas_internal_gemmt_kernelIlLi16ELi32ELi8ELc78ELc67ELc76ELb0ELb0EdPKdPKS1_PKPdEviT_T9_T10_S7_lS9_S7_lS8_T11_S7_li.kd
    .uniform_work_group_size: 1
    .uses_dynamic_stack: false
    .vgpr_count:     46
    .vgpr_spill_count: 0
    .wavefront_size: 32
    .workgroup_processor_mode: 1
  - .args:
      - .offset:         0
        .size:           4
        .value_kind:     by_value
      - .offset:         8
        .size:           8
        .value_kind:     by_value
      - .address_space:  global
        .offset:         16
        .size:           8
        .value_kind:     global_buffer
      - .address_space:  global
        .offset:         24
        .size:           8
        .value_kind:     global_buffer
      - .offset:         32
        .size:           8
        .value_kind:     by_value
      - .offset:         40
        .size:           8
        .value_kind:     by_value
      - .address_space:  global
        .offset:         48
        .size:           8
        .value_kind:     global_buffer
      - .offset:         56
        .size:           8
        .value_kind:     by_value
      - .offset:         64
        .size:           8
        .value_kind:     by_value
      - .address_space:  global
        .offset:         72
        .size:           8
        .value_kind:     global_buffer
      - .address_space:  global
        .offset:         80
        .size:           8
        .value_kind:     global_buffer
      - .offset:         88
        .size:           8
        .value_kind:     by_value
      - .offset:         96
        .size:           8
        .value_kind:     by_value
      - .offset:         104
        .size:           4
        .value_kind:     by_value
    .group_segment_fixed_size: 4096
    .kernarg_segment_align: 8
    .kernarg_segment_size: 108
    .language:       OpenCL C
    .language_version:
      - 2
      - 0
    .max_flat_workgroup_size: 256
    .name:           _ZL29rocblas_internal_gemmt_kernelIlLi16ELi32ELi8ELc84ELc78ELc76ELb0ELb0EdPKdPKS1_PKPdEviT_T9_T10_S7_lS9_S7_lS8_T11_S7_li
    .private_segment_fixed_size: 0
    .sgpr_count:     46
    .sgpr_spill_count: 0
    .symbol:         _ZL29rocblas_internal_gemmt_kernelIlLi16ELi32ELi8ELc84ELc78ELc76ELb0ELb0EdPKdPKS1_PKPdEviT_T9_T10_S7_lS9_S7_lS8_T11_S7_li.kd
    .uniform_work_group_size: 1
    .uses_dynamic_stack: false
    .vgpr_count:     46
    .vgpr_spill_count: 0
    .wavefront_size: 32
    .workgroup_processor_mode: 1
  - .args:
      - .offset:         0
        .size:           4
        .value_kind:     by_value
      - .offset:         8
        .size:           8
        .value_kind:     by_value
      - .address_space:  global
        .offset:         16
        .size:           8
        .value_kind:     global_buffer
      - .address_space:  global
        .offset:         24
        .size:           8
        .value_kind:     global_buffer
      - .offset:         32
        .size:           8
        .value_kind:     by_value
      - .offset:         40
        .size:           8
        .value_kind:     by_value
      - .address_space:  global
        .offset:         48
        .size:           8
        .value_kind:     global_buffer
      - .offset:         56
        .size:           8
        .value_kind:     by_value
      - .offset:         64
        .size:           8
        .value_kind:     by_value
      - .address_space:  global
        .offset:         72
        .size:           8
        .value_kind:     global_buffer
      - .address_space:  global
        .offset:         80
        .size:           8
        .value_kind:     global_buffer
      - .offset:         88
        .size:           8
        .value_kind:     by_value
      - .offset:         96
        .size:           8
        .value_kind:     by_value
      - .offset:         104
        .size:           4
        .value_kind:     by_value
    .group_segment_fixed_size: 4096
    .kernarg_segment_align: 8
    .kernarg_segment_size: 108
    .language:       OpenCL C
    .language_version:
      - 2
      - 0
    .max_flat_workgroup_size: 256
    .name:           _ZL29rocblas_internal_gemmt_kernelIlLi16ELi32ELi8ELc84ELc84ELc76ELb0ELb0EdPKdPKS1_PKPdEviT_T9_T10_S7_lS9_S7_lS8_T11_S7_li
    .private_segment_fixed_size: 0
    .sgpr_count:     46
    .sgpr_spill_count: 0
    .symbol:         _ZL29rocblas_internal_gemmt_kernelIlLi16ELi32ELi8ELc84ELc84ELc76ELb0ELb0EdPKdPKS1_PKPdEviT_T9_T10_S7_lS9_S7_lS8_T11_S7_li.kd
    .uniform_work_group_size: 1
    .uses_dynamic_stack: false
    .vgpr_count:     46
    .vgpr_spill_count: 0
    .wavefront_size: 32
    .workgroup_processor_mode: 1
  - .args:
      - .offset:         0
        .size:           4
        .value_kind:     by_value
      - .offset:         8
        .size:           8
        .value_kind:     by_value
      - .address_space:  global
        .offset:         16
        .size:           8
        .value_kind:     global_buffer
      - .address_space:  global
        .offset:         24
        .size:           8
        .value_kind:     global_buffer
      - .offset:         32
        .size:           8
        .value_kind:     by_value
      - .offset:         40
        .size:           8
        .value_kind:     by_value
      - .address_space:  global
        .offset:         48
        .size:           8
        .value_kind:     global_buffer
      - .offset:         56
        .size:           8
        .value_kind:     by_value
      - .offset:         64
        .size:           8
        .value_kind:     by_value
      - .address_space:  global
        .offset:         72
        .size:           8
        .value_kind:     global_buffer
      - .address_space:  global
        .offset:         80
        .size:           8
        .value_kind:     global_buffer
      - .offset:         88
        .size:           8
        .value_kind:     by_value
      - .offset:         96
        .size:           8
        .value_kind:     by_value
      - .offset:         104
        .size:           4
        .value_kind:     by_value
    .group_segment_fixed_size: 4096
    .kernarg_segment_align: 8
    .kernarg_segment_size: 108
    .language:       OpenCL C
    .language_version:
      - 2
      - 0
    .max_flat_workgroup_size: 256
    .name:           _ZL29rocblas_internal_gemmt_kernelIlLi16ELi32ELi8ELc84ELc67ELc76ELb0ELb0EdPKdPKS1_PKPdEviT_T9_T10_S7_lS9_S7_lS8_T11_S7_li
    .private_segment_fixed_size: 0
    .sgpr_count:     46
    .sgpr_spill_count: 0
    .symbol:         _ZL29rocblas_internal_gemmt_kernelIlLi16ELi32ELi8ELc84ELc67ELc76ELb0ELb0EdPKdPKS1_PKPdEviT_T9_T10_S7_lS9_S7_lS8_T11_S7_li.kd
    .uniform_work_group_size: 1
    .uses_dynamic_stack: false
    .vgpr_count:     46
    .vgpr_spill_count: 0
    .wavefront_size: 32
    .workgroup_processor_mode: 1
  - .args:
      - .offset:         0
        .size:           4
        .value_kind:     by_value
      - .offset:         8
        .size:           8
        .value_kind:     by_value
      - .address_space:  global
        .offset:         16
        .size:           8
        .value_kind:     global_buffer
      - .address_space:  global
        .offset:         24
        .size:           8
        .value_kind:     global_buffer
      - .offset:         32
        .size:           8
        .value_kind:     by_value
      - .offset:         40
        .size:           8
        .value_kind:     by_value
      - .address_space:  global
        .offset:         48
        .size:           8
        .value_kind:     global_buffer
      - .offset:         56
        .size:           8
        .value_kind:     by_value
      - .offset:         64
        .size:           8
        .value_kind:     by_value
      - .address_space:  global
        .offset:         72
        .size:           8
        .value_kind:     global_buffer
      - .address_space:  global
        .offset:         80
        .size:           8
        .value_kind:     global_buffer
      - .offset:         88
        .size:           8
        .value_kind:     by_value
      - .offset:         96
        .size:           8
        .value_kind:     by_value
      - .offset:         104
        .size:           4
        .value_kind:     by_value
    .group_segment_fixed_size: 4096
    .kernarg_segment_align: 8
    .kernarg_segment_size: 108
    .language:       OpenCL C
    .language_version:
      - 2
      - 0
    .max_flat_workgroup_size: 256
    .name:           _ZL29rocblas_internal_gemmt_kernelIlLi16ELi32ELi8ELc67ELc78ELc76ELb0ELb0EdPKdPKS1_PKPdEviT_T9_T10_S7_lS9_S7_lS8_T11_S7_li
    .private_segment_fixed_size: 0
    .sgpr_count:     46
    .sgpr_spill_count: 0
    .symbol:         _ZL29rocblas_internal_gemmt_kernelIlLi16ELi32ELi8ELc67ELc78ELc76ELb0ELb0EdPKdPKS1_PKPdEviT_T9_T10_S7_lS9_S7_lS8_T11_S7_li.kd
    .uniform_work_group_size: 1
    .uses_dynamic_stack: false
    .vgpr_count:     46
    .vgpr_spill_count: 0
    .wavefront_size: 32
    .workgroup_processor_mode: 1
  - .args:
      - .offset:         0
        .size:           4
        .value_kind:     by_value
      - .offset:         8
        .size:           8
        .value_kind:     by_value
      - .address_space:  global
        .offset:         16
        .size:           8
        .value_kind:     global_buffer
      - .address_space:  global
        .offset:         24
        .size:           8
        .value_kind:     global_buffer
      - .offset:         32
        .size:           8
        .value_kind:     by_value
      - .offset:         40
        .size:           8
        .value_kind:     by_value
      - .address_space:  global
        .offset:         48
        .size:           8
        .value_kind:     global_buffer
      - .offset:         56
        .size:           8
        .value_kind:     by_value
      - .offset:         64
        .size:           8
        .value_kind:     by_value
      - .address_space:  global
        .offset:         72
        .size:           8
        .value_kind:     global_buffer
      - .address_space:  global
        .offset:         80
        .size:           8
        .value_kind:     global_buffer
      - .offset:         88
        .size:           8
        .value_kind:     by_value
      - .offset:         96
        .size:           8
        .value_kind:     by_value
      - .offset:         104
        .size:           4
        .value_kind:     by_value
    .group_segment_fixed_size: 4096
    .kernarg_segment_align: 8
    .kernarg_segment_size: 108
    .language:       OpenCL C
    .language_version:
      - 2
      - 0
    .max_flat_workgroup_size: 256
    .name:           _ZL29rocblas_internal_gemmt_kernelIlLi16ELi32ELi8ELc67ELc84ELc76ELb0ELb0EdPKdPKS1_PKPdEviT_T9_T10_S7_lS9_S7_lS8_T11_S7_li
    .private_segment_fixed_size: 0
    .sgpr_count:     46
    .sgpr_spill_count: 0
    .symbol:         _ZL29rocblas_internal_gemmt_kernelIlLi16ELi32ELi8ELc67ELc84ELc76ELb0ELb0EdPKdPKS1_PKPdEviT_T9_T10_S7_lS9_S7_lS8_T11_S7_li.kd
    .uniform_work_group_size: 1
    .uses_dynamic_stack: false
    .vgpr_count:     46
    .vgpr_spill_count: 0
    .wavefront_size: 32
    .workgroup_processor_mode: 1
  - .args:
      - .offset:         0
        .size:           4
        .value_kind:     by_value
      - .offset:         8
        .size:           8
        .value_kind:     by_value
      - .address_space:  global
        .offset:         16
        .size:           8
        .value_kind:     global_buffer
      - .address_space:  global
        .offset:         24
        .size:           8
        .value_kind:     global_buffer
      - .offset:         32
        .size:           8
        .value_kind:     by_value
      - .offset:         40
        .size:           8
        .value_kind:     by_value
      - .address_space:  global
        .offset:         48
        .size:           8
        .value_kind:     global_buffer
      - .offset:         56
        .size:           8
        .value_kind:     by_value
      - .offset:         64
        .size:           8
        .value_kind:     by_value
      - .address_space:  global
        .offset:         72
        .size:           8
        .value_kind:     global_buffer
      - .address_space:  global
        .offset:         80
        .size:           8
        .value_kind:     global_buffer
      - .offset:         88
        .size:           8
        .value_kind:     by_value
      - .offset:         96
        .size:           8
        .value_kind:     by_value
      - .offset:         104
        .size:           4
        .value_kind:     by_value
    .group_segment_fixed_size: 4096
    .kernarg_segment_align: 8
    .kernarg_segment_size: 108
    .language:       OpenCL C
    .language_version:
      - 2
      - 0
    .max_flat_workgroup_size: 256
    .name:           _ZL29rocblas_internal_gemmt_kernelIlLi16ELi32ELi8ELc67ELc67ELc76ELb0ELb0EdPKdPKS1_PKPdEviT_T9_T10_S7_lS9_S7_lS8_T11_S7_li
    .private_segment_fixed_size: 0
    .sgpr_count:     46
    .sgpr_spill_count: 0
    .symbol:         _ZL29rocblas_internal_gemmt_kernelIlLi16ELi32ELi8ELc67ELc67ELc76ELb0ELb0EdPKdPKS1_PKPdEviT_T9_T10_S7_lS9_S7_lS8_T11_S7_li.kd
    .uniform_work_group_size: 1
    .uses_dynamic_stack: false
    .vgpr_count:     46
    .vgpr_spill_count: 0
    .wavefront_size: 32
    .workgroup_processor_mode: 1
  - .args:
      - .offset:         0
        .size:           4
        .value_kind:     by_value
      - .offset:         8
        .size:           8
        .value_kind:     by_value
      - .offset:         16
        .size:           8
        .value_kind:     by_value
      - .address_space:  global
        .offset:         24
        .size:           8
        .value_kind:     global_buffer
      - .offset:         32
        .size:           8
        .value_kind:     by_value
      - .offset:         40
        .size:           8
        .value_kind:     by_value
      - .address_space:  global
        .offset:         48
        .size:           8
        .value_kind:     global_buffer
      - .offset:         56
        .size:           8
        .value_kind:     by_value
      - .offset:         64
        .size:           8
        .value_kind:     by_value
      - .offset:         72
        .size:           8
        .value_kind:     by_value
      - .address_space:  global
        .offset:         80
        .size:           8
        .value_kind:     global_buffer
      - .offset:         88
        .size:           8
        .value_kind:     by_value
      - .offset:         96
        .size:           8
        .value_kind:     by_value
      - .offset:         104
        .size:           4
        .value_kind:     by_value
    .group_segment_fixed_size: 4096
    .kernarg_segment_align: 8
    .kernarg_segment_size: 108
    .language:       OpenCL C
    .language_version:
      - 2
      - 0
    .max_flat_workgroup_size: 256
    .name:           _ZL29rocblas_internal_gemmt_kernelIlLi16ELi32ELi8ELc78ELc78ELc85ELb0ELb0EddPKPKdPKPdEviT_T9_T10_S7_lS9_S7_lS8_T11_S7_li
    .private_segment_fixed_size: 0
    .sgpr_count:     46
    .sgpr_spill_count: 0
    .symbol:         _ZL29rocblas_internal_gemmt_kernelIlLi16ELi32ELi8ELc78ELc78ELc85ELb0ELb0EddPKPKdPKPdEviT_T9_T10_S7_lS9_S7_lS8_T11_S7_li.kd
    .uniform_work_group_size: 1
    .uses_dynamic_stack: false
    .vgpr_count:     46
    .vgpr_spill_count: 0
    .wavefront_size: 32
    .workgroup_processor_mode: 1
  - .args:
      - .offset:         0
        .size:           4
        .value_kind:     by_value
      - .offset:         8
        .size:           8
        .value_kind:     by_value
      - .offset:         16
        .size:           8
        .value_kind:     by_value
      - .address_space:  global
        .offset:         24
        .size:           8
        .value_kind:     global_buffer
      - .offset:         32
        .size:           8
        .value_kind:     by_value
      - .offset:         40
        .size:           8
        .value_kind:     by_value
      - .address_space:  global
        .offset:         48
        .size:           8
        .value_kind:     global_buffer
      - .offset:         56
        .size:           8
        .value_kind:     by_value
      - .offset:         64
        .size:           8
        .value_kind:     by_value
      - .offset:         72
        .size:           8
        .value_kind:     by_value
      - .address_space:  global
        .offset:         80
        .size:           8
        .value_kind:     global_buffer
      - .offset:         88
        .size:           8
        .value_kind:     by_value
      - .offset:         96
        .size:           8
        .value_kind:     by_value
      - .offset:         104
        .size:           4
        .value_kind:     by_value
    .group_segment_fixed_size: 4096
    .kernarg_segment_align: 8
    .kernarg_segment_size: 108
    .language:       OpenCL C
    .language_version:
      - 2
      - 0
    .max_flat_workgroup_size: 256
    .name:           _ZL29rocblas_internal_gemmt_kernelIlLi16ELi32ELi8ELc78ELc84ELc85ELb0ELb0EddPKPKdPKPdEviT_T9_T10_S7_lS9_S7_lS8_T11_S7_li
    .private_segment_fixed_size: 0
    .sgpr_count:     46
    .sgpr_spill_count: 0
    .symbol:         _ZL29rocblas_internal_gemmt_kernelIlLi16ELi32ELi8ELc78ELc84ELc85ELb0ELb0EddPKPKdPKPdEviT_T9_T10_S7_lS9_S7_lS8_T11_S7_li.kd
    .uniform_work_group_size: 1
    .uses_dynamic_stack: false
    .vgpr_count:     46
    .vgpr_spill_count: 0
    .wavefront_size: 32
    .workgroup_processor_mode: 1
  - .args:
      - .offset:         0
        .size:           4
        .value_kind:     by_value
      - .offset:         8
        .size:           8
        .value_kind:     by_value
      - .offset:         16
        .size:           8
        .value_kind:     by_value
      - .address_space:  global
        .offset:         24
        .size:           8
        .value_kind:     global_buffer
      - .offset:         32
        .size:           8
        .value_kind:     by_value
      - .offset:         40
        .size:           8
        .value_kind:     by_value
      - .address_space:  global
        .offset:         48
        .size:           8
        .value_kind:     global_buffer
      - .offset:         56
        .size:           8
        .value_kind:     by_value
      - .offset:         64
        .size:           8
        .value_kind:     by_value
      - .offset:         72
        .size:           8
        .value_kind:     by_value
      - .address_space:  global
        .offset:         80
        .size:           8
        .value_kind:     global_buffer
      - .offset:         88
        .size:           8
        .value_kind:     by_value
      - .offset:         96
        .size:           8
        .value_kind:     by_value
      - .offset:         104
        .size:           4
        .value_kind:     by_value
    .group_segment_fixed_size: 4096
    .kernarg_segment_align: 8
    .kernarg_segment_size: 108
    .language:       OpenCL C
    .language_version:
      - 2
      - 0
    .max_flat_workgroup_size: 256
    .name:           _ZL29rocblas_internal_gemmt_kernelIlLi16ELi32ELi8ELc78ELc67ELc85ELb0ELb0EddPKPKdPKPdEviT_T9_T10_S7_lS9_S7_lS8_T11_S7_li
    .private_segment_fixed_size: 0
    .sgpr_count:     46
    .sgpr_spill_count: 0
    .symbol:         _ZL29rocblas_internal_gemmt_kernelIlLi16ELi32ELi8ELc78ELc67ELc85ELb0ELb0EddPKPKdPKPdEviT_T9_T10_S7_lS9_S7_lS8_T11_S7_li.kd
    .uniform_work_group_size: 1
    .uses_dynamic_stack: false
    .vgpr_count:     46
    .vgpr_spill_count: 0
    .wavefront_size: 32
    .workgroup_processor_mode: 1
  - .args:
      - .offset:         0
        .size:           4
        .value_kind:     by_value
      - .offset:         8
        .size:           8
        .value_kind:     by_value
      - .offset:         16
        .size:           8
        .value_kind:     by_value
      - .address_space:  global
        .offset:         24
        .size:           8
        .value_kind:     global_buffer
      - .offset:         32
        .size:           8
        .value_kind:     by_value
      - .offset:         40
        .size:           8
        .value_kind:     by_value
      - .address_space:  global
        .offset:         48
        .size:           8
        .value_kind:     global_buffer
      - .offset:         56
        .size:           8
        .value_kind:     by_value
      - .offset:         64
        .size:           8
        .value_kind:     by_value
      - .offset:         72
        .size:           8
        .value_kind:     by_value
      - .address_space:  global
        .offset:         80
        .size:           8
        .value_kind:     global_buffer
      - .offset:         88
        .size:           8
        .value_kind:     by_value
      - .offset:         96
        .size:           8
        .value_kind:     by_value
      - .offset:         104
        .size:           4
        .value_kind:     by_value
    .group_segment_fixed_size: 4096
    .kernarg_segment_align: 8
    .kernarg_segment_size: 108
    .language:       OpenCL C
    .language_version:
      - 2
      - 0
    .max_flat_workgroup_size: 256
    .name:           _ZL29rocblas_internal_gemmt_kernelIlLi16ELi32ELi8ELc84ELc78ELc85ELb0ELb0EddPKPKdPKPdEviT_T9_T10_S7_lS9_S7_lS8_T11_S7_li
    .private_segment_fixed_size: 0
    .sgpr_count:     46
    .sgpr_spill_count: 0
    .symbol:         _ZL29rocblas_internal_gemmt_kernelIlLi16ELi32ELi8ELc84ELc78ELc85ELb0ELb0EddPKPKdPKPdEviT_T9_T10_S7_lS9_S7_lS8_T11_S7_li.kd
    .uniform_work_group_size: 1
    .uses_dynamic_stack: false
    .vgpr_count:     46
    .vgpr_spill_count: 0
    .wavefront_size: 32
    .workgroup_processor_mode: 1
  - .args:
      - .offset:         0
        .size:           4
        .value_kind:     by_value
      - .offset:         8
        .size:           8
        .value_kind:     by_value
      - .offset:         16
        .size:           8
        .value_kind:     by_value
      - .address_space:  global
        .offset:         24
        .size:           8
        .value_kind:     global_buffer
      - .offset:         32
        .size:           8
        .value_kind:     by_value
      - .offset:         40
        .size:           8
        .value_kind:     by_value
      - .address_space:  global
        .offset:         48
        .size:           8
        .value_kind:     global_buffer
      - .offset:         56
        .size:           8
        .value_kind:     by_value
      - .offset:         64
        .size:           8
        .value_kind:     by_value
      - .offset:         72
        .size:           8
        .value_kind:     by_value
      - .address_space:  global
        .offset:         80
        .size:           8
        .value_kind:     global_buffer
      - .offset:         88
        .size:           8
        .value_kind:     by_value
      - .offset:         96
        .size:           8
        .value_kind:     by_value
      - .offset:         104
        .size:           4
        .value_kind:     by_value
    .group_segment_fixed_size: 4096
    .kernarg_segment_align: 8
    .kernarg_segment_size: 108
    .language:       OpenCL C
    .language_version:
      - 2
      - 0
    .max_flat_workgroup_size: 256
    .name:           _ZL29rocblas_internal_gemmt_kernelIlLi16ELi32ELi8ELc84ELc84ELc85ELb0ELb0EddPKPKdPKPdEviT_T9_T10_S7_lS9_S7_lS8_T11_S7_li
    .private_segment_fixed_size: 0
    .sgpr_count:     46
    .sgpr_spill_count: 0
    .symbol:         _ZL29rocblas_internal_gemmt_kernelIlLi16ELi32ELi8ELc84ELc84ELc85ELb0ELb0EddPKPKdPKPdEviT_T9_T10_S7_lS9_S7_lS8_T11_S7_li.kd
    .uniform_work_group_size: 1
    .uses_dynamic_stack: false
    .vgpr_count:     46
    .vgpr_spill_count: 0
    .wavefront_size: 32
    .workgroup_processor_mode: 1
  - .args:
      - .offset:         0
        .size:           4
        .value_kind:     by_value
      - .offset:         8
        .size:           8
        .value_kind:     by_value
      - .offset:         16
        .size:           8
        .value_kind:     by_value
      - .address_space:  global
        .offset:         24
        .size:           8
        .value_kind:     global_buffer
      - .offset:         32
        .size:           8
        .value_kind:     by_value
      - .offset:         40
        .size:           8
        .value_kind:     by_value
      - .address_space:  global
        .offset:         48
        .size:           8
        .value_kind:     global_buffer
      - .offset:         56
        .size:           8
        .value_kind:     by_value
      - .offset:         64
        .size:           8
        .value_kind:     by_value
      - .offset:         72
        .size:           8
        .value_kind:     by_value
      - .address_space:  global
        .offset:         80
        .size:           8
        .value_kind:     global_buffer
      - .offset:         88
        .size:           8
        .value_kind:     by_value
      - .offset:         96
        .size:           8
        .value_kind:     by_value
      - .offset:         104
        .size:           4
        .value_kind:     by_value
    .group_segment_fixed_size: 4096
    .kernarg_segment_align: 8
    .kernarg_segment_size: 108
    .language:       OpenCL C
    .language_version:
      - 2
      - 0
    .max_flat_workgroup_size: 256
    .name:           _ZL29rocblas_internal_gemmt_kernelIlLi16ELi32ELi8ELc84ELc67ELc85ELb0ELb0EddPKPKdPKPdEviT_T9_T10_S7_lS9_S7_lS8_T11_S7_li
    .private_segment_fixed_size: 0
    .sgpr_count:     46
    .sgpr_spill_count: 0
    .symbol:         _ZL29rocblas_internal_gemmt_kernelIlLi16ELi32ELi8ELc84ELc67ELc85ELb0ELb0EddPKPKdPKPdEviT_T9_T10_S7_lS9_S7_lS8_T11_S7_li.kd
    .uniform_work_group_size: 1
    .uses_dynamic_stack: false
    .vgpr_count:     46
    .vgpr_spill_count: 0
    .wavefront_size: 32
    .workgroup_processor_mode: 1
  - .args:
      - .offset:         0
        .size:           4
        .value_kind:     by_value
      - .offset:         8
        .size:           8
        .value_kind:     by_value
      - .offset:         16
        .size:           8
        .value_kind:     by_value
      - .address_space:  global
        .offset:         24
        .size:           8
        .value_kind:     global_buffer
      - .offset:         32
        .size:           8
        .value_kind:     by_value
      - .offset:         40
        .size:           8
        .value_kind:     by_value
      - .address_space:  global
        .offset:         48
        .size:           8
        .value_kind:     global_buffer
      - .offset:         56
        .size:           8
        .value_kind:     by_value
      - .offset:         64
        .size:           8
        .value_kind:     by_value
      - .offset:         72
        .size:           8
        .value_kind:     by_value
      - .address_space:  global
        .offset:         80
        .size:           8
        .value_kind:     global_buffer
      - .offset:         88
        .size:           8
        .value_kind:     by_value
      - .offset:         96
        .size:           8
        .value_kind:     by_value
      - .offset:         104
        .size:           4
        .value_kind:     by_value
    .group_segment_fixed_size: 4096
    .kernarg_segment_align: 8
    .kernarg_segment_size: 108
    .language:       OpenCL C
    .language_version:
      - 2
      - 0
    .max_flat_workgroup_size: 256
    .name:           _ZL29rocblas_internal_gemmt_kernelIlLi16ELi32ELi8ELc67ELc78ELc85ELb0ELb0EddPKPKdPKPdEviT_T9_T10_S7_lS9_S7_lS8_T11_S7_li
    .private_segment_fixed_size: 0
    .sgpr_count:     46
    .sgpr_spill_count: 0
    .symbol:         _ZL29rocblas_internal_gemmt_kernelIlLi16ELi32ELi8ELc67ELc78ELc85ELb0ELb0EddPKPKdPKPdEviT_T9_T10_S7_lS9_S7_lS8_T11_S7_li.kd
    .uniform_work_group_size: 1
    .uses_dynamic_stack: false
    .vgpr_count:     46
    .vgpr_spill_count: 0
    .wavefront_size: 32
    .workgroup_processor_mode: 1
  - .args:
      - .offset:         0
        .size:           4
        .value_kind:     by_value
      - .offset:         8
        .size:           8
        .value_kind:     by_value
      - .offset:         16
        .size:           8
        .value_kind:     by_value
      - .address_space:  global
        .offset:         24
        .size:           8
        .value_kind:     global_buffer
      - .offset:         32
        .size:           8
        .value_kind:     by_value
      - .offset:         40
        .size:           8
        .value_kind:     by_value
      - .address_space:  global
        .offset:         48
        .size:           8
        .value_kind:     global_buffer
      - .offset:         56
        .size:           8
        .value_kind:     by_value
      - .offset:         64
        .size:           8
        .value_kind:     by_value
      - .offset:         72
        .size:           8
        .value_kind:     by_value
      - .address_space:  global
        .offset:         80
        .size:           8
        .value_kind:     global_buffer
      - .offset:         88
        .size:           8
        .value_kind:     by_value
      - .offset:         96
        .size:           8
        .value_kind:     by_value
      - .offset:         104
        .size:           4
        .value_kind:     by_value
    .group_segment_fixed_size: 4096
    .kernarg_segment_align: 8
    .kernarg_segment_size: 108
    .language:       OpenCL C
    .language_version:
      - 2
      - 0
    .max_flat_workgroup_size: 256
    .name:           _ZL29rocblas_internal_gemmt_kernelIlLi16ELi32ELi8ELc67ELc84ELc85ELb0ELb0EddPKPKdPKPdEviT_T9_T10_S7_lS9_S7_lS8_T11_S7_li
    .private_segment_fixed_size: 0
    .sgpr_count:     46
    .sgpr_spill_count: 0
    .symbol:         _ZL29rocblas_internal_gemmt_kernelIlLi16ELi32ELi8ELc67ELc84ELc85ELb0ELb0EddPKPKdPKPdEviT_T9_T10_S7_lS9_S7_lS8_T11_S7_li.kd
    .uniform_work_group_size: 1
    .uses_dynamic_stack: false
    .vgpr_count:     46
    .vgpr_spill_count: 0
    .wavefront_size: 32
    .workgroup_processor_mode: 1
  - .args:
      - .offset:         0
        .size:           4
        .value_kind:     by_value
      - .offset:         8
        .size:           8
        .value_kind:     by_value
      - .offset:         16
        .size:           8
        .value_kind:     by_value
      - .address_space:  global
        .offset:         24
        .size:           8
        .value_kind:     global_buffer
      - .offset:         32
        .size:           8
        .value_kind:     by_value
      - .offset:         40
        .size:           8
        .value_kind:     by_value
      - .address_space:  global
        .offset:         48
        .size:           8
        .value_kind:     global_buffer
      - .offset:         56
        .size:           8
        .value_kind:     by_value
      - .offset:         64
        .size:           8
        .value_kind:     by_value
      - .offset:         72
        .size:           8
        .value_kind:     by_value
      - .address_space:  global
        .offset:         80
        .size:           8
        .value_kind:     global_buffer
      - .offset:         88
        .size:           8
        .value_kind:     by_value
      - .offset:         96
        .size:           8
        .value_kind:     by_value
      - .offset:         104
        .size:           4
        .value_kind:     by_value
    .group_segment_fixed_size: 4096
    .kernarg_segment_align: 8
    .kernarg_segment_size: 108
    .language:       OpenCL C
    .language_version:
      - 2
      - 0
    .max_flat_workgroup_size: 256
    .name:           _ZL29rocblas_internal_gemmt_kernelIlLi16ELi32ELi8ELc67ELc67ELc85ELb0ELb0EddPKPKdPKPdEviT_T9_T10_S7_lS9_S7_lS8_T11_S7_li
    .private_segment_fixed_size: 0
    .sgpr_count:     46
    .sgpr_spill_count: 0
    .symbol:         _ZL29rocblas_internal_gemmt_kernelIlLi16ELi32ELi8ELc67ELc67ELc85ELb0ELb0EddPKPKdPKPdEviT_T9_T10_S7_lS9_S7_lS8_T11_S7_li.kd
    .uniform_work_group_size: 1
    .uses_dynamic_stack: false
    .vgpr_count:     46
    .vgpr_spill_count: 0
    .wavefront_size: 32
    .workgroup_processor_mode: 1
  - .args:
      - .offset:         0
        .size:           4
        .value_kind:     by_value
      - .offset:         8
        .size:           8
        .value_kind:     by_value
      - .offset:         16
        .size:           8
        .value_kind:     by_value
      - .address_space:  global
        .offset:         24
        .size:           8
        .value_kind:     global_buffer
      - .offset:         32
        .size:           8
        .value_kind:     by_value
      - .offset:         40
        .size:           8
        .value_kind:     by_value
      - .address_space:  global
        .offset:         48
        .size:           8
        .value_kind:     global_buffer
      - .offset:         56
        .size:           8
        .value_kind:     by_value
      - .offset:         64
        .size:           8
        .value_kind:     by_value
      - .offset:         72
        .size:           8
        .value_kind:     by_value
      - .address_space:  global
        .offset:         80
        .size:           8
        .value_kind:     global_buffer
      - .offset:         88
        .size:           8
        .value_kind:     by_value
      - .offset:         96
        .size:           8
        .value_kind:     by_value
      - .offset:         104
        .size:           4
        .value_kind:     by_value
    .group_segment_fixed_size: 4096
    .kernarg_segment_align: 8
    .kernarg_segment_size: 108
    .language:       OpenCL C
    .language_version:
      - 2
      - 0
    .max_flat_workgroup_size: 256
    .name:           _ZL29rocblas_internal_gemmt_kernelIlLi16ELi32ELi8ELc78ELc78ELc76ELb0ELb0EddPKPKdPKPdEviT_T9_T10_S7_lS9_S7_lS8_T11_S7_li
    .private_segment_fixed_size: 0
    .sgpr_count:     46
    .sgpr_spill_count: 0
    .symbol:         _ZL29rocblas_internal_gemmt_kernelIlLi16ELi32ELi8ELc78ELc78ELc76ELb0ELb0EddPKPKdPKPdEviT_T9_T10_S7_lS9_S7_lS8_T11_S7_li.kd
    .uniform_work_group_size: 1
    .uses_dynamic_stack: false
    .vgpr_count:     46
    .vgpr_spill_count: 0
    .wavefront_size: 32
    .workgroup_processor_mode: 1
  - .args:
      - .offset:         0
        .size:           4
        .value_kind:     by_value
      - .offset:         8
        .size:           8
        .value_kind:     by_value
      - .offset:         16
        .size:           8
        .value_kind:     by_value
      - .address_space:  global
        .offset:         24
        .size:           8
        .value_kind:     global_buffer
      - .offset:         32
        .size:           8
        .value_kind:     by_value
      - .offset:         40
        .size:           8
        .value_kind:     by_value
      - .address_space:  global
        .offset:         48
        .size:           8
        .value_kind:     global_buffer
      - .offset:         56
        .size:           8
        .value_kind:     by_value
      - .offset:         64
        .size:           8
        .value_kind:     by_value
      - .offset:         72
        .size:           8
        .value_kind:     by_value
      - .address_space:  global
        .offset:         80
        .size:           8
        .value_kind:     global_buffer
      - .offset:         88
        .size:           8
        .value_kind:     by_value
      - .offset:         96
        .size:           8
        .value_kind:     by_value
      - .offset:         104
        .size:           4
        .value_kind:     by_value
    .group_segment_fixed_size: 4096
    .kernarg_segment_align: 8
    .kernarg_segment_size: 108
    .language:       OpenCL C
    .language_version:
      - 2
      - 0
    .max_flat_workgroup_size: 256
    .name:           _ZL29rocblas_internal_gemmt_kernelIlLi16ELi32ELi8ELc78ELc84ELc76ELb0ELb0EddPKPKdPKPdEviT_T9_T10_S7_lS9_S7_lS8_T11_S7_li
    .private_segment_fixed_size: 0
    .sgpr_count:     46
    .sgpr_spill_count: 0
    .symbol:         _ZL29rocblas_internal_gemmt_kernelIlLi16ELi32ELi8ELc78ELc84ELc76ELb0ELb0EddPKPKdPKPdEviT_T9_T10_S7_lS9_S7_lS8_T11_S7_li.kd
    .uniform_work_group_size: 1
    .uses_dynamic_stack: false
    .vgpr_count:     46
    .vgpr_spill_count: 0
    .wavefront_size: 32
    .workgroup_processor_mode: 1
  - .args:
      - .offset:         0
        .size:           4
        .value_kind:     by_value
      - .offset:         8
        .size:           8
        .value_kind:     by_value
      - .offset:         16
        .size:           8
        .value_kind:     by_value
      - .address_space:  global
        .offset:         24
        .size:           8
        .value_kind:     global_buffer
      - .offset:         32
        .size:           8
        .value_kind:     by_value
      - .offset:         40
        .size:           8
        .value_kind:     by_value
      - .address_space:  global
        .offset:         48
        .size:           8
        .value_kind:     global_buffer
      - .offset:         56
        .size:           8
        .value_kind:     by_value
      - .offset:         64
        .size:           8
        .value_kind:     by_value
      - .offset:         72
        .size:           8
        .value_kind:     by_value
      - .address_space:  global
        .offset:         80
        .size:           8
        .value_kind:     global_buffer
      - .offset:         88
        .size:           8
        .value_kind:     by_value
      - .offset:         96
        .size:           8
        .value_kind:     by_value
      - .offset:         104
        .size:           4
        .value_kind:     by_value
    .group_segment_fixed_size: 4096
    .kernarg_segment_align: 8
    .kernarg_segment_size: 108
    .language:       OpenCL C
    .language_version:
      - 2
      - 0
    .max_flat_workgroup_size: 256
    .name:           _ZL29rocblas_internal_gemmt_kernelIlLi16ELi32ELi8ELc78ELc67ELc76ELb0ELb0EddPKPKdPKPdEviT_T9_T10_S7_lS9_S7_lS8_T11_S7_li
    .private_segment_fixed_size: 0
    .sgpr_count:     46
    .sgpr_spill_count: 0
    .symbol:         _ZL29rocblas_internal_gemmt_kernelIlLi16ELi32ELi8ELc78ELc67ELc76ELb0ELb0EddPKPKdPKPdEviT_T9_T10_S7_lS9_S7_lS8_T11_S7_li.kd
    .uniform_work_group_size: 1
    .uses_dynamic_stack: false
    .vgpr_count:     46
    .vgpr_spill_count: 0
    .wavefront_size: 32
    .workgroup_processor_mode: 1
  - .args:
      - .offset:         0
        .size:           4
        .value_kind:     by_value
      - .offset:         8
        .size:           8
        .value_kind:     by_value
      - .offset:         16
        .size:           8
        .value_kind:     by_value
      - .address_space:  global
        .offset:         24
        .size:           8
        .value_kind:     global_buffer
      - .offset:         32
        .size:           8
        .value_kind:     by_value
      - .offset:         40
        .size:           8
        .value_kind:     by_value
      - .address_space:  global
        .offset:         48
        .size:           8
        .value_kind:     global_buffer
      - .offset:         56
        .size:           8
        .value_kind:     by_value
      - .offset:         64
        .size:           8
        .value_kind:     by_value
      - .offset:         72
        .size:           8
        .value_kind:     by_value
      - .address_space:  global
        .offset:         80
        .size:           8
        .value_kind:     global_buffer
      - .offset:         88
        .size:           8
        .value_kind:     by_value
      - .offset:         96
        .size:           8
        .value_kind:     by_value
      - .offset:         104
        .size:           4
        .value_kind:     by_value
    .group_segment_fixed_size: 4096
    .kernarg_segment_align: 8
    .kernarg_segment_size: 108
    .language:       OpenCL C
    .language_version:
      - 2
      - 0
    .max_flat_workgroup_size: 256
    .name:           _ZL29rocblas_internal_gemmt_kernelIlLi16ELi32ELi8ELc84ELc78ELc76ELb0ELb0EddPKPKdPKPdEviT_T9_T10_S7_lS9_S7_lS8_T11_S7_li
    .private_segment_fixed_size: 0
    .sgpr_count:     46
    .sgpr_spill_count: 0
    .symbol:         _ZL29rocblas_internal_gemmt_kernelIlLi16ELi32ELi8ELc84ELc78ELc76ELb0ELb0EddPKPKdPKPdEviT_T9_T10_S7_lS9_S7_lS8_T11_S7_li.kd
    .uniform_work_group_size: 1
    .uses_dynamic_stack: false
    .vgpr_count:     46
    .vgpr_spill_count: 0
    .wavefront_size: 32
    .workgroup_processor_mode: 1
  - .args:
      - .offset:         0
        .size:           4
        .value_kind:     by_value
      - .offset:         8
        .size:           8
        .value_kind:     by_value
      - .offset:         16
        .size:           8
        .value_kind:     by_value
      - .address_space:  global
        .offset:         24
        .size:           8
        .value_kind:     global_buffer
      - .offset:         32
        .size:           8
        .value_kind:     by_value
      - .offset:         40
        .size:           8
        .value_kind:     by_value
      - .address_space:  global
        .offset:         48
        .size:           8
        .value_kind:     global_buffer
      - .offset:         56
        .size:           8
        .value_kind:     by_value
      - .offset:         64
        .size:           8
        .value_kind:     by_value
      - .offset:         72
        .size:           8
        .value_kind:     by_value
      - .address_space:  global
        .offset:         80
        .size:           8
        .value_kind:     global_buffer
      - .offset:         88
        .size:           8
        .value_kind:     by_value
      - .offset:         96
        .size:           8
        .value_kind:     by_value
      - .offset:         104
        .size:           4
        .value_kind:     by_value
    .group_segment_fixed_size: 4096
    .kernarg_segment_align: 8
    .kernarg_segment_size: 108
    .language:       OpenCL C
    .language_version:
      - 2
      - 0
    .max_flat_workgroup_size: 256
    .name:           _ZL29rocblas_internal_gemmt_kernelIlLi16ELi32ELi8ELc84ELc84ELc76ELb0ELb0EddPKPKdPKPdEviT_T9_T10_S7_lS9_S7_lS8_T11_S7_li
    .private_segment_fixed_size: 0
    .sgpr_count:     46
    .sgpr_spill_count: 0
    .symbol:         _ZL29rocblas_internal_gemmt_kernelIlLi16ELi32ELi8ELc84ELc84ELc76ELb0ELb0EddPKPKdPKPdEviT_T9_T10_S7_lS9_S7_lS8_T11_S7_li.kd
    .uniform_work_group_size: 1
    .uses_dynamic_stack: false
    .vgpr_count:     46
    .vgpr_spill_count: 0
    .wavefront_size: 32
    .workgroup_processor_mode: 1
  - .args:
      - .offset:         0
        .size:           4
        .value_kind:     by_value
      - .offset:         8
        .size:           8
        .value_kind:     by_value
      - .offset:         16
        .size:           8
        .value_kind:     by_value
      - .address_space:  global
        .offset:         24
        .size:           8
        .value_kind:     global_buffer
      - .offset:         32
        .size:           8
        .value_kind:     by_value
      - .offset:         40
        .size:           8
        .value_kind:     by_value
      - .address_space:  global
        .offset:         48
        .size:           8
        .value_kind:     global_buffer
      - .offset:         56
        .size:           8
        .value_kind:     by_value
      - .offset:         64
        .size:           8
        .value_kind:     by_value
      - .offset:         72
        .size:           8
        .value_kind:     by_value
      - .address_space:  global
        .offset:         80
        .size:           8
        .value_kind:     global_buffer
      - .offset:         88
        .size:           8
        .value_kind:     by_value
      - .offset:         96
        .size:           8
        .value_kind:     by_value
      - .offset:         104
        .size:           4
        .value_kind:     by_value
    .group_segment_fixed_size: 4096
    .kernarg_segment_align: 8
    .kernarg_segment_size: 108
    .language:       OpenCL C
    .language_version:
      - 2
      - 0
    .max_flat_workgroup_size: 256
    .name:           _ZL29rocblas_internal_gemmt_kernelIlLi16ELi32ELi8ELc84ELc67ELc76ELb0ELb0EddPKPKdPKPdEviT_T9_T10_S7_lS9_S7_lS8_T11_S7_li
    .private_segment_fixed_size: 0
    .sgpr_count:     46
    .sgpr_spill_count: 0
    .symbol:         _ZL29rocblas_internal_gemmt_kernelIlLi16ELi32ELi8ELc84ELc67ELc76ELb0ELb0EddPKPKdPKPdEviT_T9_T10_S7_lS9_S7_lS8_T11_S7_li.kd
    .uniform_work_group_size: 1
    .uses_dynamic_stack: false
    .vgpr_count:     46
    .vgpr_spill_count: 0
    .wavefront_size: 32
    .workgroup_processor_mode: 1
  - .args:
      - .offset:         0
        .size:           4
        .value_kind:     by_value
      - .offset:         8
        .size:           8
        .value_kind:     by_value
      - .offset:         16
        .size:           8
        .value_kind:     by_value
      - .address_space:  global
        .offset:         24
        .size:           8
        .value_kind:     global_buffer
      - .offset:         32
        .size:           8
        .value_kind:     by_value
      - .offset:         40
        .size:           8
        .value_kind:     by_value
      - .address_space:  global
        .offset:         48
        .size:           8
        .value_kind:     global_buffer
      - .offset:         56
        .size:           8
        .value_kind:     by_value
      - .offset:         64
        .size:           8
        .value_kind:     by_value
      - .offset:         72
        .size:           8
        .value_kind:     by_value
      - .address_space:  global
        .offset:         80
        .size:           8
        .value_kind:     global_buffer
      - .offset:         88
        .size:           8
        .value_kind:     by_value
      - .offset:         96
        .size:           8
        .value_kind:     by_value
      - .offset:         104
        .size:           4
        .value_kind:     by_value
    .group_segment_fixed_size: 4096
    .kernarg_segment_align: 8
    .kernarg_segment_size: 108
    .language:       OpenCL C
    .language_version:
      - 2
      - 0
    .max_flat_workgroup_size: 256
    .name:           _ZL29rocblas_internal_gemmt_kernelIlLi16ELi32ELi8ELc67ELc78ELc76ELb0ELb0EddPKPKdPKPdEviT_T9_T10_S7_lS9_S7_lS8_T11_S7_li
    .private_segment_fixed_size: 0
    .sgpr_count:     46
    .sgpr_spill_count: 0
    .symbol:         _ZL29rocblas_internal_gemmt_kernelIlLi16ELi32ELi8ELc67ELc78ELc76ELb0ELb0EddPKPKdPKPdEviT_T9_T10_S7_lS9_S7_lS8_T11_S7_li.kd
    .uniform_work_group_size: 1
    .uses_dynamic_stack: false
    .vgpr_count:     46
    .vgpr_spill_count: 0
    .wavefront_size: 32
    .workgroup_processor_mode: 1
  - .args:
      - .offset:         0
        .size:           4
        .value_kind:     by_value
      - .offset:         8
        .size:           8
        .value_kind:     by_value
      - .offset:         16
        .size:           8
        .value_kind:     by_value
      - .address_space:  global
        .offset:         24
        .size:           8
        .value_kind:     global_buffer
      - .offset:         32
        .size:           8
        .value_kind:     by_value
      - .offset:         40
        .size:           8
        .value_kind:     by_value
      - .address_space:  global
        .offset:         48
        .size:           8
        .value_kind:     global_buffer
      - .offset:         56
        .size:           8
        .value_kind:     by_value
      - .offset:         64
        .size:           8
        .value_kind:     by_value
      - .offset:         72
        .size:           8
        .value_kind:     by_value
      - .address_space:  global
        .offset:         80
        .size:           8
        .value_kind:     global_buffer
      - .offset:         88
        .size:           8
        .value_kind:     by_value
      - .offset:         96
        .size:           8
        .value_kind:     by_value
      - .offset:         104
        .size:           4
        .value_kind:     by_value
    .group_segment_fixed_size: 4096
    .kernarg_segment_align: 8
    .kernarg_segment_size: 108
    .language:       OpenCL C
    .language_version:
      - 2
      - 0
    .max_flat_workgroup_size: 256
    .name:           _ZL29rocblas_internal_gemmt_kernelIlLi16ELi32ELi8ELc67ELc84ELc76ELb0ELb0EddPKPKdPKPdEviT_T9_T10_S7_lS9_S7_lS8_T11_S7_li
    .private_segment_fixed_size: 0
    .sgpr_count:     46
    .sgpr_spill_count: 0
    .symbol:         _ZL29rocblas_internal_gemmt_kernelIlLi16ELi32ELi8ELc67ELc84ELc76ELb0ELb0EddPKPKdPKPdEviT_T9_T10_S7_lS9_S7_lS8_T11_S7_li.kd
    .uniform_work_group_size: 1
    .uses_dynamic_stack: false
    .vgpr_count:     46
    .vgpr_spill_count: 0
    .wavefront_size: 32
    .workgroup_processor_mode: 1
  - .args:
      - .offset:         0
        .size:           4
        .value_kind:     by_value
      - .offset:         8
        .size:           8
        .value_kind:     by_value
      - .offset:         16
        .size:           8
        .value_kind:     by_value
      - .address_space:  global
        .offset:         24
        .size:           8
        .value_kind:     global_buffer
      - .offset:         32
        .size:           8
        .value_kind:     by_value
      - .offset:         40
        .size:           8
        .value_kind:     by_value
      - .address_space:  global
        .offset:         48
        .size:           8
        .value_kind:     global_buffer
      - .offset:         56
        .size:           8
        .value_kind:     by_value
      - .offset:         64
        .size:           8
        .value_kind:     by_value
      - .offset:         72
        .size:           8
        .value_kind:     by_value
      - .address_space:  global
        .offset:         80
        .size:           8
        .value_kind:     global_buffer
      - .offset:         88
        .size:           8
        .value_kind:     by_value
      - .offset:         96
        .size:           8
        .value_kind:     by_value
      - .offset:         104
        .size:           4
        .value_kind:     by_value
    .group_segment_fixed_size: 4096
    .kernarg_segment_align: 8
    .kernarg_segment_size: 108
    .language:       OpenCL C
    .language_version:
      - 2
      - 0
    .max_flat_workgroup_size: 256
    .name:           _ZL29rocblas_internal_gemmt_kernelIlLi16ELi32ELi8ELc67ELc67ELc76ELb0ELb0EddPKPKdPKPdEviT_T9_T10_S7_lS9_S7_lS8_T11_S7_li
    .private_segment_fixed_size: 0
    .sgpr_count:     46
    .sgpr_spill_count: 0
    .symbol:         _ZL29rocblas_internal_gemmt_kernelIlLi16ELi32ELi8ELc67ELc67ELc76ELb0ELb0EddPKPKdPKPdEviT_T9_T10_S7_lS9_S7_lS8_T11_S7_li.kd
    .uniform_work_group_size: 1
    .uses_dynamic_stack: false
    .vgpr_count:     46
    .vgpr_spill_count: 0
    .wavefront_size: 32
    .workgroup_processor_mode: 1
  - .args:
      - .offset:         0
        .size:           4
        .value_kind:     by_value
      - .offset:         8
        .size:           8
        .value_kind:     by_value
      - .address_space:  global
        .offset:         16
        .size:           8
        .value_kind:     global_buffer
      - .address_space:  global
        .offset:         24
        .size:           8
        .value_kind:     global_buffer
      - .offset:         32
        .size:           8
        .value_kind:     by_value
      - .offset:         40
        .size:           8
        .value_kind:     by_value
      - .address_space:  global
        .offset:         48
        .size:           8
        .value_kind:     global_buffer
      - .offset:         56
        .size:           8
        .value_kind:     by_value
      - .offset:         64
        .size:           8
        .value_kind:     by_value
      - .address_space:  global
        .offset:         72
        .size:           8
        .value_kind:     global_buffer
      - .address_space:  global
        .offset:         80
        .size:           8
        .value_kind:     global_buffer
      - .offset:         88
        .size:           8
        .value_kind:     by_value
      - .offset:         96
        .size:           8
        .value_kind:     by_value
      - .offset:         104
        .size:           4
        .value_kind:     by_value
    .group_segment_fixed_size: 4096
    .kernarg_segment_align: 8
    .kernarg_segment_size: 108
    .language:       OpenCL C
    .language_version:
      - 2
      - 0
    .max_flat_workgroup_size: 256
    .name:           _ZL29rocblas_internal_gemmt_kernelIlLi16ELi32ELi8ELc78ELc78ELc85ELb0ELb0E19rocblas_complex_numIfEPKS1_PKS3_PKPS1_EviT_T9_T10_S9_lSB_S9_lSA_T11_S9_li
    .private_segment_fixed_size: 0
    .sgpr_count:     46
    .sgpr_spill_count: 0
    .symbol:         _ZL29rocblas_internal_gemmt_kernelIlLi16ELi32ELi8ELc78ELc78ELc85ELb0ELb0E19rocblas_complex_numIfEPKS1_PKS3_PKPS1_EviT_T9_T10_S9_lSB_S9_lSA_T11_S9_li.kd
    .uniform_work_group_size: 1
    .uses_dynamic_stack: false
    .vgpr_count:     61
    .vgpr_spill_count: 0
    .wavefront_size: 32
    .workgroup_processor_mode: 1
  - .args:
      - .offset:         0
        .size:           4
        .value_kind:     by_value
      - .offset:         8
        .size:           8
        .value_kind:     by_value
      - .address_space:  global
        .offset:         16
        .size:           8
        .value_kind:     global_buffer
      - .address_space:  global
        .offset:         24
        .size:           8
        .value_kind:     global_buffer
      - .offset:         32
        .size:           8
        .value_kind:     by_value
      - .offset:         40
        .size:           8
        .value_kind:     by_value
      - .address_space:  global
        .offset:         48
        .size:           8
        .value_kind:     global_buffer
      - .offset:         56
        .size:           8
        .value_kind:     by_value
      - .offset:         64
        .size:           8
        .value_kind:     by_value
      - .address_space:  global
        .offset:         72
        .size:           8
        .value_kind:     global_buffer
      - .address_space:  global
        .offset:         80
        .size:           8
        .value_kind:     global_buffer
      - .offset:         88
        .size:           8
        .value_kind:     by_value
      - .offset:         96
        .size:           8
        .value_kind:     by_value
      - .offset:         104
        .size:           4
        .value_kind:     by_value
    .group_segment_fixed_size: 4096
    .kernarg_segment_align: 8
    .kernarg_segment_size: 108
    .language:       OpenCL C
    .language_version:
      - 2
      - 0
    .max_flat_workgroup_size: 256
    .name:           _ZL29rocblas_internal_gemmt_kernelIlLi16ELi32ELi8ELc78ELc84ELc85ELb0ELb0E19rocblas_complex_numIfEPKS1_PKS3_PKPS1_EviT_T9_T10_S9_lSB_S9_lSA_T11_S9_li
    .private_segment_fixed_size: 0
    .sgpr_count:     46
    .sgpr_spill_count: 0
    .symbol:         _ZL29rocblas_internal_gemmt_kernelIlLi16ELi32ELi8ELc78ELc84ELc85ELb0ELb0E19rocblas_complex_numIfEPKS1_PKS3_PKPS1_EviT_T9_T10_S9_lSB_S9_lSA_T11_S9_li.kd
    .uniform_work_group_size: 1
    .uses_dynamic_stack: false
    .vgpr_count:     61
    .vgpr_spill_count: 0
    .wavefront_size: 32
    .workgroup_processor_mode: 1
  - .args:
      - .offset:         0
        .size:           4
        .value_kind:     by_value
      - .offset:         8
        .size:           8
        .value_kind:     by_value
      - .address_space:  global
        .offset:         16
        .size:           8
        .value_kind:     global_buffer
      - .address_space:  global
        .offset:         24
        .size:           8
        .value_kind:     global_buffer
      - .offset:         32
        .size:           8
        .value_kind:     by_value
      - .offset:         40
        .size:           8
        .value_kind:     by_value
      - .address_space:  global
        .offset:         48
        .size:           8
        .value_kind:     global_buffer
      - .offset:         56
        .size:           8
        .value_kind:     by_value
      - .offset:         64
        .size:           8
        .value_kind:     by_value
      - .address_space:  global
        .offset:         72
        .size:           8
        .value_kind:     global_buffer
      - .address_space:  global
        .offset:         80
        .size:           8
        .value_kind:     global_buffer
      - .offset:         88
        .size:           8
        .value_kind:     by_value
      - .offset:         96
        .size:           8
        .value_kind:     by_value
      - .offset:         104
        .size:           4
        .value_kind:     by_value
    .group_segment_fixed_size: 4096
    .kernarg_segment_align: 8
    .kernarg_segment_size: 108
    .language:       OpenCL C
    .language_version:
      - 2
      - 0
    .max_flat_workgroup_size: 256
    .name:           _ZL29rocblas_internal_gemmt_kernelIlLi16ELi32ELi8ELc78ELc67ELc85ELb0ELb1E19rocblas_complex_numIfEPKS1_PKS3_PKPS1_EviT_T9_T10_S9_lSB_S9_lSA_T11_S9_li
    .private_segment_fixed_size: 0
    .sgpr_count:     46
    .sgpr_spill_count: 0
    .symbol:         _ZL29rocblas_internal_gemmt_kernelIlLi16ELi32ELi8ELc78ELc67ELc85ELb0ELb1E19rocblas_complex_numIfEPKS1_PKS3_PKPS1_EviT_T9_T10_S9_lSB_S9_lSA_T11_S9_li.kd
    .uniform_work_group_size: 1
    .uses_dynamic_stack: false
    .vgpr_count:     61
    .vgpr_spill_count: 0
    .wavefront_size: 32
    .workgroup_processor_mode: 1
  - .args:
      - .offset:         0
        .size:           4
        .value_kind:     by_value
      - .offset:         8
        .size:           8
        .value_kind:     by_value
      - .address_space:  global
        .offset:         16
        .size:           8
        .value_kind:     global_buffer
      - .address_space:  global
        .offset:         24
        .size:           8
        .value_kind:     global_buffer
      - .offset:         32
        .size:           8
        .value_kind:     by_value
      - .offset:         40
        .size:           8
        .value_kind:     by_value
      - .address_space:  global
        .offset:         48
        .size:           8
        .value_kind:     global_buffer
      - .offset:         56
        .size:           8
        .value_kind:     by_value
      - .offset:         64
        .size:           8
        .value_kind:     by_value
      - .address_space:  global
        .offset:         72
        .size:           8
        .value_kind:     global_buffer
      - .address_space:  global
        .offset:         80
        .size:           8
        .value_kind:     global_buffer
      - .offset:         88
        .size:           8
        .value_kind:     by_value
      - .offset:         96
        .size:           8
        .value_kind:     by_value
      - .offset:         104
        .size:           4
        .value_kind:     by_value
    .group_segment_fixed_size: 4096
    .kernarg_segment_align: 8
    .kernarg_segment_size: 108
    .language:       OpenCL C
    .language_version:
      - 2
      - 0
    .max_flat_workgroup_size: 256
    .name:           _ZL29rocblas_internal_gemmt_kernelIlLi16ELi32ELi8ELc84ELc78ELc85ELb0ELb0E19rocblas_complex_numIfEPKS1_PKS3_PKPS1_EviT_T9_T10_S9_lSB_S9_lSA_T11_S9_li
    .private_segment_fixed_size: 0
    .sgpr_count:     46
    .sgpr_spill_count: 0
    .symbol:         _ZL29rocblas_internal_gemmt_kernelIlLi16ELi32ELi8ELc84ELc78ELc85ELb0ELb0E19rocblas_complex_numIfEPKS1_PKS3_PKPS1_EviT_T9_T10_S9_lSB_S9_lSA_T11_S9_li.kd
    .uniform_work_group_size: 1
    .uses_dynamic_stack: false
    .vgpr_count:     61
    .vgpr_spill_count: 0
    .wavefront_size: 32
    .workgroup_processor_mode: 1
  - .args:
      - .offset:         0
        .size:           4
        .value_kind:     by_value
      - .offset:         8
        .size:           8
        .value_kind:     by_value
      - .address_space:  global
        .offset:         16
        .size:           8
        .value_kind:     global_buffer
      - .address_space:  global
        .offset:         24
        .size:           8
        .value_kind:     global_buffer
      - .offset:         32
        .size:           8
        .value_kind:     by_value
      - .offset:         40
        .size:           8
        .value_kind:     by_value
      - .address_space:  global
        .offset:         48
        .size:           8
        .value_kind:     global_buffer
      - .offset:         56
        .size:           8
        .value_kind:     by_value
      - .offset:         64
        .size:           8
        .value_kind:     by_value
      - .address_space:  global
        .offset:         72
        .size:           8
        .value_kind:     global_buffer
      - .address_space:  global
        .offset:         80
        .size:           8
        .value_kind:     global_buffer
      - .offset:         88
        .size:           8
        .value_kind:     by_value
      - .offset:         96
        .size:           8
        .value_kind:     by_value
      - .offset:         104
        .size:           4
        .value_kind:     by_value
    .group_segment_fixed_size: 4096
    .kernarg_segment_align: 8
    .kernarg_segment_size: 108
    .language:       OpenCL C
    .language_version:
      - 2
      - 0
    .max_flat_workgroup_size: 256
    .name:           _ZL29rocblas_internal_gemmt_kernelIlLi16ELi32ELi8ELc84ELc84ELc85ELb0ELb0E19rocblas_complex_numIfEPKS1_PKS3_PKPS1_EviT_T9_T10_S9_lSB_S9_lSA_T11_S9_li
    .private_segment_fixed_size: 0
    .sgpr_count:     46
    .sgpr_spill_count: 0
    .symbol:         _ZL29rocblas_internal_gemmt_kernelIlLi16ELi32ELi8ELc84ELc84ELc85ELb0ELb0E19rocblas_complex_numIfEPKS1_PKS3_PKPS1_EviT_T9_T10_S9_lSB_S9_lSA_T11_S9_li.kd
    .uniform_work_group_size: 1
    .uses_dynamic_stack: false
    .vgpr_count:     61
    .vgpr_spill_count: 0
    .wavefront_size: 32
    .workgroup_processor_mode: 1
  - .args:
      - .offset:         0
        .size:           4
        .value_kind:     by_value
      - .offset:         8
        .size:           8
        .value_kind:     by_value
      - .address_space:  global
        .offset:         16
        .size:           8
        .value_kind:     global_buffer
      - .address_space:  global
        .offset:         24
        .size:           8
        .value_kind:     global_buffer
      - .offset:         32
        .size:           8
        .value_kind:     by_value
      - .offset:         40
        .size:           8
        .value_kind:     by_value
      - .address_space:  global
        .offset:         48
        .size:           8
        .value_kind:     global_buffer
      - .offset:         56
        .size:           8
        .value_kind:     by_value
      - .offset:         64
        .size:           8
        .value_kind:     by_value
      - .address_space:  global
        .offset:         72
        .size:           8
        .value_kind:     global_buffer
      - .address_space:  global
        .offset:         80
        .size:           8
        .value_kind:     global_buffer
      - .offset:         88
        .size:           8
        .value_kind:     by_value
      - .offset:         96
        .size:           8
        .value_kind:     by_value
      - .offset:         104
        .size:           4
        .value_kind:     by_value
    .group_segment_fixed_size: 4096
    .kernarg_segment_align: 8
    .kernarg_segment_size: 108
    .language:       OpenCL C
    .language_version:
      - 2
      - 0
    .max_flat_workgroup_size: 256
    .name:           _ZL29rocblas_internal_gemmt_kernelIlLi16ELi32ELi8ELc84ELc67ELc85ELb0ELb1E19rocblas_complex_numIfEPKS1_PKS3_PKPS1_EviT_T9_T10_S9_lSB_S9_lSA_T11_S9_li
    .private_segment_fixed_size: 0
    .sgpr_count:     46
    .sgpr_spill_count: 0
    .symbol:         _ZL29rocblas_internal_gemmt_kernelIlLi16ELi32ELi8ELc84ELc67ELc85ELb0ELb1E19rocblas_complex_numIfEPKS1_PKS3_PKPS1_EviT_T9_T10_S9_lSB_S9_lSA_T11_S9_li.kd
    .uniform_work_group_size: 1
    .uses_dynamic_stack: false
    .vgpr_count:     61
    .vgpr_spill_count: 0
    .wavefront_size: 32
    .workgroup_processor_mode: 1
  - .args:
      - .offset:         0
        .size:           4
        .value_kind:     by_value
      - .offset:         8
        .size:           8
        .value_kind:     by_value
      - .address_space:  global
        .offset:         16
        .size:           8
        .value_kind:     global_buffer
      - .address_space:  global
        .offset:         24
        .size:           8
        .value_kind:     global_buffer
      - .offset:         32
        .size:           8
        .value_kind:     by_value
      - .offset:         40
        .size:           8
        .value_kind:     by_value
      - .address_space:  global
        .offset:         48
        .size:           8
        .value_kind:     global_buffer
      - .offset:         56
        .size:           8
        .value_kind:     by_value
      - .offset:         64
        .size:           8
        .value_kind:     by_value
      - .address_space:  global
        .offset:         72
        .size:           8
        .value_kind:     global_buffer
      - .address_space:  global
        .offset:         80
        .size:           8
        .value_kind:     global_buffer
      - .offset:         88
        .size:           8
        .value_kind:     by_value
      - .offset:         96
        .size:           8
        .value_kind:     by_value
      - .offset:         104
        .size:           4
        .value_kind:     by_value
    .group_segment_fixed_size: 4096
    .kernarg_segment_align: 8
    .kernarg_segment_size: 108
    .language:       OpenCL C
    .language_version:
      - 2
      - 0
    .max_flat_workgroup_size: 256
    .name:           _ZL29rocblas_internal_gemmt_kernelIlLi16ELi32ELi8ELc67ELc78ELc85ELb1ELb0E19rocblas_complex_numIfEPKS1_PKS3_PKPS1_EviT_T9_T10_S9_lSB_S9_lSA_T11_S9_li
    .private_segment_fixed_size: 0
    .sgpr_count:     46
    .sgpr_spill_count: 0
    .symbol:         _ZL29rocblas_internal_gemmt_kernelIlLi16ELi32ELi8ELc67ELc78ELc85ELb1ELb0E19rocblas_complex_numIfEPKS1_PKS3_PKPS1_EviT_T9_T10_S9_lSB_S9_lSA_T11_S9_li.kd
    .uniform_work_group_size: 1
    .uses_dynamic_stack: false
    .vgpr_count:     61
    .vgpr_spill_count: 0
    .wavefront_size: 32
    .workgroup_processor_mode: 1
  - .args:
      - .offset:         0
        .size:           4
        .value_kind:     by_value
      - .offset:         8
        .size:           8
        .value_kind:     by_value
      - .address_space:  global
        .offset:         16
        .size:           8
        .value_kind:     global_buffer
      - .address_space:  global
        .offset:         24
        .size:           8
        .value_kind:     global_buffer
      - .offset:         32
        .size:           8
        .value_kind:     by_value
      - .offset:         40
        .size:           8
        .value_kind:     by_value
      - .address_space:  global
        .offset:         48
        .size:           8
        .value_kind:     global_buffer
      - .offset:         56
        .size:           8
        .value_kind:     by_value
      - .offset:         64
        .size:           8
        .value_kind:     by_value
      - .address_space:  global
        .offset:         72
        .size:           8
        .value_kind:     global_buffer
      - .address_space:  global
        .offset:         80
        .size:           8
        .value_kind:     global_buffer
      - .offset:         88
        .size:           8
        .value_kind:     by_value
      - .offset:         96
        .size:           8
        .value_kind:     by_value
      - .offset:         104
        .size:           4
        .value_kind:     by_value
    .group_segment_fixed_size: 4096
    .kernarg_segment_align: 8
    .kernarg_segment_size: 108
    .language:       OpenCL C
    .language_version:
      - 2
      - 0
    .max_flat_workgroup_size: 256
    .name:           _ZL29rocblas_internal_gemmt_kernelIlLi16ELi32ELi8ELc67ELc84ELc85ELb1ELb0E19rocblas_complex_numIfEPKS1_PKS3_PKPS1_EviT_T9_T10_S9_lSB_S9_lSA_T11_S9_li
    .private_segment_fixed_size: 0
    .sgpr_count:     46
    .sgpr_spill_count: 0
    .symbol:         _ZL29rocblas_internal_gemmt_kernelIlLi16ELi32ELi8ELc67ELc84ELc85ELb1ELb0E19rocblas_complex_numIfEPKS1_PKS3_PKPS1_EviT_T9_T10_S9_lSB_S9_lSA_T11_S9_li.kd
    .uniform_work_group_size: 1
    .uses_dynamic_stack: false
    .vgpr_count:     61
    .vgpr_spill_count: 0
    .wavefront_size: 32
    .workgroup_processor_mode: 1
  - .args:
      - .offset:         0
        .size:           4
        .value_kind:     by_value
      - .offset:         8
        .size:           8
        .value_kind:     by_value
      - .address_space:  global
        .offset:         16
        .size:           8
        .value_kind:     global_buffer
      - .address_space:  global
        .offset:         24
        .size:           8
        .value_kind:     global_buffer
      - .offset:         32
        .size:           8
        .value_kind:     by_value
      - .offset:         40
        .size:           8
        .value_kind:     by_value
      - .address_space:  global
        .offset:         48
        .size:           8
        .value_kind:     global_buffer
      - .offset:         56
        .size:           8
        .value_kind:     by_value
      - .offset:         64
        .size:           8
        .value_kind:     by_value
      - .address_space:  global
        .offset:         72
        .size:           8
        .value_kind:     global_buffer
      - .address_space:  global
        .offset:         80
        .size:           8
        .value_kind:     global_buffer
      - .offset:         88
        .size:           8
        .value_kind:     by_value
      - .offset:         96
        .size:           8
        .value_kind:     by_value
      - .offset:         104
        .size:           4
        .value_kind:     by_value
    .group_segment_fixed_size: 4096
    .kernarg_segment_align: 8
    .kernarg_segment_size: 108
    .language:       OpenCL C
    .language_version:
      - 2
      - 0
    .max_flat_workgroup_size: 256
    .name:           _ZL29rocblas_internal_gemmt_kernelIlLi16ELi32ELi8ELc67ELc67ELc85ELb1ELb1E19rocblas_complex_numIfEPKS1_PKS3_PKPS1_EviT_T9_T10_S9_lSB_S9_lSA_T11_S9_li
    .private_segment_fixed_size: 0
    .sgpr_count:     46
    .sgpr_spill_count: 0
    .symbol:         _ZL29rocblas_internal_gemmt_kernelIlLi16ELi32ELi8ELc67ELc67ELc85ELb1ELb1E19rocblas_complex_numIfEPKS1_PKS3_PKPS1_EviT_T9_T10_S9_lSB_S9_lSA_T11_S9_li.kd
    .uniform_work_group_size: 1
    .uses_dynamic_stack: false
    .vgpr_count:     61
    .vgpr_spill_count: 0
    .wavefront_size: 32
    .workgroup_processor_mode: 1
  - .args:
      - .offset:         0
        .size:           4
        .value_kind:     by_value
      - .offset:         8
        .size:           8
        .value_kind:     by_value
      - .address_space:  global
        .offset:         16
        .size:           8
        .value_kind:     global_buffer
      - .address_space:  global
        .offset:         24
        .size:           8
        .value_kind:     global_buffer
      - .offset:         32
        .size:           8
        .value_kind:     by_value
      - .offset:         40
        .size:           8
        .value_kind:     by_value
      - .address_space:  global
        .offset:         48
        .size:           8
        .value_kind:     global_buffer
      - .offset:         56
        .size:           8
        .value_kind:     by_value
      - .offset:         64
        .size:           8
        .value_kind:     by_value
      - .address_space:  global
        .offset:         72
        .size:           8
        .value_kind:     global_buffer
      - .address_space:  global
        .offset:         80
        .size:           8
        .value_kind:     global_buffer
      - .offset:         88
        .size:           8
        .value_kind:     by_value
      - .offset:         96
        .size:           8
        .value_kind:     by_value
      - .offset:         104
        .size:           4
        .value_kind:     by_value
    .group_segment_fixed_size: 4096
    .kernarg_segment_align: 8
    .kernarg_segment_size: 108
    .language:       OpenCL C
    .language_version:
      - 2
      - 0
    .max_flat_workgroup_size: 256
    .name:           _ZL29rocblas_internal_gemmt_kernelIlLi16ELi32ELi8ELc78ELc78ELc76ELb0ELb0E19rocblas_complex_numIfEPKS1_PKS3_PKPS1_EviT_T9_T10_S9_lSB_S9_lSA_T11_S9_li
    .private_segment_fixed_size: 0
    .sgpr_count:     46
    .sgpr_spill_count: 0
    .symbol:         _ZL29rocblas_internal_gemmt_kernelIlLi16ELi32ELi8ELc78ELc78ELc76ELb0ELb0E19rocblas_complex_numIfEPKS1_PKS3_PKPS1_EviT_T9_T10_S9_lSB_S9_lSA_T11_S9_li.kd
    .uniform_work_group_size: 1
    .uses_dynamic_stack: false
    .vgpr_count:     61
    .vgpr_spill_count: 0
    .wavefront_size: 32
    .workgroup_processor_mode: 1
  - .args:
      - .offset:         0
        .size:           4
        .value_kind:     by_value
      - .offset:         8
        .size:           8
        .value_kind:     by_value
      - .address_space:  global
        .offset:         16
        .size:           8
        .value_kind:     global_buffer
      - .address_space:  global
        .offset:         24
        .size:           8
        .value_kind:     global_buffer
      - .offset:         32
        .size:           8
        .value_kind:     by_value
      - .offset:         40
        .size:           8
        .value_kind:     by_value
      - .address_space:  global
        .offset:         48
        .size:           8
        .value_kind:     global_buffer
      - .offset:         56
        .size:           8
        .value_kind:     by_value
      - .offset:         64
        .size:           8
        .value_kind:     by_value
      - .address_space:  global
        .offset:         72
        .size:           8
        .value_kind:     global_buffer
      - .address_space:  global
        .offset:         80
        .size:           8
        .value_kind:     global_buffer
      - .offset:         88
        .size:           8
        .value_kind:     by_value
      - .offset:         96
        .size:           8
        .value_kind:     by_value
      - .offset:         104
        .size:           4
        .value_kind:     by_value
    .group_segment_fixed_size: 4096
    .kernarg_segment_align: 8
    .kernarg_segment_size: 108
    .language:       OpenCL C
    .language_version:
      - 2
      - 0
    .max_flat_workgroup_size: 256
    .name:           _ZL29rocblas_internal_gemmt_kernelIlLi16ELi32ELi8ELc78ELc84ELc76ELb0ELb0E19rocblas_complex_numIfEPKS1_PKS3_PKPS1_EviT_T9_T10_S9_lSB_S9_lSA_T11_S9_li
    .private_segment_fixed_size: 0
    .sgpr_count:     46
    .sgpr_spill_count: 0
    .symbol:         _ZL29rocblas_internal_gemmt_kernelIlLi16ELi32ELi8ELc78ELc84ELc76ELb0ELb0E19rocblas_complex_numIfEPKS1_PKS3_PKPS1_EviT_T9_T10_S9_lSB_S9_lSA_T11_S9_li.kd
    .uniform_work_group_size: 1
    .uses_dynamic_stack: false
    .vgpr_count:     61
    .vgpr_spill_count: 0
    .wavefront_size: 32
    .workgroup_processor_mode: 1
  - .args:
      - .offset:         0
        .size:           4
        .value_kind:     by_value
      - .offset:         8
        .size:           8
        .value_kind:     by_value
      - .address_space:  global
        .offset:         16
        .size:           8
        .value_kind:     global_buffer
      - .address_space:  global
        .offset:         24
        .size:           8
        .value_kind:     global_buffer
      - .offset:         32
        .size:           8
        .value_kind:     by_value
      - .offset:         40
        .size:           8
        .value_kind:     by_value
      - .address_space:  global
        .offset:         48
        .size:           8
        .value_kind:     global_buffer
      - .offset:         56
        .size:           8
        .value_kind:     by_value
      - .offset:         64
        .size:           8
        .value_kind:     by_value
      - .address_space:  global
        .offset:         72
        .size:           8
        .value_kind:     global_buffer
      - .address_space:  global
        .offset:         80
        .size:           8
        .value_kind:     global_buffer
      - .offset:         88
        .size:           8
        .value_kind:     by_value
      - .offset:         96
        .size:           8
        .value_kind:     by_value
      - .offset:         104
        .size:           4
        .value_kind:     by_value
    .group_segment_fixed_size: 4096
    .kernarg_segment_align: 8
    .kernarg_segment_size: 108
    .language:       OpenCL C
    .language_version:
      - 2
      - 0
    .max_flat_workgroup_size: 256
    .name:           _ZL29rocblas_internal_gemmt_kernelIlLi16ELi32ELi8ELc78ELc67ELc76ELb0ELb1E19rocblas_complex_numIfEPKS1_PKS3_PKPS1_EviT_T9_T10_S9_lSB_S9_lSA_T11_S9_li
    .private_segment_fixed_size: 0
    .sgpr_count:     46
    .sgpr_spill_count: 0
    .symbol:         _ZL29rocblas_internal_gemmt_kernelIlLi16ELi32ELi8ELc78ELc67ELc76ELb0ELb1E19rocblas_complex_numIfEPKS1_PKS3_PKPS1_EviT_T9_T10_S9_lSB_S9_lSA_T11_S9_li.kd
    .uniform_work_group_size: 1
    .uses_dynamic_stack: false
    .vgpr_count:     61
    .vgpr_spill_count: 0
    .wavefront_size: 32
    .workgroup_processor_mode: 1
  - .args:
      - .offset:         0
        .size:           4
        .value_kind:     by_value
      - .offset:         8
        .size:           8
        .value_kind:     by_value
      - .address_space:  global
        .offset:         16
        .size:           8
        .value_kind:     global_buffer
      - .address_space:  global
        .offset:         24
        .size:           8
        .value_kind:     global_buffer
      - .offset:         32
        .size:           8
        .value_kind:     by_value
      - .offset:         40
        .size:           8
        .value_kind:     by_value
      - .address_space:  global
        .offset:         48
        .size:           8
        .value_kind:     global_buffer
      - .offset:         56
        .size:           8
        .value_kind:     by_value
      - .offset:         64
        .size:           8
        .value_kind:     by_value
      - .address_space:  global
        .offset:         72
        .size:           8
        .value_kind:     global_buffer
      - .address_space:  global
        .offset:         80
        .size:           8
        .value_kind:     global_buffer
      - .offset:         88
        .size:           8
        .value_kind:     by_value
      - .offset:         96
        .size:           8
        .value_kind:     by_value
      - .offset:         104
        .size:           4
        .value_kind:     by_value
    .group_segment_fixed_size: 4096
    .kernarg_segment_align: 8
    .kernarg_segment_size: 108
    .language:       OpenCL C
    .language_version:
      - 2
      - 0
    .max_flat_workgroup_size: 256
    .name:           _ZL29rocblas_internal_gemmt_kernelIlLi16ELi32ELi8ELc84ELc78ELc76ELb0ELb0E19rocblas_complex_numIfEPKS1_PKS3_PKPS1_EviT_T9_T10_S9_lSB_S9_lSA_T11_S9_li
    .private_segment_fixed_size: 0
    .sgpr_count:     46
    .sgpr_spill_count: 0
    .symbol:         _ZL29rocblas_internal_gemmt_kernelIlLi16ELi32ELi8ELc84ELc78ELc76ELb0ELb0E19rocblas_complex_numIfEPKS1_PKS3_PKPS1_EviT_T9_T10_S9_lSB_S9_lSA_T11_S9_li.kd
    .uniform_work_group_size: 1
    .uses_dynamic_stack: false
    .vgpr_count:     61
    .vgpr_spill_count: 0
    .wavefront_size: 32
    .workgroup_processor_mode: 1
  - .args:
      - .offset:         0
        .size:           4
        .value_kind:     by_value
      - .offset:         8
        .size:           8
        .value_kind:     by_value
      - .address_space:  global
        .offset:         16
        .size:           8
        .value_kind:     global_buffer
      - .address_space:  global
        .offset:         24
        .size:           8
        .value_kind:     global_buffer
      - .offset:         32
        .size:           8
        .value_kind:     by_value
      - .offset:         40
        .size:           8
        .value_kind:     by_value
      - .address_space:  global
        .offset:         48
        .size:           8
        .value_kind:     global_buffer
      - .offset:         56
        .size:           8
        .value_kind:     by_value
      - .offset:         64
        .size:           8
        .value_kind:     by_value
      - .address_space:  global
        .offset:         72
        .size:           8
        .value_kind:     global_buffer
      - .address_space:  global
        .offset:         80
        .size:           8
        .value_kind:     global_buffer
      - .offset:         88
        .size:           8
        .value_kind:     by_value
      - .offset:         96
        .size:           8
        .value_kind:     by_value
      - .offset:         104
        .size:           4
        .value_kind:     by_value
    .group_segment_fixed_size: 4096
    .kernarg_segment_align: 8
    .kernarg_segment_size: 108
    .language:       OpenCL C
    .language_version:
      - 2
      - 0
    .max_flat_workgroup_size: 256
    .name:           _ZL29rocblas_internal_gemmt_kernelIlLi16ELi32ELi8ELc84ELc84ELc76ELb0ELb0E19rocblas_complex_numIfEPKS1_PKS3_PKPS1_EviT_T9_T10_S9_lSB_S9_lSA_T11_S9_li
    .private_segment_fixed_size: 0
    .sgpr_count:     46
    .sgpr_spill_count: 0
    .symbol:         _ZL29rocblas_internal_gemmt_kernelIlLi16ELi32ELi8ELc84ELc84ELc76ELb0ELb0E19rocblas_complex_numIfEPKS1_PKS3_PKPS1_EviT_T9_T10_S9_lSB_S9_lSA_T11_S9_li.kd
    .uniform_work_group_size: 1
    .uses_dynamic_stack: false
    .vgpr_count:     61
    .vgpr_spill_count: 0
    .wavefront_size: 32
    .workgroup_processor_mode: 1
  - .args:
      - .offset:         0
        .size:           4
        .value_kind:     by_value
      - .offset:         8
        .size:           8
        .value_kind:     by_value
      - .address_space:  global
        .offset:         16
        .size:           8
        .value_kind:     global_buffer
      - .address_space:  global
        .offset:         24
        .size:           8
        .value_kind:     global_buffer
      - .offset:         32
        .size:           8
        .value_kind:     by_value
      - .offset:         40
        .size:           8
        .value_kind:     by_value
      - .address_space:  global
        .offset:         48
        .size:           8
        .value_kind:     global_buffer
      - .offset:         56
        .size:           8
        .value_kind:     by_value
      - .offset:         64
        .size:           8
        .value_kind:     by_value
      - .address_space:  global
        .offset:         72
        .size:           8
        .value_kind:     global_buffer
      - .address_space:  global
        .offset:         80
        .size:           8
        .value_kind:     global_buffer
      - .offset:         88
        .size:           8
        .value_kind:     by_value
      - .offset:         96
        .size:           8
        .value_kind:     by_value
      - .offset:         104
        .size:           4
        .value_kind:     by_value
    .group_segment_fixed_size: 4096
    .kernarg_segment_align: 8
    .kernarg_segment_size: 108
    .language:       OpenCL C
    .language_version:
      - 2
      - 0
    .max_flat_workgroup_size: 256
    .name:           _ZL29rocblas_internal_gemmt_kernelIlLi16ELi32ELi8ELc84ELc67ELc76ELb0ELb1E19rocblas_complex_numIfEPKS1_PKS3_PKPS1_EviT_T9_T10_S9_lSB_S9_lSA_T11_S9_li
    .private_segment_fixed_size: 0
    .sgpr_count:     46
    .sgpr_spill_count: 0
    .symbol:         _ZL29rocblas_internal_gemmt_kernelIlLi16ELi32ELi8ELc84ELc67ELc76ELb0ELb1E19rocblas_complex_numIfEPKS1_PKS3_PKPS1_EviT_T9_T10_S9_lSB_S9_lSA_T11_S9_li.kd
    .uniform_work_group_size: 1
    .uses_dynamic_stack: false
    .vgpr_count:     61
    .vgpr_spill_count: 0
    .wavefront_size: 32
    .workgroup_processor_mode: 1
  - .args:
      - .offset:         0
        .size:           4
        .value_kind:     by_value
      - .offset:         8
        .size:           8
        .value_kind:     by_value
      - .address_space:  global
        .offset:         16
        .size:           8
        .value_kind:     global_buffer
      - .address_space:  global
        .offset:         24
        .size:           8
        .value_kind:     global_buffer
      - .offset:         32
        .size:           8
        .value_kind:     by_value
      - .offset:         40
        .size:           8
        .value_kind:     by_value
      - .address_space:  global
        .offset:         48
        .size:           8
        .value_kind:     global_buffer
      - .offset:         56
        .size:           8
        .value_kind:     by_value
      - .offset:         64
        .size:           8
        .value_kind:     by_value
      - .address_space:  global
        .offset:         72
        .size:           8
        .value_kind:     global_buffer
      - .address_space:  global
        .offset:         80
        .size:           8
        .value_kind:     global_buffer
      - .offset:         88
        .size:           8
        .value_kind:     by_value
      - .offset:         96
        .size:           8
        .value_kind:     by_value
      - .offset:         104
        .size:           4
        .value_kind:     by_value
    .group_segment_fixed_size: 4096
    .kernarg_segment_align: 8
    .kernarg_segment_size: 108
    .language:       OpenCL C
    .language_version:
      - 2
      - 0
    .max_flat_workgroup_size: 256
    .name:           _ZL29rocblas_internal_gemmt_kernelIlLi16ELi32ELi8ELc67ELc78ELc76ELb1ELb0E19rocblas_complex_numIfEPKS1_PKS3_PKPS1_EviT_T9_T10_S9_lSB_S9_lSA_T11_S9_li
    .private_segment_fixed_size: 0
    .sgpr_count:     46
    .sgpr_spill_count: 0
    .symbol:         _ZL29rocblas_internal_gemmt_kernelIlLi16ELi32ELi8ELc67ELc78ELc76ELb1ELb0E19rocblas_complex_numIfEPKS1_PKS3_PKPS1_EviT_T9_T10_S9_lSB_S9_lSA_T11_S9_li.kd
    .uniform_work_group_size: 1
    .uses_dynamic_stack: false
    .vgpr_count:     61
    .vgpr_spill_count: 0
    .wavefront_size: 32
    .workgroup_processor_mode: 1
  - .args:
      - .offset:         0
        .size:           4
        .value_kind:     by_value
      - .offset:         8
        .size:           8
        .value_kind:     by_value
      - .address_space:  global
        .offset:         16
        .size:           8
        .value_kind:     global_buffer
      - .address_space:  global
        .offset:         24
        .size:           8
        .value_kind:     global_buffer
      - .offset:         32
        .size:           8
        .value_kind:     by_value
      - .offset:         40
        .size:           8
        .value_kind:     by_value
      - .address_space:  global
        .offset:         48
        .size:           8
        .value_kind:     global_buffer
      - .offset:         56
        .size:           8
        .value_kind:     by_value
      - .offset:         64
        .size:           8
        .value_kind:     by_value
      - .address_space:  global
        .offset:         72
        .size:           8
        .value_kind:     global_buffer
      - .address_space:  global
        .offset:         80
        .size:           8
        .value_kind:     global_buffer
      - .offset:         88
        .size:           8
        .value_kind:     by_value
      - .offset:         96
        .size:           8
        .value_kind:     by_value
      - .offset:         104
        .size:           4
        .value_kind:     by_value
    .group_segment_fixed_size: 4096
    .kernarg_segment_align: 8
    .kernarg_segment_size: 108
    .language:       OpenCL C
    .language_version:
      - 2
      - 0
    .max_flat_workgroup_size: 256
    .name:           _ZL29rocblas_internal_gemmt_kernelIlLi16ELi32ELi8ELc67ELc84ELc76ELb1ELb0E19rocblas_complex_numIfEPKS1_PKS3_PKPS1_EviT_T9_T10_S9_lSB_S9_lSA_T11_S9_li
    .private_segment_fixed_size: 0
    .sgpr_count:     46
    .sgpr_spill_count: 0
    .symbol:         _ZL29rocblas_internal_gemmt_kernelIlLi16ELi32ELi8ELc67ELc84ELc76ELb1ELb0E19rocblas_complex_numIfEPKS1_PKS3_PKPS1_EviT_T9_T10_S9_lSB_S9_lSA_T11_S9_li.kd
    .uniform_work_group_size: 1
    .uses_dynamic_stack: false
    .vgpr_count:     61
    .vgpr_spill_count: 0
    .wavefront_size: 32
    .workgroup_processor_mode: 1
  - .args:
      - .offset:         0
        .size:           4
        .value_kind:     by_value
      - .offset:         8
        .size:           8
        .value_kind:     by_value
      - .address_space:  global
        .offset:         16
        .size:           8
        .value_kind:     global_buffer
      - .address_space:  global
        .offset:         24
        .size:           8
        .value_kind:     global_buffer
      - .offset:         32
        .size:           8
        .value_kind:     by_value
      - .offset:         40
        .size:           8
        .value_kind:     by_value
      - .address_space:  global
        .offset:         48
        .size:           8
        .value_kind:     global_buffer
      - .offset:         56
        .size:           8
        .value_kind:     by_value
      - .offset:         64
        .size:           8
        .value_kind:     by_value
      - .address_space:  global
        .offset:         72
        .size:           8
        .value_kind:     global_buffer
      - .address_space:  global
        .offset:         80
        .size:           8
        .value_kind:     global_buffer
      - .offset:         88
        .size:           8
        .value_kind:     by_value
      - .offset:         96
        .size:           8
        .value_kind:     by_value
      - .offset:         104
        .size:           4
        .value_kind:     by_value
    .group_segment_fixed_size: 4096
    .kernarg_segment_align: 8
    .kernarg_segment_size: 108
    .language:       OpenCL C
    .language_version:
      - 2
      - 0
    .max_flat_workgroup_size: 256
    .name:           _ZL29rocblas_internal_gemmt_kernelIlLi16ELi32ELi8ELc67ELc67ELc76ELb1ELb1E19rocblas_complex_numIfEPKS1_PKS3_PKPS1_EviT_T9_T10_S9_lSB_S9_lSA_T11_S9_li
    .private_segment_fixed_size: 0
    .sgpr_count:     46
    .sgpr_spill_count: 0
    .symbol:         _ZL29rocblas_internal_gemmt_kernelIlLi16ELi32ELi8ELc67ELc67ELc76ELb1ELb1E19rocblas_complex_numIfEPKS1_PKS3_PKPS1_EviT_T9_T10_S9_lSB_S9_lSA_T11_S9_li.kd
    .uniform_work_group_size: 1
    .uses_dynamic_stack: false
    .vgpr_count:     61
    .vgpr_spill_count: 0
    .wavefront_size: 32
    .workgroup_processor_mode: 1
  - .args:
      - .offset:         0
        .size:           4
        .value_kind:     by_value
      - .offset:         8
        .size:           8
        .value_kind:     by_value
      - .offset:         16
        .size:           8
        .value_kind:     by_value
      - .address_space:  global
        .offset:         24
        .size:           8
        .value_kind:     global_buffer
      - .offset:         32
        .size:           8
        .value_kind:     by_value
      - .offset:         40
        .size:           8
        .value_kind:     by_value
      - .address_space:  global
        .offset:         48
        .size:           8
        .value_kind:     global_buffer
      - .offset:         56
        .size:           8
        .value_kind:     by_value
      - .offset:         64
        .size:           8
        .value_kind:     by_value
      - .offset:         72
        .size:           8
        .value_kind:     by_value
      - .address_space:  global
        .offset:         80
        .size:           8
        .value_kind:     global_buffer
      - .offset:         88
        .size:           8
        .value_kind:     by_value
      - .offset:         96
        .size:           8
        .value_kind:     by_value
      - .offset:         104
        .size:           4
        .value_kind:     by_value
    .group_segment_fixed_size: 4096
    .kernarg_segment_align: 8
    .kernarg_segment_size: 108
    .language:       OpenCL C
    .language_version:
      - 2
      - 0
    .max_flat_workgroup_size: 256
    .name:           _ZL29rocblas_internal_gemmt_kernelIlLi16ELi32ELi8ELc78ELc78ELc85ELb0ELb0E19rocblas_complex_numIfES1_PKPKS1_PKPS1_EviT_T9_T10_S9_lSB_S9_lSA_T11_S9_li
    .private_segment_fixed_size: 0
    .sgpr_count:     34
    .sgpr_spill_count: 0
    .symbol:         _ZL29rocblas_internal_gemmt_kernelIlLi16ELi32ELi8ELc78ELc78ELc85ELb0ELb0E19rocblas_complex_numIfES1_PKPKS1_PKPS1_EviT_T9_T10_S9_lSB_S9_lSA_T11_S9_li.kd
    .uniform_work_group_size: 1
    .uses_dynamic_stack: false
    .vgpr_count:     61
    .vgpr_spill_count: 0
    .wavefront_size: 32
    .workgroup_processor_mode: 1
  - .args:
      - .offset:         0
        .size:           4
        .value_kind:     by_value
      - .offset:         8
        .size:           8
        .value_kind:     by_value
      - .offset:         16
        .size:           8
        .value_kind:     by_value
      - .address_space:  global
        .offset:         24
        .size:           8
        .value_kind:     global_buffer
      - .offset:         32
        .size:           8
        .value_kind:     by_value
      - .offset:         40
        .size:           8
        .value_kind:     by_value
      - .address_space:  global
        .offset:         48
        .size:           8
        .value_kind:     global_buffer
      - .offset:         56
        .size:           8
        .value_kind:     by_value
      - .offset:         64
        .size:           8
        .value_kind:     by_value
      - .offset:         72
        .size:           8
        .value_kind:     by_value
      - .address_space:  global
        .offset:         80
        .size:           8
        .value_kind:     global_buffer
      - .offset:         88
        .size:           8
        .value_kind:     by_value
      - .offset:         96
        .size:           8
        .value_kind:     by_value
      - .offset:         104
        .size:           4
        .value_kind:     by_value
    .group_segment_fixed_size: 4096
    .kernarg_segment_align: 8
    .kernarg_segment_size: 108
    .language:       OpenCL C
    .language_version:
      - 2
      - 0
    .max_flat_workgroup_size: 256
    .name:           _ZL29rocblas_internal_gemmt_kernelIlLi16ELi32ELi8ELc78ELc84ELc85ELb0ELb0E19rocblas_complex_numIfES1_PKPKS1_PKPS1_EviT_T9_T10_S9_lSB_S9_lSA_T11_S9_li
    .private_segment_fixed_size: 0
    .sgpr_count:     34
    .sgpr_spill_count: 0
    .symbol:         _ZL29rocblas_internal_gemmt_kernelIlLi16ELi32ELi8ELc78ELc84ELc85ELb0ELb0E19rocblas_complex_numIfES1_PKPKS1_PKPS1_EviT_T9_T10_S9_lSB_S9_lSA_T11_S9_li.kd
    .uniform_work_group_size: 1
    .uses_dynamic_stack: false
    .vgpr_count:     61
    .vgpr_spill_count: 0
    .wavefront_size: 32
    .workgroup_processor_mode: 1
  - .args:
      - .offset:         0
        .size:           4
        .value_kind:     by_value
      - .offset:         8
        .size:           8
        .value_kind:     by_value
      - .offset:         16
        .size:           8
        .value_kind:     by_value
      - .address_space:  global
        .offset:         24
        .size:           8
        .value_kind:     global_buffer
      - .offset:         32
        .size:           8
        .value_kind:     by_value
      - .offset:         40
        .size:           8
        .value_kind:     by_value
      - .address_space:  global
        .offset:         48
        .size:           8
        .value_kind:     global_buffer
      - .offset:         56
        .size:           8
        .value_kind:     by_value
      - .offset:         64
        .size:           8
        .value_kind:     by_value
      - .offset:         72
        .size:           8
        .value_kind:     by_value
      - .address_space:  global
        .offset:         80
        .size:           8
        .value_kind:     global_buffer
      - .offset:         88
        .size:           8
        .value_kind:     by_value
      - .offset:         96
        .size:           8
        .value_kind:     by_value
      - .offset:         104
        .size:           4
        .value_kind:     by_value
    .group_segment_fixed_size: 4096
    .kernarg_segment_align: 8
    .kernarg_segment_size: 108
    .language:       OpenCL C
    .language_version:
      - 2
      - 0
    .max_flat_workgroup_size: 256
    .name:           _ZL29rocblas_internal_gemmt_kernelIlLi16ELi32ELi8ELc78ELc67ELc85ELb0ELb1E19rocblas_complex_numIfES1_PKPKS1_PKPS1_EviT_T9_T10_S9_lSB_S9_lSA_T11_S9_li
    .private_segment_fixed_size: 0
    .sgpr_count:     34
    .sgpr_spill_count: 0
    .symbol:         _ZL29rocblas_internal_gemmt_kernelIlLi16ELi32ELi8ELc78ELc67ELc85ELb0ELb1E19rocblas_complex_numIfES1_PKPKS1_PKPS1_EviT_T9_T10_S9_lSB_S9_lSA_T11_S9_li.kd
    .uniform_work_group_size: 1
    .uses_dynamic_stack: false
    .vgpr_count:     61
    .vgpr_spill_count: 0
    .wavefront_size: 32
    .workgroup_processor_mode: 1
  - .args:
      - .offset:         0
        .size:           4
        .value_kind:     by_value
      - .offset:         8
        .size:           8
        .value_kind:     by_value
      - .offset:         16
        .size:           8
        .value_kind:     by_value
      - .address_space:  global
        .offset:         24
        .size:           8
        .value_kind:     global_buffer
      - .offset:         32
        .size:           8
        .value_kind:     by_value
      - .offset:         40
        .size:           8
        .value_kind:     by_value
      - .address_space:  global
        .offset:         48
        .size:           8
        .value_kind:     global_buffer
      - .offset:         56
        .size:           8
        .value_kind:     by_value
      - .offset:         64
        .size:           8
        .value_kind:     by_value
      - .offset:         72
        .size:           8
        .value_kind:     by_value
      - .address_space:  global
        .offset:         80
        .size:           8
        .value_kind:     global_buffer
      - .offset:         88
        .size:           8
        .value_kind:     by_value
      - .offset:         96
        .size:           8
        .value_kind:     by_value
      - .offset:         104
        .size:           4
        .value_kind:     by_value
    .group_segment_fixed_size: 4096
    .kernarg_segment_align: 8
    .kernarg_segment_size: 108
    .language:       OpenCL C
    .language_version:
      - 2
      - 0
    .max_flat_workgroup_size: 256
    .name:           _ZL29rocblas_internal_gemmt_kernelIlLi16ELi32ELi8ELc84ELc78ELc85ELb0ELb0E19rocblas_complex_numIfES1_PKPKS1_PKPS1_EviT_T9_T10_S9_lSB_S9_lSA_T11_S9_li
    .private_segment_fixed_size: 0
    .sgpr_count:     34
    .sgpr_spill_count: 0
    .symbol:         _ZL29rocblas_internal_gemmt_kernelIlLi16ELi32ELi8ELc84ELc78ELc85ELb0ELb0E19rocblas_complex_numIfES1_PKPKS1_PKPS1_EviT_T9_T10_S9_lSB_S9_lSA_T11_S9_li.kd
    .uniform_work_group_size: 1
    .uses_dynamic_stack: false
    .vgpr_count:     61
    .vgpr_spill_count: 0
    .wavefront_size: 32
    .workgroup_processor_mode: 1
  - .args:
      - .offset:         0
        .size:           4
        .value_kind:     by_value
      - .offset:         8
        .size:           8
        .value_kind:     by_value
      - .offset:         16
        .size:           8
        .value_kind:     by_value
      - .address_space:  global
        .offset:         24
        .size:           8
        .value_kind:     global_buffer
      - .offset:         32
        .size:           8
        .value_kind:     by_value
      - .offset:         40
        .size:           8
        .value_kind:     by_value
      - .address_space:  global
        .offset:         48
        .size:           8
        .value_kind:     global_buffer
      - .offset:         56
        .size:           8
        .value_kind:     by_value
      - .offset:         64
        .size:           8
        .value_kind:     by_value
      - .offset:         72
        .size:           8
        .value_kind:     by_value
      - .address_space:  global
        .offset:         80
        .size:           8
        .value_kind:     global_buffer
      - .offset:         88
        .size:           8
        .value_kind:     by_value
      - .offset:         96
        .size:           8
        .value_kind:     by_value
      - .offset:         104
        .size:           4
        .value_kind:     by_value
    .group_segment_fixed_size: 4096
    .kernarg_segment_align: 8
    .kernarg_segment_size: 108
    .language:       OpenCL C
    .language_version:
      - 2
      - 0
    .max_flat_workgroup_size: 256
    .name:           _ZL29rocblas_internal_gemmt_kernelIlLi16ELi32ELi8ELc84ELc84ELc85ELb0ELb0E19rocblas_complex_numIfES1_PKPKS1_PKPS1_EviT_T9_T10_S9_lSB_S9_lSA_T11_S9_li
    .private_segment_fixed_size: 0
    .sgpr_count:     34
    .sgpr_spill_count: 0
    .symbol:         _ZL29rocblas_internal_gemmt_kernelIlLi16ELi32ELi8ELc84ELc84ELc85ELb0ELb0E19rocblas_complex_numIfES1_PKPKS1_PKPS1_EviT_T9_T10_S9_lSB_S9_lSA_T11_S9_li.kd
    .uniform_work_group_size: 1
    .uses_dynamic_stack: false
    .vgpr_count:     61
    .vgpr_spill_count: 0
    .wavefront_size: 32
    .workgroup_processor_mode: 1
  - .args:
      - .offset:         0
        .size:           4
        .value_kind:     by_value
      - .offset:         8
        .size:           8
        .value_kind:     by_value
      - .offset:         16
        .size:           8
        .value_kind:     by_value
      - .address_space:  global
        .offset:         24
        .size:           8
        .value_kind:     global_buffer
      - .offset:         32
        .size:           8
        .value_kind:     by_value
      - .offset:         40
        .size:           8
        .value_kind:     by_value
      - .address_space:  global
        .offset:         48
        .size:           8
        .value_kind:     global_buffer
      - .offset:         56
        .size:           8
        .value_kind:     by_value
      - .offset:         64
        .size:           8
        .value_kind:     by_value
      - .offset:         72
        .size:           8
        .value_kind:     by_value
      - .address_space:  global
        .offset:         80
        .size:           8
        .value_kind:     global_buffer
      - .offset:         88
        .size:           8
        .value_kind:     by_value
      - .offset:         96
        .size:           8
        .value_kind:     by_value
      - .offset:         104
        .size:           4
        .value_kind:     by_value
    .group_segment_fixed_size: 4096
    .kernarg_segment_align: 8
    .kernarg_segment_size: 108
    .language:       OpenCL C
    .language_version:
      - 2
      - 0
    .max_flat_workgroup_size: 256
    .name:           _ZL29rocblas_internal_gemmt_kernelIlLi16ELi32ELi8ELc84ELc67ELc85ELb0ELb1E19rocblas_complex_numIfES1_PKPKS1_PKPS1_EviT_T9_T10_S9_lSB_S9_lSA_T11_S9_li
    .private_segment_fixed_size: 0
    .sgpr_count:     34
    .sgpr_spill_count: 0
    .symbol:         _ZL29rocblas_internal_gemmt_kernelIlLi16ELi32ELi8ELc84ELc67ELc85ELb0ELb1E19rocblas_complex_numIfES1_PKPKS1_PKPS1_EviT_T9_T10_S9_lSB_S9_lSA_T11_S9_li.kd
    .uniform_work_group_size: 1
    .uses_dynamic_stack: false
    .vgpr_count:     61
    .vgpr_spill_count: 0
    .wavefront_size: 32
    .workgroup_processor_mode: 1
  - .args:
      - .offset:         0
        .size:           4
        .value_kind:     by_value
      - .offset:         8
        .size:           8
        .value_kind:     by_value
      - .offset:         16
        .size:           8
        .value_kind:     by_value
      - .address_space:  global
        .offset:         24
        .size:           8
        .value_kind:     global_buffer
      - .offset:         32
        .size:           8
        .value_kind:     by_value
      - .offset:         40
        .size:           8
        .value_kind:     by_value
      - .address_space:  global
        .offset:         48
        .size:           8
        .value_kind:     global_buffer
      - .offset:         56
        .size:           8
        .value_kind:     by_value
      - .offset:         64
        .size:           8
        .value_kind:     by_value
      - .offset:         72
        .size:           8
        .value_kind:     by_value
      - .address_space:  global
        .offset:         80
        .size:           8
        .value_kind:     global_buffer
      - .offset:         88
        .size:           8
        .value_kind:     by_value
      - .offset:         96
        .size:           8
        .value_kind:     by_value
      - .offset:         104
        .size:           4
        .value_kind:     by_value
    .group_segment_fixed_size: 4096
    .kernarg_segment_align: 8
    .kernarg_segment_size: 108
    .language:       OpenCL C
    .language_version:
      - 2
      - 0
    .max_flat_workgroup_size: 256
    .name:           _ZL29rocblas_internal_gemmt_kernelIlLi16ELi32ELi8ELc67ELc78ELc85ELb1ELb0E19rocblas_complex_numIfES1_PKPKS1_PKPS1_EviT_T9_T10_S9_lSB_S9_lSA_T11_S9_li
    .private_segment_fixed_size: 0
    .sgpr_count:     34
    .sgpr_spill_count: 0
    .symbol:         _ZL29rocblas_internal_gemmt_kernelIlLi16ELi32ELi8ELc67ELc78ELc85ELb1ELb0E19rocblas_complex_numIfES1_PKPKS1_PKPS1_EviT_T9_T10_S9_lSB_S9_lSA_T11_S9_li.kd
    .uniform_work_group_size: 1
    .uses_dynamic_stack: false
    .vgpr_count:     61
    .vgpr_spill_count: 0
    .wavefront_size: 32
    .workgroup_processor_mode: 1
  - .args:
      - .offset:         0
        .size:           4
        .value_kind:     by_value
      - .offset:         8
        .size:           8
        .value_kind:     by_value
      - .offset:         16
        .size:           8
        .value_kind:     by_value
      - .address_space:  global
        .offset:         24
        .size:           8
        .value_kind:     global_buffer
      - .offset:         32
        .size:           8
        .value_kind:     by_value
      - .offset:         40
        .size:           8
        .value_kind:     by_value
      - .address_space:  global
        .offset:         48
        .size:           8
        .value_kind:     global_buffer
      - .offset:         56
        .size:           8
        .value_kind:     by_value
      - .offset:         64
        .size:           8
        .value_kind:     by_value
      - .offset:         72
        .size:           8
        .value_kind:     by_value
      - .address_space:  global
        .offset:         80
        .size:           8
        .value_kind:     global_buffer
      - .offset:         88
        .size:           8
        .value_kind:     by_value
      - .offset:         96
        .size:           8
        .value_kind:     by_value
      - .offset:         104
        .size:           4
        .value_kind:     by_value
    .group_segment_fixed_size: 4096
    .kernarg_segment_align: 8
    .kernarg_segment_size: 108
    .language:       OpenCL C
    .language_version:
      - 2
      - 0
    .max_flat_workgroup_size: 256
    .name:           _ZL29rocblas_internal_gemmt_kernelIlLi16ELi32ELi8ELc67ELc84ELc85ELb1ELb0E19rocblas_complex_numIfES1_PKPKS1_PKPS1_EviT_T9_T10_S9_lSB_S9_lSA_T11_S9_li
    .private_segment_fixed_size: 0
    .sgpr_count:     34
    .sgpr_spill_count: 0
    .symbol:         _ZL29rocblas_internal_gemmt_kernelIlLi16ELi32ELi8ELc67ELc84ELc85ELb1ELb0E19rocblas_complex_numIfES1_PKPKS1_PKPS1_EviT_T9_T10_S9_lSB_S9_lSA_T11_S9_li.kd
    .uniform_work_group_size: 1
    .uses_dynamic_stack: false
    .vgpr_count:     61
    .vgpr_spill_count: 0
    .wavefront_size: 32
    .workgroup_processor_mode: 1
  - .args:
      - .offset:         0
        .size:           4
        .value_kind:     by_value
      - .offset:         8
        .size:           8
        .value_kind:     by_value
      - .offset:         16
        .size:           8
        .value_kind:     by_value
      - .address_space:  global
        .offset:         24
        .size:           8
        .value_kind:     global_buffer
      - .offset:         32
        .size:           8
        .value_kind:     by_value
      - .offset:         40
        .size:           8
        .value_kind:     by_value
      - .address_space:  global
        .offset:         48
        .size:           8
        .value_kind:     global_buffer
      - .offset:         56
        .size:           8
        .value_kind:     by_value
      - .offset:         64
        .size:           8
        .value_kind:     by_value
      - .offset:         72
        .size:           8
        .value_kind:     by_value
      - .address_space:  global
        .offset:         80
        .size:           8
        .value_kind:     global_buffer
      - .offset:         88
        .size:           8
        .value_kind:     by_value
      - .offset:         96
        .size:           8
        .value_kind:     by_value
      - .offset:         104
        .size:           4
        .value_kind:     by_value
    .group_segment_fixed_size: 4096
    .kernarg_segment_align: 8
    .kernarg_segment_size: 108
    .language:       OpenCL C
    .language_version:
      - 2
      - 0
    .max_flat_workgroup_size: 256
    .name:           _ZL29rocblas_internal_gemmt_kernelIlLi16ELi32ELi8ELc67ELc67ELc85ELb1ELb1E19rocblas_complex_numIfES1_PKPKS1_PKPS1_EviT_T9_T10_S9_lSB_S9_lSA_T11_S9_li
    .private_segment_fixed_size: 0
    .sgpr_count:     34
    .sgpr_spill_count: 0
    .symbol:         _ZL29rocblas_internal_gemmt_kernelIlLi16ELi32ELi8ELc67ELc67ELc85ELb1ELb1E19rocblas_complex_numIfES1_PKPKS1_PKPS1_EviT_T9_T10_S9_lSB_S9_lSA_T11_S9_li.kd
    .uniform_work_group_size: 1
    .uses_dynamic_stack: false
    .vgpr_count:     61
    .vgpr_spill_count: 0
    .wavefront_size: 32
    .workgroup_processor_mode: 1
  - .args:
      - .offset:         0
        .size:           4
        .value_kind:     by_value
      - .offset:         8
        .size:           8
        .value_kind:     by_value
      - .offset:         16
        .size:           8
        .value_kind:     by_value
      - .address_space:  global
        .offset:         24
        .size:           8
        .value_kind:     global_buffer
      - .offset:         32
        .size:           8
        .value_kind:     by_value
      - .offset:         40
        .size:           8
        .value_kind:     by_value
      - .address_space:  global
        .offset:         48
        .size:           8
        .value_kind:     global_buffer
      - .offset:         56
        .size:           8
        .value_kind:     by_value
      - .offset:         64
        .size:           8
        .value_kind:     by_value
      - .offset:         72
        .size:           8
        .value_kind:     by_value
      - .address_space:  global
        .offset:         80
        .size:           8
        .value_kind:     global_buffer
      - .offset:         88
        .size:           8
        .value_kind:     by_value
      - .offset:         96
        .size:           8
        .value_kind:     by_value
      - .offset:         104
        .size:           4
        .value_kind:     by_value
    .group_segment_fixed_size: 4096
    .kernarg_segment_align: 8
    .kernarg_segment_size: 108
    .language:       OpenCL C
    .language_version:
      - 2
      - 0
    .max_flat_workgroup_size: 256
    .name:           _ZL29rocblas_internal_gemmt_kernelIlLi16ELi32ELi8ELc78ELc78ELc76ELb0ELb0E19rocblas_complex_numIfES1_PKPKS1_PKPS1_EviT_T9_T10_S9_lSB_S9_lSA_T11_S9_li
    .private_segment_fixed_size: 0
    .sgpr_count:     34
    .sgpr_spill_count: 0
    .symbol:         _ZL29rocblas_internal_gemmt_kernelIlLi16ELi32ELi8ELc78ELc78ELc76ELb0ELb0E19rocblas_complex_numIfES1_PKPKS1_PKPS1_EviT_T9_T10_S9_lSB_S9_lSA_T11_S9_li.kd
    .uniform_work_group_size: 1
    .uses_dynamic_stack: false
    .vgpr_count:     61
    .vgpr_spill_count: 0
    .wavefront_size: 32
    .workgroup_processor_mode: 1
  - .args:
      - .offset:         0
        .size:           4
        .value_kind:     by_value
      - .offset:         8
        .size:           8
        .value_kind:     by_value
      - .offset:         16
        .size:           8
        .value_kind:     by_value
      - .address_space:  global
        .offset:         24
        .size:           8
        .value_kind:     global_buffer
      - .offset:         32
        .size:           8
        .value_kind:     by_value
      - .offset:         40
        .size:           8
        .value_kind:     by_value
      - .address_space:  global
        .offset:         48
        .size:           8
        .value_kind:     global_buffer
      - .offset:         56
        .size:           8
        .value_kind:     by_value
      - .offset:         64
        .size:           8
        .value_kind:     by_value
      - .offset:         72
        .size:           8
        .value_kind:     by_value
      - .address_space:  global
        .offset:         80
        .size:           8
        .value_kind:     global_buffer
      - .offset:         88
        .size:           8
        .value_kind:     by_value
      - .offset:         96
        .size:           8
        .value_kind:     by_value
      - .offset:         104
        .size:           4
        .value_kind:     by_value
    .group_segment_fixed_size: 4096
    .kernarg_segment_align: 8
    .kernarg_segment_size: 108
    .language:       OpenCL C
    .language_version:
      - 2
      - 0
    .max_flat_workgroup_size: 256
    .name:           _ZL29rocblas_internal_gemmt_kernelIlLi16ELi32ELi8ELc78ELc84ELc76ELb0ELb0E19rocblas_complex_numIfES1_PKPKS1_PKPS1_EviT_T9_T10_S9_lSB_S9_lSA_T11_S9_li
    .private_segment_fixed_size: 0
    .sgpr_count:     32
    .sgpr_spill_count: 0
    .symbol:         _ZL29rocblas_internal_gemmt_kernelIlLi16ELi32ELi8ELc78ELc84ELc76ELb0ELb0E19rocblas_complex_numIfES1_PKPKS1_PKPS1_EviT_T9_T10_S9_lSB_S9_lSA_T11_S9_li.kd
    .uniform_work_group_size: 1
    .uses_dynamic_stack: false
    .vgpr_count:     61
    .vgpr_spill_count: 0
    .wavefront_size: 32
    .workgroup_processor_mode: 1
  - .args:
      - .offset:         0
        .size:           4
        .value_kind:     by_value
      - .offset:         8
        .size:           8
        .value_kind:     by_value
      - .offset:         16
        .size:           8
        .value_kind:     by_value
      - .address_space:  global
        .offset:         24
        .size:           8
        .value_kind:     global_buffer
      - .offset:         32
        .size:           8
        .value_kind:     by_value
      - .offset:         40
        .size:           8
        .value_kind:     by_value
      - .address_space:  global
        .offset:         48
        .size:           8
        .value_kind:     global_buffer
      - .offset:         56
        .size:           8
        .value_kind:     by_value
      - .offset:         64
        .size:           8
        .value_kind:     by_value
      - .offset:         72
        .size:           8
        .value_kind:     by_value
      - .address_space:  global
        .offset:         80
        .size:           8
        .value_kind:     global_buffer
      - .offset:         88
        .size:           8
        .value_kind:     by_value
      - .offset:         96
        .size:           8
        .value_kind:     by_value
      - .offset:         104
        .size:           4
        .value_kind:     by_value
    .group_segment_fixed_size: 4096
    .kernarg_segment_align: 8
    .kernarg_segment_size: 108
    .language:       OpenCL C
    .language_version:
      - 2
      - 0
    .max_flat_workgroup_size: 256
    .name:           _ZL29rocblas_internal_gemmt_kernelIlLi16ELi32ELi8ELc78ELc67ELc76ELb0ELb1E19rocblas_complex_numIfES1_PKPKS1_PKPS1_EviT_T9_T10_S9_lSB_S9_lSA_T11_S9_li
    .private_segment_fixed_size: 0
    .sgpr_count:     32
    .sgpr_spill_count: 0
    .symbol:         _ZL29rocblas_internal_gemmt_kernelIlLi16ELi32ELi8ELc78ELc67ELc76ELb0ELb1E19rocblas_complex_numIfES1_PKPKS1_PKPS1_EviT_T9_T10_S9_lSB_S9_lSA_T11_S9_li.kd
    .uniform_work_group_size: 1
    .uses_dynamic_stack: false
    .vgpr_count:     61
    .vgpr_spill_count: 0
    .wavefront_size: 32
    .workgroup_processor_mode: 1
  - .args:
      - .offset:         0
        .size:           4
        .value_kind:     by_value
      - .offset:         8
        .size:           8
        .value_kind:     by_value
      - .offset:         16
        .size:           8
        .value_kind:     by_value
      - .address_space:  global
        .offset:         24
        .size:           8
        .value_kind:     global_buffer
      - .offset:         32
        .size:           8
        .value_kind:     by_value
      - .offset:         40
        .size:           8
        .value_kind:     by_value
      - .address_space:  global
        .offset:         48
        .size:           8
        .value_kind:     global_buffer
      - .offset:         56
        .size:           8
        .value_kind:     by_value
      - .offset:         64
        .size:           8
        .value_kind:     by_value
      - .offset:         72
        .size:           8
        .value_kind:     by_value
      - .address_space:  global
        .offset:         80
        .size:           8
        .value_kind:     global_buffer
      - .offset:         88
        .size:           8
        .value_kind:     by_value
      - .offset:         96
        .size:           8
        .value_kind:     by_value
      - .offset:         104
        .size:           4
        .value_kind:     by_value
    .group_segment_fixed_size: 4096
    .kernarg_segment_align: 8
    .kernarg_segment_size: 108
    .language:       OpenCL C
    .language_version:
      - 2
      - 0
    .max_flat_workgroup_size: 256
    .name:           _ZL29rocblas_internal_gemmt_kernelIlLi16ELi32ELi8ELc84ELc78ELc76ELb0ELb0E19rocblas_complex_numIfES1_PKPKS1_PKPS1_EviT_T9_T10_S9_lSB_S9_lSA_T11_S9_li
    .private_segment_fixed_size: 0
    .sgpr_count:     34
    .sgpr_spill_count: 0
    .symbol:         _ZL29rocblas_internal_gemmt_kernelIlLi16ELi32ELi8ELc84ELc78ELc76ELb0ELb0E19rocblas_complex_numIfES1_PKPKS1_PKPS1_EviT_T9_T10_S9_lSB_S9_lSA_T11_S9_li.kd
    .uniform_work_group_size: 1
    .uses_dynamic_stack: false
    .vgpr_count:     61
    .vgpr_spill_count: 0
    .wavefront_size: 32
    .workgroup_processor_mode: 1
  - .args:
      - .offset:         0
        .size:           4
        .value_kind:     by_value
      - .offset:         8
        .size:           8
        .value_kind:     by_value
      - .offset:         16
        .size:           8
        .value_kind:     by_value
      - .address_space:  global
        .offset:         24
        .size:           8
        .value_kind:     global_buffer
      - .offset:         32
        .size:           8
        .value_kind:     by_value
      - .offset:         40
        .size:           8
        .value_kind:     by_value
      - .address_space:  global
        .offset:         48
        .size:           8
        .value_kind:     global_buffer
      - .offset:         56
        .size:           8
        .value_kind:     by_value
      - .offset:         64
        .size:           8
        .value_kind:     by_value
      - .offset:         72
        .size:           8
        .value_kind:     by_value
      - .address_space:  global
        .offset:         80
        .size:           8
        .value_kind:     global_buffer
      - .offset:         88
        .size:           8
        .value_kind:     by_value
      - .offset:         96
        .size:           8
        .value_kind:     by_value
      - .offset:         104
        .size:           4
        .value_kind:     by_value
    .group_segment_fixed_size: 4096
    .kernarg_segment_align: 8
    .kernarg_segment_size: 108
    .language:       OpenCL C
    .language_version:
      - 2
      - 0
    .max_flat_workgroup_size: 256
    .name:           _ZL29rocblas_internal_gemmt_kernelIlLi16ELi32ELi8ELc84ELc84ELc76ELb0ELb0E19rocblas_complex_numIfES1_PKPKS1_PKPS1_EviT_T9_T10_S9_lSB_S9_lSA_T11_S9_li
    .private_segment_fixed_size: 0
    .sgpr_count:     32
    .sgpr_spill_count: 0
    .symbol:         _ZL29rocblas_internal_gemmt_kernelIlLi16ELi32ELi8ELc84ELc84ELc76ELb0ELb0E19rocblas_complex_numIfES1_PKPKS1_PKPS1_EviT_T9_T10_S9_lSB_S9_lSA_T11_S9_li.kd
    .uniform_work_group_size: 1
    .uses_dynamic_stack: false
    .vgpr_count:     61
    .vgpr_spill_count: 0
    .wavefront_size: 32
    .workgroup_processor_mode: 1
  - .args:
      - .offset:         0
        .size:           4
        .value_kind:     by_value
      - .offset:         8
        .size:           8
        .value_kind:     by_value
      - .offset:         16
        .size:           8
        .value_kind:     by_value
      - .address_space:  global
        .offset:         24
        .size:           8
        .value_kind:     global_buffer
      - .offset:         32
        .size:           8
        .value_kind:     by_value
      - .offset:         40
        .size:           8
        .value_kind:     by_value
      - .address_space:  global
        .offset:         48
        .size:           8
        .value_kind:     global_buffer
      - .offset:         56
        .size:           8
        .value_kind:     by_value
      - .offset:         64
        .size:           8
        .value_kind:     by_value
      - .offset:         72
        .size:           8
        .value_kind:     by_value
      - .address_space:  global
        .offset:         80
        .size:           8
        .value_kind:     global_buffer
      - .offset:         88
        .size:           8
        .value_kind:     by_value
      - .offset:         96
        .size:           8
        .value_kind:     by_value
      - .offset:         104
        .size:           4
        .value_kind:     by_value
    .group_segment_fixed_size: 4096
    .kernarg_segment_align: 8
    .kernarg_segment_size: 108
    .language:       OpenCL C
    .language_version:
      - 2
      - 0
    .max_flat_workgroup_size: 256
    .name:           _ZL29rocblas_internal_gemmt_kernelIlLi16ELi32ELi8ELc84ELc67ELc76ELb0ELb1E19rocblas_complex_numIfES1_PKPKS1_PKPS1_EviT_T9_T10_S9_lSB_S9_lSA_T11_S9_li
    .private_segment_fixed_size: 0
    .sgpr_count:     32
    .sgpr_spill_count: 0
    .symbol:         _ZL29rocblas_internal_gemmt_kernelIlLi16ELi32ELi8ELc84ELc67ELc76ELb0ELb1E19rocblas_complex_numIfES1_PKPKS1_PKPS1_EviT_T9_T10_S9_lSB_S9_lSA_T11_S9_li.kd
    .uniform_work_group_size: 1
    .uses_dynamic_stack: false
    .vgpr_count:     61
    .vgpr_spill_count: 0
    .wavefront_size: 32
    .workgroup_processor_mode: 1
  - .args:
      - .offset:         0
        .size:           4
        .value_kind:     by_value
      - .offset:         8
        .size:           8
        .value_kind:     by_value
      - .offset:         16
        .size:           8
        .value_kind:     by_value
      - .address_space:  global
        .offset:         24
        .size:           8
        .value_kind:     global_buffer
      - .offset:         32
        .size:           8
        .value_kind:     by_value
      - .offset:         40
        .size:           8
        .value_kind:     by_value
      - .address_space:  global
        .offset:         48
        .size:           8
        .value_kind:     global_buffer
      - .offset:         56
        .size:           8
        .value_kind:     by_value
      - .offset:         64
        .size:           8
        .value_kind:     by_value
      - .offset:         72
        .size:           8
        .value_kind:     by_value
      - .address_space:  global
        .offset:         80
        .size:           8
        .value_kind:     global_buffer
      - .offset:         88
        .size:           8
        .value_kind:     by_value
      - .offset:         96
        .size:           8
        .value_kind:     by_value
      - .offset:         104
        .size:           4
        .value_kind:     by_value
    .group_segment_fixed_size: 4096
    .kernarg_segment_align: 8
    .kernarg_segment_size: 108
    .language:       OpenCL C
    .language_version:
      - 2
      - 0
    .max_flat_workgroup_size: 256
    .name:           _ZL29rocblas_internal_gemmt_kernelIlLi16ELi32ELi8ELc67ELc78ELc76ELb1ELb0E19rocblas_complex_numIfES1_PKPKS1_PKPS1_EviT_T9_T10_S9_lSB_S9_lSA_T11_S9_li
    .private_segment_fixed_size: 0
    .sgpr_count:     34
    .sgpr_spill_count: 0
    .symbol:         _ZL29rocblas_internal_gemmt_kernelIlLi16ELi32ELi8ELc67ELc78ELc76ELb1ELb0E19rocblas_complex_numIfES1_PKPKS1_PKPS1_EviT_T9_T10_S9_lSB_S9_lSA_T11_S9_li.kd
    .uniform_work_group_size: 1
    .uses_dynamic_stack: false
    .vgpr_count:     61
    .vgpr_spill_count: 0
    .wavefront_size: 32
    .workgroup_processor_mode: 1
  - .args:
      - .offset:         0
        .size:           4
        .value_kind:     by_value
      - .offset:         8
        .size:           8
        .value_kind:     by_value
      - .offset:         16
        .size:           8
        .value_kind:     by_value
      - .address_space:  global
        .offset:         24
        .size:           8
        .value_kind:     global_buffer
      - .offset:         32
        .size:           8
        .value_kind:     by_value
      - .offset:         40
        .size:           8
        .value_kind:     by_value
      - .address_space:  global
        .offset:         48
        .size:           8
        .value_kind:     global_buffer
      - .offset:         56
        .size:           8
        .value_kind:     by_value
      - .offset:         64
        .size:           8
        .value_kind:     by_value
      - .offset:         72
        .size:           8
        .value_kind:     by_value
      - .address_space:  global
        .offset:         80
        .size:           8
        .value_kind:     global_buffer
      - .offset:         88
        .size:           8
        .value_kind:     by_value
      - .offset:         96
        .size:           8
        .value_kind:     by_value
      - .offset:         104
        .size:           4
        .value_kind:     by_value
    .group_segment_fixed_size: 4096
    .kernarg_segment_align: 8
    .kernarg_segment_size: 108
    .language:       OpenCL C
    .language_version:
      - 2
      - 0
    .max_flat_workgroup_size: 256
    .name:           _ZL29rocblas_internal_gemmt_kernelIlLi16ELi32ELi8ELc67ELc84ELc76ELb1ELb0E19rocblas_complex_numIfES1_PKPKS1_PKPS1_EviT_T9_T10_S9_lSB_S9_lSA_T11_S9_li
    .private_segment_fixed_size: 0
    .sgpr_count:     32
    .sgpr_spill_count: 0
    .symbol:         _ZL29rocblas_internal_gemmt_kernelIlLi16ELi32ELi8ELc67ELc84ELc76ELb1ELb0E19rocblas_complex_numIfES1_PKPKS1_PKPS1_EviT_T9_T10_S9_lSB_S9_lSA_T11_S9_li.kd
    .uniform_work_group_size: 1
    .uses_dynamic_stack: false
    .vgpr_count:     61
    .vgpr_spill_count: 0
    .wavefront_size: 32
    .workgroup_processor_mode: 1
  - .args:
      - .offset:         0
        .size:           4
        .value_kind:     by_value
      - .offset:         8
        .size:           8
        .value_kind:     by_value
      - .offset:         16
        .size:           8
        .value_kind:     by_value
      - .address_space:  global
        .offset:         24
        .size:           8
        .value_kind:     global_buffer
      - .offset:         32
        .size:           8
        .value_kind:     by_value
      - .offset:         40
        .size:           8
        .value_kind:     by_value
      - .address_space:  global
        .offset:         48
        .size:           8
        .value_kind:     global_buffer
      - .offset:         56
        .size:           8
        .value_kind:     by_value
      - .offset:         64
        .size:           8
        .value_kind:     by_value
      - .offset:         72
        .size:           8
        .value_kind:     by_value
      - .address_space:  global
        .offset:         80
        .size:           8
        .value_kind:     global_buffer
      - .offset:         88
        .size:           8
        .value_kind:     by_value
      - .offset:         96
        .size:           8
        .value_kind:     by_value
      - .offset:         104
        .size:           4
        .value_kind:     by_value
    .group_segment_fixed_size: 4096
    .kernarg_segment_align: 8
    .kernarg_segment_size: 108
    .language:       OpenCL C
    .language_version:
      - 2
      - 0
    .max_flat_workgroup_size: 256
    .name:           _ZL29rocblas_internal_gemmt_kernelIlLi16ELi32ELi8ELc67ELc67ELc76ELb1ELb1E19rocblas_complex_numIfES1_PKPKS1_PKPS1_EviT_T9_T10_S9_lSB_S9_lSA_T11_S9_li
    .private_segment_fixed_size: 0
    .sgpr_count:     32
    .sgpr_spill_count: 0
    .symbol:         _ZL29rocblas_internal_gemmt_kernelIlLi16ELi32ELi8ELc67ELc67ELc76ELb1ELb1E19rocblas_complex_numIfES1_PKPKS1_PKPS1_EviT_T9_T10_S9_lSB_S9_lSA_T11_S9_li.kd
    .uniform_work_group_size: 1
    .uses_dynamic_stack: false
    .vgpr_count:     61
    .vgpr_spill_count: 0
    .wavefront_size: 32
    .workgroup_processor_mode: 1
  - .args:
      - .offset:         0
        .size:           4
        .value_kind:     by_value
      - .offset:         8
        .size:           8
        .value_kind:     by_value
      - .address_space:  global
        .offset:         16
        .size:           8
        .value_kind:     global_buffer
      - .address_space:  global
        .offset:         24
        .size:           8
        .value_kind:     global_buffer
      - .offset:         32
        .size:           8
        .value_kind:     by_value
      - .offset:         40
        .size:           8
        .value_kind:     by_value
      - .address_space:  global
        .offset:         48
        .size:           8
        .value_kind:     global_buffer
      - .offset:         56
        .size:           8
        .value_kind:     by_value
      - .offset:         64
        .size:           8
        .value_kind:     by_value
      - .address_space:  global
        .offset:         72
        .size:           8
        .value_kind:     global_buffer
      - .address_space:  global
        .offset:         80
        .size:           8
        .value_kind:     global_buffer
      - .offset:         88
        .size:           8
        .value_kind:     by_value
      - .offset:         96
        .size:           8
        .value_kind:     by_value
      - .offset:         104
        .size:           4
        .value_kind:     by_value
    .group_segment_fixed_size: 8192
    .kernarg_segment_align: 8
    .kernarg_segment_size: 108
    .language:       OpenCL C
    .language_version:
      - 2
      - 0
    .max_flat_workgroup_size: 256
    .name:           _ZL29rocblas_internal_gemmt_kernelIlLi16ELi32ELi8ELc78ELc78ELc85ELb0ELb0E19rocblas_complex_numIdEPKS1_PKS3_PKPS1_EviT_T9_T10_S9_lSB_S9_lSA_T11_S9_li
    .private_segment_fixed_size: 0
    .sgpr_count:     50
    .sgpr_spill_count: 0
    .symbol:         _ZL29rocblas_internal_gemmt_kernelIlLi16ELi32ELi8ELc78ELc78ELc85ELb0ELb0E19rocblas_complex_numIdEPKS1_PKS3_PKPS1_EviT_T9_T10_S9_lSB_S9_lSA_T11_S9_li.kd
    .uniform_work_group_size: 1
    .uses_dynamic_stack: false
    .vgpr_count:     142
    .vgpr_spill_count: 0
    .wavefront_size: 32
    .workgroup_processor_mode: 1
  - .args:
      - .offset:         0
        .size:           4
        .value_kind:     by_value
      - .offset:         8
        .size:           8
        .value_kind:     by_value
      - .address_space:  global
        .offset:         16
        .size:           8
        .value_kind:     global_buffer
      - .address_space:  global
        .offset:         24
        .size:           8
        .value_kind:     global_buffer
      - .offset:         32
        .size:           8
        .value_kind:     by_value
      - .offset:         40
        .size:           8
        .value_kind:     by_value
      - .address_space:  global
        .offset:         48
        .size:           8
        .value_kind:     global_buffer
      - .offset:         56
        .size:           8
        .value_kind:     by_value
      - .offset:         64
        .size:           8
        .value_kind:     by_value
      - .address_space:  global
        .offset:         72
        .size:           8
        .value_kind:     global_buffer
      - .address_space:  global
        .offset:         80
        .size:           8
        .value_kind:     global_buffer
      - .offset:         88
        .size:           8
        .value_kind:     by_value
      - .offset:         96
        .size:           8
        .value_kind:     by_value
      - .offset:         104
        .size:           4
        .value_kind:     by_value
    .group_segment_fixed_size: 8192
    .kernarg_segment_align: 8
    .kernarg_segment_size: 108
    .language:       OpenCL C
    .language_version:
      - 2
      - 0
    .max_flat_workgroup_size: 256
    .name:           _ZL29rocblas_internal_gemmt_kernelIlLi16ELi32ELi8ELc78ELc84ELc85ELb0ELb0E19rocblas_complex_numIdEPKS1_PKS3_PKPS1_EviT_T9_T10_S9_lSB_S9_lSA_T11_S9_li
    .private_segment_fixed_size: 0
    .sgpr_count:     50
    .sgpr_spill_count: 0
    .symbol:         _ZL29rocblas_internal_gemmt_kernelIlLi16ELi32ELi8ELc78ELc84ELc85ELb0ELb0E19rocblas_complex_numIdEPKS1_PKS3_PKPS1_EviT_T9_T10_S9_lSB_S9_lSA_T11_S9_li.kd
    .uniform_work_group_size: 1
    .uses_dynamic_stack: false
    .vgpr_count:     142
    .vgpr_spill_count: 0
    .wavefront_size: 32
    .workgroup_processor_mode: 1
  - .args:
      - .offset:         0
        .size:           4
        .value_kind:     by_value
      - .offset:         8
        .size:           8
        .value_kind:     by_value
      - .address_space:  global
        .offset:         16
        .size:           8
        .value_kind:     global_buffer
      - .address_space:  global
        .offset:         24
        .size:           8
        .value_kind:     global_buffer
      - .offset:         32
        .size:           8
        .value_kind:     by_value
      - .offset:         40
        .size:           8
        .value_kind:     by_value
      - .address_space:  global
        .offset:         48
        .size:           8
        .value_kind:     global_buffer
      - .offset:         56
        .size:           8
        .value_kind:     by_value
      - .offset:         64
        .size:           8
        .value_kind:     by_value
      - .address_space:  global
        .offset:         72
        .size:           8
        .value_kind:     global_buffer
      - .address_space:  global
        .offset:         80
        .size:           8
        .value_kind:     global_buffer
      - .offset:         88
        .size:           8
        .value_kind:     by_value
      - .offset:         96
        .size:           8
        .value_kind:     by_value
      - .offset:         104
        .size:           4
        .value_kind:     by_value
    .group_segment_fixed_size: 8192
    .kernarg_segment_align: 8
    .kernarg_segment_size: 108
    .language:       OpenCL C
    .language_version:
      - 2
      - 0
    .max_flat_workgroup_size: 256
    .name:           _ZL29rocblas_internal_gemmt_kernelIlLi16ELi32ELi8ELc78ELc67ELc85ELb0ELb1E19rocblas_complex_numIdEPKS1_PKS3_PKPS1_EviT_T9_T10_S9_lSB_S9_lSA_T11_S9_li
    .private_segment_fixed_size: 0
    .sgpr_count:     50
    .sgpr_spill_count: 0
    .symbol:         _ZL29rocblas_internal_gemmt_kernelIlLi16ELi32ELi8ELc78ELc67ELc85ELb0ELb1E19rocblas_complex_numIdEPKS1_PKS3_PKPS1_EviT_T9_T10_S9_lSB_S9_lSA_T11_S9_li.kd
    .uniform_work_group_size: 1
    .uses_dynamic_stack: false
    .vgpr_count:     120
    .vgpr_spill_count: 0
    .wavefront_size: 32
    .workgroup_processor_mode: 1
  - .args:
      - .offset:         0
        .size:           4
        .value_kind:     by_value
      - .offset:         8
        .size:           8
        .value_kind:     by_value
      - .address_space:  global
        .offset:         16
        .size:           8
        .value_kind:     global_buffer
      - .address_space:  global
        .offset:         24
        .size:           8
        .value_kind:     global_buffer
      - .offset:         32
        .size:           8
        .value_kind:     by_value
      - .offset:         40
        .size:           8
        .value_kind:     by_value
      - .address_space:  global
        .offset:         48
        .size:           8
        .value_kind:     global_buffer
      - .offset:         56
        .size:           8
        .value_kind:     by_value
      - .offset:         64
        .size:           8
        .value_kind:     by_value
      - .address_space:  global
        .offset:         72
        .size:           8
        .value_kind:     global_buffer
      - .address_space:  global
        .offset:         80
        .size:           8
        .value_kind:     global_buffer
      - .offset:         88
        .size:           8
        .value_kind:     by_value
      - .offset:         96
        .size:           8
        .value_kind:     by_value
      - .offset:         104
        .size:           4
        .value_kind:     by_value
    .group_segment_fixed_size: 8192
    .kernarg_segment_align: 8
    .kernarg_segment_size: 108
    .language:       OpenCL C
    .language_version:
      - 2
      - 0
    .max_flat_workgroup_size: 256
    .name:           _ZL29rocblas_internal_gemmt_kernelIlLi16ELi32ELi8ELc84ELc78ELc85ELb0ELb0E19rocblas_complex_numIdEPKS1_PKS3_PKPS1_EviT_T9_T10_S9_lSB_S9_lSA_T11_S9_li
    .private_segment_fixed_size: 0
    .sgpr_count:     50
    .sgpr_spill_count: 0
    .symbol:         _ZL29rocblas_internal_gemmt_kernelIlLi16ELi32ELi8ELc84ELc78ELc85ELb0ELb0E19rocblas_complex_numIdEPKS1_PKS3_PKPS1_EviT_T9_T10_S9_lSB_S9_lSA_T11_S9_li.kd
    .uniform_work_group_size: 1
    .uses_dynamic_stack: false
    .vgpr_count:     142
    .vgpr_spill_count: 0
    .wavefront_size: 32
    .workgroup_processor_mode: 1
  - .args:
      - .offset:         0
        .size:           4
        .value_kind:     by_value
      - .offset:         8
        .size:           8
        .value_kind:     by_value
      - .address_space:  global
        .offset:         16
        .size:           8
        .value_kind:     global_buffer
      - .address_space:  global
        .offset:         24
        .size:           8
        .value_kind:     global_buffer
      - .offset:         32
        .size:           8
        .value_kind:     by_value
      - .offset:         40
        .size:           8
        .value_kind:     by_value
      - .address_space:  global
        .offset:         48
        .size:           8
        .value_kind:     global_buffer
      - .offset:         56
        .size:           8
        .value_kind:     by_value
      - .offset:         64
        .size:           8
        .value_kind:     by_value
      - .address_space:  global
        .offset:         72
        .size:           8
        .value_kind:     global_buffer
      - .address_space:  global
        .offset:         80
        .size:           8
        .value_kind:     global_buffer
      - .offset:         88
        .size:           8
        .value_kind:     by_value
      - .offset:         96
        .size:           8
        .value_kind:     by_value
      - .offset:         104
        .size:           4
        .value_kind:     by_value
    .group_segment_fixed_size: 8192
    .kernarg_segment_align: 8
    .kernarg_segment_size: 108
    .language:       OpenCL C
    .language_version:
      - 2
      - 0
    .max_flat_workgroup_size: 256
    .name:           _ZL29rocblas_internal_gemmt_kernelIlLi16ELi32ELi8ELc84ELc84ELc85ELb0ELb0E19rocblas_complex_numIdEPKS1_PKS3_PKPS1_EviT_T9_T10_S9_lSB_S9_lSA_T11_S9_li
    .private_segment_fixed_size: 0
    .sgpr_count:     50
    .sgpr_spill_count: 0
    .symbol:         _ZL29rocblas_internal_gemmt_kernelIlLi16ELi32ELi8ELc84ELc84ELc85ELb0ELb0E19rocblas_complex_numIdEPKS1_PKS3_PKPS1_EviT_T9_T10_S9_lSB_S9_lSA_T11_S9_li.kd
    .uniform_work_group_size: 1
    .uses_dynamic_stack: false
    .vgpr_count:     142
    .vgpr_spill_count: 0
    .wavefront_size: 32
    .workgroup_processor_mode: 1
  - .args:
      - .offset:         0
        .size:           4
        .value_kind:     by_value
      - .offset:         8
        .size:           8
        .value_kind:     by_value
      - .address_space:  global
        .offset:         16
        .size:           8
        .value_kind:     global_buffer
      - .address_space:  global
        .offset:         24
        .size:           8
        .value_kind:     global_buffer
      - .offset:         32
        .size:           8
        .value_kind:     by_value
      - .offset:         40
        .size:           8
        .value_kind:     by_value
      - .address_space:  global
        .offset:         48
        .size:           8
        .value_kind:     global_buffer
      - .offset:         56
        .size:           8
        .value_kind:     by_value
      - .offset:         64
        .size:           8
        .value_kind:     by_value
      - .address_space:  global
        .offset:         72
        .size:           8
        .value_kind:     global_buffer
      - .address_space:  global
        .offset:         80
        .size:           8
        .value_kind:     global_buffer
      - .offset:         88
        .size:           8
        .value_kind:     by_value
      - .offset:         96
        .size:           8
        .value_kind:     by_value
      - .offset:         104
        .size:           4
        .value_kind:     by_value
    .group_segment_fixed_size: 8192
    .kernarg_segment_align: 8
    .kernarg_segment_size: 108
    .language:       OpenCL C
    .language_version:
      - 2
      - 0
    .max_flat_workgroup_size: 256
    .name:           _ZL29rocblas_internal_gemmt_kernelIlLi16ELi32ELi8ELc84ELc67ELc85ELb0ELb1E19rocblas_complex_numIdEPKS1_PKS3_PKPS1_EviT_T9_T10_S9_lSB_S9_lSA_T11_S9_li
    .private_segment_fixed_size: 0
    .sgpr_count:     50
    .sgpr_spill_count: 0
    .symbol:         _ZL29rocblas_internal_gemmt_kernelIlLi16ELi32ELi8ELc84ELc67ELc85ELb0ELb1E19rocblas_complex_numIdEPKS1_PKS3_PKPS1_EviT_T9_T10_S9_lSB_S9_lSA_T11_S9_li.kd
    .uniform_work_group_size: 1
    .uses_dynamic_stack: false
    .vgpr_count:     120
    .vgpr_spill_count: 0
    .wavefront_size: 32
    .workgroup_processor_mode: 1
  - .args:
      - .offset:         0
        .size:           4
        .value_kind:     by_value
      - .offset:         8
        .size:           8
        .value_kind:     by_value
      - .address_space:  global
        .offset:         16
        .size:           8
        .value_kind:     global_buffer
      - .address_space:  global
        .offset:         24
        .size:           8
        .value_kind:     global_buffer
      - .offset:         32
        .size:           8
        .value_kind:     by_value
      - .offset:         40
        .size:           8
        .value_kind:     by_value
      - .address_space:  global
        .offset:         48
        .size:           8
        .value_kind:     global_buffer
      - .offset:         56
        .size:           8
        .value_kind:     by_value
      - .offset:         64
        .size:           8
        .value_kind:     by_value
      - .address_space:  global
        .offset:         72
        .size:           8
        .value_kind:     global_buffer
      - .address_space:  global
        .offset:         80
        .size:           8
        .value_kind:     global_buffer
      - .offset:         88
        .size:           8
        .value_kind:     by_value
      - .offset:         96
        .size:           8
        .value_kind:     by_value
      - .offset:         104
        .size:           4
        .value_kind:     by_value
    .group_segment_fixed_size: 8192
    .kernarg_segment_align: 8
    .kernarg_segment_size: 108
    .language:       OpenCL C
    .language_version:
      - 2
      - 0
    .max_flat_workgroup_size: 256
    .name:           _ZL29rocblas_internal_gemmt_kernelIlLi16ELi32ELi8ELc67ELc78ELc85ELb1ELb0E19rocblas_complex_numIdEPKS1_PKS3_PKPS1_EviT_T9_T10_S9_lSB_S9_lSA_T11_S9_li
    .private_segment_fixed_size: 0
    .sgpr_count:     50
    .sgpr_spill_count: 0
    .symbol:         _ZL29rocblas_internal_gemmt_kernelIlLi16ELi32ELi8ELc67ELc78ELc85ELb1ELb0E19rocblas_complex_numIdEPKS1_PKS3_PKPS1_EviT_T9_T10_S9_lSB_S9_lSA_T11_S9_li.kd
    .uniform_work_group_size: 1
    .uses_dynamic_stack: false
    .vgpr_count:     126
    .vgpr_spill_count: 0
    .wavefront_size: 32
    .workgroup_processor_mode: 1
  - .args:
      - .offset:         0
        .size:           4
        .value_kind:     by_value
      - .offset:         8
        .size:           8
        .value_kind:     by_value
      - .address_space:  global
        .offset:         16
        .size:           8
        .value_kind:     global_buffer
      - .address_space:  global
        .offset:         24
        .size:           8
        .value_kind:     global_buffer
      - .offset:         32
        .size:           8
        .value_kind:     by_value
      - .offset:         40
        .size:           8
        .value_kind:     by_value
      - .address_space:  global
        .offset:         48
        .size:           8
        .value_kind:     global_buffer
      - .offset:         56
        .size:           8
        .value_kind:     by_value
      - .offset:         64
        .size:           8
        .value_kind:     by_value
      - .address_space:  global
        .offset:         72
        .size:           8
        .value_kind:     global_buffer
      - .address_space:  global
        .offset:         80
        .size:           8
        .value_kind:     global_buffer
      - .offset:         88
        .size:           8
        .value_kind:     by_value
      - .offset:         96
        .size:           8
        .value_kind:     by_value
      - .offset:         104
        .size:           4
        .value_kind:     by_value
    .group_segment_fixed_size: 8192
    .kernarg_segment_align: 8
    .kernarg_segment_size: 108
    .language:       OpenCL C
    .language_version:
      - 2
      - 0
    .max_flat_workgroup_size: 256
    .name:           _ZL29rocblas_internal_gemmt_kernelIlLi16ELi32ELi8ELc67ELc84ELc85ELb1ELb0E19rocblas_complex_numIdEPKS1_PKS3_PKPS1_EviT_T9_T10_S9_lSB_S9_lSA_T11_S9_li
    .private_segment_fixed_size: 0
    .sgpr_count:     50
    .sgpr_spill_count: 0
    .symbol:         _ZL29rocblas_internal_gemmt_kernelIlLi16ELi32ELi8ELc67ELc84ELc85ELb1ELb0E19rocblas_complex_numIdEPKS1_PKS3_PKPS1_EviT_T9_T10_S9_lSB_S9_lSA_T11_S9_li.kd
    .uniform_work_group_size: 1
    .uses_dynamic_stack: false
    .vgpr_count:     126
    .vgpr_spill_count: 0
    .wavefront_size: 32
    .workgroup_processor_mode: 1
  - .args:
      - .offset:         0
        .size:           4
        .value_kind:     by_value
      - .offset:         8
        .size:           8
        .value_kind:     by_value
      - .address_space:  global
        .offset:         16
        .size:           8
        .value_kind:     global_buffer
      - .address_space:  global
        .offset:         24
        .size:           8
        .value_kind:     global_buffer
      - .offset:         32
        .size:           8
        .value_kind:     by_value
      - .offset:         40
        .size:           8
        .value_kind:     by_value
      - .address_space:  global
        .offset:         48
        .size:           8
        .value_kind:     global_buffer
      - .offset:         56
        .size:           8
        .value_kind:     by_value
      - .offset:         64
        .size:           8
        .value_kind:     by_value
      - .address_space:  global
        .offset:         72
        .size:           8
        .value_kind:     global_buffer
      - .address_space:  global
        .offset:         80
        .size:           8
        .value_kind:     global_buffer
      - .offset:         88
        .size:           8
        .value_kind:     by_value
      - .offset:         96
        .size:           8
        .value_kind:     by_value
      - .offset:         104
        .size:           4
        .value_kind:     by_value
    .group_segment_fixed_size: 8192
    .kernarg_segment_align: 8
    .kernarg_segment_size: 108
    .language:       OpenCL C
    .language_version:
      - 2
      - 0
    .max_flat_workgroup_size: 256
    .name:           _ZL29rocblas_internal_gemmt_kernelIlLi16ELi32ELi8ELc67ELc67ELc85ELb1ELb1E19rocblas_complex_numIdEPKS1_PKS3_PKPS1_EviT_T9_T10_S9_lSB_S9_lSA_T11_S9_li
    .private_segment_fixed_size: 0
    .sgpr_count:     50
    .sgpr_spill_count: 0
    .symbol:         _ZL29rocblas_internal_gemmt_kernelIlLi16ELi32ELi8ELc67ELc67ELc85ELb1ELb1E19rocblas_complex_numIdEPKS1_PKS3_PKPS1_EviT_T9_T10_S9_lSB_S9_lSA_T11_S9_li.kd
    .uniform_work_group_size: 1
    .uses_dynamic_stack: false
    .vgpr_count:     118
    .vgpr_spill_count: 0
    .wavefront_size: 32
    .workgroup_processor_mode: 1
  - .args:
      - .offset:         0
        .size:           4
        .value_kind:     by_value
      - .offset:         8
        .size:           8
        .value_kind:     by_value
      - .address_space:  global
        .offset:         16
        .size:           8
        .value_kind:     global_buffer
      - .address_space:  global
        .offset:         24
        .size:           8
        .value_kind:     global_buffer
      - .offset:         32
        .size:           8
        .value_kind:     by_value
      - .offset:         40
        .size:           8
        .value_kind:     by_value
      - .address_space:  global
        .offset:         48
        .size:           8
        .value_kind:     global_buffer
      - .offset:         56
        .size:           8
        .value_kind:     by_value
      - .offset:         64
        .size:           8
        .value_kind:     by_value
      - .address_space:  global
        .offset:         72
        .size:           8
        .value_kind:     global_buffer
      - .address_space:  global
        .offset:         80
        .size:           8
        .value_kind:     global_buffer
      - .offset:         88
        .size:           8
        .value_kind:     by_value
      - .offset:         96
        .size:           8
        .value_kind:     by_value
      - .offset:         104
        .size:           4
        .value_kind:     by_value
    .group_segment_fixed_size: 8192
    .kernarg_segment_align: 8
    .kernarg_segment_size: 108
    .language:       OpenCL C
    .language_version:
      - 2
      - 0
    .max_flat_workgroup_size: 256
    .name:           _ZL29rocblas_internal_gemmt_kernelIlLi16ELi32ELi8ELc78ELc78ELc76ELb0ELb0E19rocblas_complex_numIdEPKS1_PKS3_PKPS1_EviT_T9_T10_S9_lSB_S9_lSA_T11_S9_li
    .private_segment_fixed_size: 0
    .sgpr_count:     50
    .sgpr_spill_count: 0
    .symbol:         _ZL29rocblas_internal_gemmt_kernelIlLi16ELi32ELi8ELc78ELc78ELc76ELb0ELb0E19rocblas_complex_numIdEPKS1_PKS3_PKPS1_EviT_T9_T10_S9_lSB_S9_lSA_T11_S9_li.kd
    .uniform_work_group_size: 1
    .uses_dynamic_stack: false
    .vgpr_count:     142
    .vgpr_spill_count: 0
    .wavefront_size: 32
    .workgroup_processor_mode: 1
  - .args:
      - .offset:         0
        .size:           4
        .value_kind:     by_value
      - .offset:         8
        .size:           8
        .value_kind:     by_value
      - .address_space:  global
        .offset:         16
        .size:           8
        .value_kind:     global_buffer
      - .address_space:  global
        .offset:         24
        .size:           8
        .value_kind:     global_buffer
      - .offset:         32
        .size:           8
        .value_kind:     by_value
      - .offset:         40
        .size:           8
        .value_kind:     by_value
      - .address_space:  global
        .offset:         48
        .size:           8
        .value_kind:     global_buffer
      - .offset:         56
        .size:           8
        .value_kind:     by_value
      - .offset:         64
        .size:           8
        .value_kind:     by_value
      - .address_space:  global
        .offset:         72
        .size:           8
        .value_kind:     global_buffer
      - .address_space:  global
        .offset:         80
        .size:           8
        .value_kind:     global_buffer
      - .offset:         88
        .size:           8
        .value_kind:     by_value
      - .offset:         96
        .size:           8
        .value_kind:     by_value
      - .offset:         104
        .size:           4
        .value_kind:     by_value
    .group_segment_fixed_size: 8192
    .kernarg_segment_align: 8
    .kernarg_segment_size: 108
    .language:       OpenCL C
    .language_version:
      - 2
      - 0
    .max_flat_workgroup_size: 256
    .name:           _ZL29rocblas_internal_gemmt_kernelIlLi16ELi32ELi8ELc78ELc84ELc76ELb0ELb0E19rocblas_complex_numIdEPKS1_PKS3_PKPS1_EviT_T9_T10_S9_lSB_S9_lSA_T11_S9_li
    .private_segment_fixed_size: 0
    .sgpr_count:     50
    .sgpr_spill_count: 0
    .symbol:         _ZL29rocblas_internal_gemmt_kernelIlLi16ELi32ELi8ELc78ELc84ELc76ELb0ELb0E19rocblas_complex_numIdEPKS1_PKS3_PKPS1_EviT_T9_T10_S9_lSB_S9_lSA_T11_S9_li.kd
    .uniform_work_group_size: 1
    .uses_dynamic_stack: false
    .vgpr_count:     142
    .vgpr_spill_count: 0
    .wavefront_size: 32
    .workgroup_processor_mode: 1
  - .args:
      - .offset:         0
        .size:           4
        .value_kind:     by_value
      - .offset:         8
        .size:           8
        .value_kind:     by_value
      - .address_space:  global
        .offset:         16
        .size:           8
        .value_kind:     global_buffer
      - .address_space:  global
        .offset:         24
        .size:           8
        .value_kind:     global_buffer
      - .offset:         32
        .size:           8
        .value_kind:     by_value
      - .offset:         40
        .size:           8
        .value_kind:     by_value
      - .address_space:  global
        .offset:         48
        .size:           8
        .value_kind:     global_buffer
      - .offset:         56
        .size:           8
        .value_kind:     by_value
      - .offset:         64
        .size:           8
        .value_kind:     by_value
      - .address_space:  global
        .offset:         72
        .size:           8
        .value_kind:     global_buffer
      - .address_space:  global
        .offset:         80
        .size:           8
        .value_kind:     global_buffer
      - .offset:         88
        .size:           8
        .value_kind:     by_value
      - .offset:         96
        .size:           8
        .value_kind:     by_value
      - .offset:         104
        .size:           4
        .value_kind:     by_value
    .group_segment_fixed_size: 8192
    .kernarg_segment_align: 8
    .kernarg_segment_size: 108
    .language:       OpenCL C
    .language_version:
      - 2
      - 0
    .max_flat_workgroup_size: 256
    .name:           _ZL29rocblas_internal_gemmt_kernelIlLi16ELi32ELi8ELc78ELc67ELc76ELb0ELb1E19rocblas_complex_numIdEPKS1_PKS3_PKPS1_EviT_T9_T10_S9_lSB_S9_lSA_T11_S9_li
    .private_segment_fixed_size: 0
    .sgpr_count:     50
    .sgpr_spill_count: 0
    .symbol:         _ZL29rocblas_internal_gemmt_kernelIlLi16ELi32ELi8ELc78ELc67ELc76ELb0ELb1E19rocblas_complex_numIdEPKS1_PKS3_PKPS1_EviT_T9_T10_S9_lSB_S9_lSA_T11_S9_li.kd
    .uniform_work_group_size: 1
    .uses_dynamic_stack: false
    .vgpr_count:     120
    .vgpr_spill_count: 0
    .wavefront_size: 32
    .workgroup_processor_mode: 1
  - .args:
      - .offset:         0
        .size:           4
        .value_kind:     by_value
      - .offset:         8
        .size:           8
        .value_kind:     by_value
      - .address_space:  global
        .offset:         16
        .size:           8
        .value_kind:     global_buffer
      - .address_space:  global
        .offset:         24
        .size:           8
        .value_kind:     global_buffer
      - .offset:         32
        .size:           8
        .value_kind:     by_value
      - .offset:         40
        .size:           8
        .value_kind:     by_value
      - .address_space:  global
        .offset:         48
        .size:           8
        .value_kind:     global_buffer
      - .offset:         56
        .size:           8
        .value_kind:     by_value
      - .offset:         64
        .size:           8
        .value_kind:     by_value
      - .address_space:  global
        .offset:         72
        .size:           8
        .value_kind:     global_buffer
      - .address_space:  global
        .offset:         80
        .size:           8
        .value_kind:     global_buffer
      - .offset:         88
        .size:           8
        .value_kind:     by_value
      - .offset:         96
        .size:           8
        .value_kind:     by_value
      - .offset:         104
        .size:           4
        .value_kind:     by_value
    .group_segment_fixed_size: 8192
    .kernarg_segment_align: 8
    .kernarg_segment_size: 108
    .language:       OpenCL C
    .language_version:
      - 2
      - 0
    .max_flat_workgroup_size: 256
    .name:           _ZL29rocblas_internal_gemmt_kernelIlLi16ELi32ELi8ELc84ELc78ELc76ELb0ELb0E19rocblas_complex_numIdEPKS1_PKS3_PKPS1_EviT_T9_T10_S9_lSB_S9_lSA_T11_S9_li
    .private_segment_fixed_size: 0
    .sgpr_count:     50
    .sgpr_spill_count: 0
    .symbol:         _ZL29rocblas_internal_gemmt_kernelIlLi16ELi32ELi8ELc84ELc78ELc76ELb0ELb0E19rocblas_complex_numIdEPKS1_PKS3_PKPS1_EviT_T9_T10_S9_lSB_S9_lSA_T11_S9_li.kd
    .uniform_work_group_size: 1
    .uses_dynamic_stack: false
    .vgpr_count:     142
    .vgpr_spill_count: 0
    .wavefront_size: 32
    .workgroup_processor_mode: 1
  - .args:
      - .offset:         0
        .size:           4
        .value_kind:     by_value
      - .offset:         8
        .size:           8
        .value_kind:     by_value
      - .address_space:  global
        .offset:         16
        .size:           8
        .value_kind:     global_buffer
      - .address_space:  global
        .offset:         24
        .size:           8
        .value_kind:     global_buffer
      - .offset:         32
        .size:           8
        .value_kind:     by_value
      - .offset:         40
        .size:           8
        .value_kind:     by_value
      - .address_space:  global
        .offset:         48
        .size:           8
        .value_kind:     global_buffer
      - .offset:         56
        .size:           8
        .value_kind:     by_value
      - .offset:         64
        .size:           8
        .value_kind:     by_value
      - .address_space:  global
        .offset:         72
        .size:           8
        .value_kind:     global_buffer
      - .address_space:  global
        .offset:         80
        .size:           8
        .value_kind:     global_buffer
      - .offset:         88
        .size:           8
        .value_kind:     by_value
      - .offset:         96
        .size:           8
        .value_kind:     by_value
      - .offset:         104
        .size:           4
        .value_kind:     by_value
    .group_segment_fixed_size: 8192
    .kernarg_segment_align: 8
    .kernarg_segment_size: 108
    .language:       OpenCL C
    .language_version:
      - 2
      - 0
    .max_flat_workgroup_size: 256
    .name:           _ZL29rocblas_internal_gemmt_kernelIlLi16ELi32ELi8ELc84ELc84ELc76ELb0ELb0E19rocblas_complex_numIdEPKS1_PKS3_PKPS1_EviT_T9_T10_S9_lSB_S9_lSA_T11_S9_li
    .private_segment_fixed_size: 0
    .sgpr_count:     50
    .sgpr_spill_count: 0
    .symbol:         _ZL29rocblas_internal_gemmt_kernelIlLi16ELi32ELi8ELc84ELc84ELc76ELb0ELb0E19rocblas_complex_numIdEPKS1_PKS3_PKPS1_EviT_T9_T10_S9_lSB_S9_lSA_T11_S9_li.kd
    .uniform_work_group_size: 1
    .uses_dynamic_stack: false
    .vgpr_count:     142
    .vgpr_spill_count: 0
    .wavefront_size: 32
    .workgroup_processor_mode: 1
  - .args:
      - .offset:         0
        .size:           4
        .value_kind:     by_value
      - .offset:         8
        .size:           8
        .value_kind:     by_value
      - .address_space:  global
        .offset:         16
        .size:           8
        .value_kind:     global_buffer
      - .address_space:  global
        .offset:         24
        .size:           8
        .value_kind:     global_buffer
      - .offset:         32
        .size:           8
        .value_kind:     by_value
      - .offset:         40
        .size:           8
        .value_kind:     by_value
      - .address_space:  global
        .offset:         48
        .size:           8
        .value_kind:     global_buffer
      - .offset:         56
        .size:           8
        .value_kind:     by_value
      - .offset:         64
        .size:           8
        .value_kind:     by_value
      - .address_space:  global
        .offset:         72
        .size:           8
        .value_kind:     global_buffer
      - .address_space:  global
        .offset:         80
        .size:           8
        .value_kind:     global_buffer
      - .offset:         88
        .size:           8
        .value_kind:     by_value
      - .offset:         96
        .size:           8
        .value_kind:     by_value
      - .offset:         104
        .size:           4
        .value_kind:     by_value
    .group_segment_fixed_size: 8192
    .kernarg_segment_align: 8
    .kernarg_segment_size: 108
    .language:       OpenCL C
    .language_version:
      - 2
      - 0
    .max_flat_workgroup_size: 256
    .name:           _ZL29rocblas_internal_gemmt_kernelIlLi16ELi32ELi8ELc84ELc67ELc76ELb0ELb1E19rocblas_complex_numIdEPKS1_PKS3_PKPS1_EviT_T9_T10_S9_lSB_S9_lSA_T11_S9_li
    .private_segment_fixed_size: 0
    .sgpr_count:     50
    .sgpr_spill_count: 0
    .symbol:         _ZL29rocblas_internal_gemmt_kernelIlLi16ELi32ELi8ELc84ELc67ELc76ELb0ELb1E19rocblas_complex_numIdEPKS1_PKS3_PKPS1_EviT_T9_T10_S9_lSB_S9_lSA_T11_S9_li.kd
    .uniform_work_group_size: 1
    .uses_dynamic_stack: false
    .vgpr_count:     120
    .vgpr_spill_count: 0
    .wavefront_size: 32
    .workgroup_processor_mode: 1
  - .args:
      - .offset:         0
        .size:           4
        .value_kind:     by_value
      - .offset:         8
        .size:           8
        .value_kind:     by_value
      - .address_space:  global
        .offset:         16
        .size:           8
        .value_kind:     global_buffer
      - .address_space:  global
        .offset:         24
        .size:           8
        .value_kind:     global_buffer
      - .offset:         32
        .size:           8
        .value_kind:     by_value
      - .offset:         40
        .size:           8
        .value_kind:     by_value
      - .address_space:  global
        .offset:         48
        .size:           8
        .value_kind:     global_buffer
      - .offset:         56
        .size:           8
        .value_kind:     by_value
      - .offset:         64
        .size:           8
        .value_kind:     by_value
      - .address_space:  global
        .offset:         72
        .size:           8
        .value_kind:     global_buffer
      - .address_space:  global
        .offset:         80
        .size:           8
        .value_kind:     global_buffer
      - .offset:         88
        .size:           8
        .value_kind:     by_value
      - .offset:         96
        .size:           8
        .value_kind:     by_value
      - .offset:         104
        .size:           4
        .value_kind:     by_value
    .group_segment_fixed_size: 8192
    .kernarg_segment_align: 8
    .kernarg_segment_size: 108
    .language:       OpenCL C
    .language_version:
      - 2
      - 0
    .max_flat_workgroup_size: 256
    .name:           _ZL29rocblas_internal_gemmt_kernelIlLi16ELi32ELi8ELc67ELc78ELc76ELb1ELb0E19rocblas_complex_numIdEPKS1_PKS3_PKPS1_EviT_T9_T10_S9_lSB_S9_lSA_T11_S9_li
    .private_segment_fixed_size: 0
    .sgpr_count:     50
    .sgpr_spill_count: 0
    .symbol:         _ZL29rocblas_internal_gemmt_kernelIlLi16ELi32ELi8ELc67ELc78ELc76ELb1ELb0E19rocblas_complex_numIdEPKS1_PKS3_PKPS1_EviT_T9_T10_S9_lSB_S9_lSA_T11_S9_li.kd
    .uniform_work_group_size: 1
    .uses_dynamic_stack: false
    .vgpr_count:     126
    .vgpr_spill_count: 0
    .wavefront_size: 32
    .workgroup_processor_mode: 1
  - .args:
      - .offset:         0
        .size:           4
        .value_kind:     by_value
      - .offset:         8
        .size:           8
        .value_kind:     by_value
      - .address_space:  global
        .offset:         16
        .size:           8
        .value_kind:     global_buffer
      - .address_space:  global
        .offset:         24
        .size:           8
        .value_kind:     global_buffer
      - .offset:         32
        .size:           8
        .value_kind:     by_value
      - .offset:         40
        .size:           8
        .value_kind:     by_value
      - .address_space:  global
        .offset:         48
        .size:           8
        .value_kind:     global_buffer
      - .offset:         56
        .size:           8
        .value_kind:     by_value
      - .offset:         64
        .size:           8
        .value_kind:     by_value
      - .address_space:  global
        .offset:         72
        .size:           8
        .value_kind:     global_buffer
      - .address_space:  global
        .offset:         80
        .size:           8
        .value_kind:     global_buffer
      - .offset:         88
        .size:           8
        .value_kind:     by_value
      - .offset:         96
        .size:           8
        .value_kind:     by_value
      - .offset:         104
        .size:           4
        .value_kind:     by_value
    .group_segment_fixed_size: 8192
    .kernarg_segment_align: 8
    .kernarg_segment_size: 108
    .language:       OpenCL C
    .language_version:
      - 2
      - 0
    .max_flat_workgroup_size: 256
    .name:           _ZL29rocblas_internal_gemmt_kernelIlLi16ELi32ELi8ELc67ELc84ELc76ELb1ELb0E19rocblas_complex_numIdEPKS1_PKS3_PKPS1_EviT_T9_T10_S9_lSB_S9_lSA_T11_S9_li
    .private_segment_fixed_size: 0
    .sgpr_count:     50
    .sgpr_spill_count: 0
    .symbol:         _ZL29rocblas_internal_gemmt_kernelIlLi16ELi32ELi8ELc67ELc84ELc76ELb1ELb0E19rocblas_complex_numIdEPKS1_PKS3_PKPS1_EviT_T9_T10_S9_lSB_S9_lSA_T11_S9_li.kd
    .uniform_work_group_size: 1
    .uses_dynamic_stack: false
    .vgpr_count:     126
    .vgpr_spill_count: 0
    .wavefront_size: 32
    .workgroup_processor_mode: 1
  - .args:
      - .offset:         0
        .size:           4
        .value_kind:     by_value
      - .offset:         8
        .size:           8
        .value_kind:     by_value
      - .address_space:  global
        .offset:         16
        .size:           8
        .value_kind:     global_buffer
      - .address_space:  global
        .offset:         24
        .size:           8
        .value_kind:     global_buffer
      - .offset:         32
        .size:           8
        .value_kind:     by_value
      - .offset:         40
        .size:           8
        .value_kind:     by_value
      - .address_space:  global
        .offset:         48
        .size:           8
        .value_kind:     global_buffer
      - .offset:         56
        .size:           8
        .value_kind:     by_value
      - .offset:         64
        .size:           8
        .value_kind:     by_value
      - .address_space:  global
        .offset:         72
        .size:           8
        .value_kind:     global_buffer
      - .address_space:  global
        .offset:         80
        .size:           8
        .value_kind:     global_buffer
      - .offset:         88
        .size:           8
        .value_kind:     by_value
      - .offset:         96
        .size:           8
        .value_kind:     by_value
      - .offset:         104
        .size:           4
        .value_kind:     by_value
    .group_segment_fixed_size: 8192
    .kernarg_segment_align: 8
    .kernarg_segment_size: 108
    .language:       OpenCL C
    .language_version:
      - 2
      - 0
    .max_flat_workgroup_size: 256
    .name:           _ZL29rocblas_internal_gemmt_kernelIlLi16ELi32ELi8ELc67ELc67ELc76ELb1ELb1E19rocblas_complex_numIdEPKS1_PKS3_PKPS1_EviT_T9_T10_S9_lSB_S9_lSA_T11_S9_li
    .private_segment_fixed_size: 0
    .sgpr_count:     50
    .sgpr_spill_count: 0
    .symbol:         _ZL29rocblas_internal_gemmt_kernelIlLi16ELi32ELi8ELc67ELc67ELc76ELb1ELb1E19rocblas_complex_numIdEPKS1_PKS3_PKPS1_EviT_T9_T10_S9_lSB_S9_lSA_T11_S9_li.kd
    .uniform_work_group_size: 1
    .uses_dynamic_stack: false
    .vgpr_count:     118
    .vgpr_spill_count: 0
    .wavefront_size: 32
    .workgroup_processor_mode: 1
  - .args:
      - .offset:         0
        .size:           4
        .value_kind:     by_value
      - .offset:         8
        .size:           8
        .value_kind:     by_value
      - .offset:         16
        .size:           16
        .value_kind:     by_value
      - .address_space:  global
        .offset:         32
        .size:           8
        .value_kind:     global_buffer
      - .offset:         40
        .size:           8
        .value_kind:     by_value
      - .offset:         48
        .size:           8
        .value_kind:     by_value
      - .address_space:  global
        .offset:         56
        .size:           8
        .value_kind:     global_buffer
      - .offset:         64
        .size:           8
        .value_kind:     by_value
      - .offset:         72
        .size:           8
        .value_kind:     by_value
      - .offset:         80
        .size:           16
        .value_kind:     by_value
      - .address_space:  global
        .offset:         96
        .size:           8
        .value_kind:     global_buffer
      - .offset:         104
        .size:           8
        .value_kind:     by_value
      - .offset:         112
        .size:           8
        .value_kind:     by_value
      - .offset:         120
        .size:           4
        .value_kind:     by_value
    .group_segment_fixed_size: 8192
    .kernarg_segment_align: 8
    .kernarg_segment_size: 124
    .language:       OpenCL C
    .language_version:
      - 2
      - 0
    .max_flat_workgroup_size: 256
    .name:           _ZL29rocblas_internal_gemmt_kernelIlLi16ELi32ELi8ELc78ELc78ELc85ELb0ELb0E19rocblas_complex_numIdES1_PKPKS1_PKPS1_EviT_T9_T10_S9_lSB_S9_lSA_T11_S9_li
    .private_segment_fixed_size: 0
    .sgpr_count:     46
    .sgpr_spill_count: 0
    .symbol:         _ZL29rocblas_internal_gemmt_kernelIlLi16ELi32ELi8ELc78ELc78ELc85ELb0ELb0E19rocblas_complex_numIdES1_PKPKS1_PKPS1_EviT_T9_T10_S9_lSB_S9_lSA_T11_S9_li.kd
    .uniform_work_group_size: 1
    .uses_dynamic_stack: false
    .vgpr_count:     142
    .vgpr_spill_count: 0
    .wavefront_size: 32
    .workgroup_processor_mode: 1
  - .args:
      - .offset:         0
        .size:           4
        .value_kind:     by_value
      - .offset:         8
        .size:           8
        .value_kind:     by_value
      - .offset:         16
        .size:           16
        .value_kind:     by_value
      - .address_space:  global
        .offset:         32
        .size:           8
        .value_kind:     global_buffer
      - .offset:         40
        .size:           8
        .value_kind:     by_value
      - .offset:         48
        .size:           8
        .value_kind:     by_value
      - .address_space:  global
        .offset:         56
        .size:           8
        .value_kind:     global_buffer
      - .offset:         64
        .size:           8
        .value_kind:     by_value
      - .offset:         72
        .size:           8
        .value_kind:     by_value
      - .offset:         80
        .size:           16
        .value_kind:     by_value
      - .address_space:  global
        .offset:         96
        .size:           8
        .value_kind:     global_buffer
      - .offset:         104
        .size:           8
        .value_kind:     by_value
      - .offset:         112
        .size:           8
        .value_kind:     by_value
      - .offset:         120
        .size:           4
        .value_kind:     by_value
    .group_segment_fixed_size: 8192
    .kernarg_segment_align: 8
    .kernarg_segment_size: 124
    .language:       OpenCL C
    .language_version:
      - 2
      - 0
    .max_flat_workgroup_size: 256
    .name:           _ZL29rocblas_internal_gemmt_kernelIlLi16ELi32ELi8ELc78ELc84ELc85ELb0ELb0E19rocblas_complex_numIdES1_PKPKS1_PKPS1_EviT_T9_T10_S9_lSB_S9_lSA_T11_S9_li
    .private_segment_fixed_size: 0
    .sgpr_count:     46
    .sgpr_spill_count: 0
    .symbol:         _ZL29rocblas_internal_gemmt_kernelIlLi16ELi32ELi8ELc78ELc84ELc85ELb0ELb0E19rocblas_complex_numIdES1_PKPKS1_PKPS1_EviT_T9_T10_S9_lSB_S9_lSA_T11_S9_li.kd
    .uniform_work_group_size: 1
    .uses_dynamic_stack: false
    .vgpr_count:     142
    .vgpr_spill_count: 0
    .wavefront_size: 32
    .workgroup_processor_mode: 1
  - .args:
      - .offset:         0
        .size:           4
        .value_kind:     by_value
      - .offset:         8
        .size:           8
        .value_kind:     by_value
      - .offset:         16
        .size:           16
        .value_kind:     by_value
      - .address_space:  global
        .offset:         32
        .size:           8
        .value_kind:     global_buffer
      - .offset:         40
        .size:           8
        .value_kind:     by_value
      - .offset:         48
        .size:           8
        .value_kind:     by_value
      - .address_space:  global
        .offset:         56
        .size:           8
        .value_kind:     global_buffer
      - .offset:         64
        .size:           8
        .value_kind:     by_value
      - .offset:         72
        .size:           8
        .value_kind:     by_value
      - .offset:         80
        .size:           16
        .value_kind:     by_value
      - .address_space:  global
        .offset:         96
        .size:           8
        .value_kind:     global_buffer
      - .offset:         104
        .size:           8
        .value_kind:     by_value
      - .offset:         112
        .size:           8
        .value_kind:     by_value
      - .offset:         120
        .size:           4
        .value_kind:     by_value
    .group_segment_fixed_size: 8192
    .kernarg_segment_align: 8
    .kernarg_segment_size: 124
    .language:       OpenCL C
    .language_version:
      - 2
      - 0
    .max_flat_workgroup_size: 256
    .name:           _ZL29rocblas_internal_gemmt_kernelIlLi16ELi32ELi8ELc78ELc67ELc85ELb0ELb1E19rocblas_complex_numIdES1_PKPKS1_PKPS1_EviT_T9_T10_S9_lSB_S9_lSA_T11_S9_li
    .private_segment_fixed_size: 0
    .sgpr_count:     46
    .sgpr_spill_count: 0
    .symbol:         _ZL29rocblas_internal_gemmt_kernelIlLi16ELi32ELi8ELc78ELc67ELc85ELb0ELb1E19rocblas_complex_numIdES1_PKPKS1_PKPS1_EviT_T9_T10_S9_lSB_S9_lSA_T11_S9_li.kd
    .uniform_work_group_size: 1
    .uses_dynamic_stack: false
    .vgpr_count:     120
    .vgpr_spill_count: 0
    .wavefront_size: 32
    .workgroup_processor_mode: 1
  - .args:
      - .offset:         0
        .size:           4
        .value_kind:     by_value
      - .offset:         8
        .size:           8
        .value_kind:     by_value
      - .offset:         16
        .size:           16
        .value_kind:     by_value
      - .address_space:  global
        .offset:         32
        .size:           8
        .value_kind:     global_buffer
      - .offset:         40
        .size:           8
        .value_kind:     by_value
      - .offset:         48
        .size:           8
        .value_kind:     by_value
      - .address_space:  global
        .offset:         56
        .size:           8
        .value_kind:     global_buffer
      - .offset:         64
        .size:           8
        .value_kind:     by_value
      - .offset:         72
        .size:           8
        .value_kind:     by_value
      - .offset:         80
        .size:           16
        .value_kind:     by_value
      - .address_space:  global
        .offset:         96
        .size:           8
        .value_kind:     global_buffer
      - .offset:         104
        .size:           8
        .value_kind:     by_value
      - .offset:         112
        .size:           8
        .value_kind:     by_value
      - .offset:         120
        .size:           4
        .value_kind:     by_value
    .group_segment_fixed_size: 8192
    .kernarg_segment_align: 8
    .kernarg_segment_size: 124
    .language:       OpenCL C
    .language_version:
      - 2
      - 0
    .max_flat_workgroup_size: 256
    .name:           _ZL29rocblas_internal_gemmt_kernelIlLi16ELi32ELi8ELc84ELc78ELc85ELb0ELb0E19rocblas_complex_numIdES1_PKPKS1_PKPS1_EviT_T9_T10_S9_lSB_S9_lSA_T11_S9_li
    .private_segment_fixed_size: 0
    .sgpr_count:     46
    .sgpr_spill_count: 0
    .symbol:         _ZL29rocblas_internal_gemmt_kernelIlLi16ELi32ELi8ELc84ELc78ELc85ELb0ELb0E19rocblas_complex_numIdES1_PKPKS1_PKPS1_EviT_T9_T10_S9_lSB_S9_lSA_T11_S9_li.kd
    .uniform_work_group_size: 1
    .uses_dynamic_stack: false
    .vgpr_count:     142
    .vgpr_spill_count: 0
    .wavefront_size: 32
    .workgroup_processor_mode: 1
  - .args:
      - .offset:         0
        .size:           4
        .value_kind:     by_value
      - .offset:         8
        .size:           8
        .value_kind:     by_value
      - .offset:         16
        .size:           16
        .value_kind:     by_value
      - .address_space:  global
        .offset:         32
        .size:           8
        .value_kind:     global_buffer
      - .offset:         40
        .size:           8
        .value_kind:     by_value
      - .offset:         48
        .size:           8
        .value_kind:     by_value
      - .address_space:  global
        .offset:         56
        .size:           8
        .value_kind:     global_buffer
      - .offset:         64
        .size:           8
        .value_kind:     by_value
      - .offset:         72
        .size:           8
        .value_kind:     by_value
      - .offset:         80
        .size:           16
        .value_kind:     by_value
      - .address_space:  global
        .offset:         96
        .size:           8
        .value_kind:     global_buffer
      - .offset:         104
        .size:           8
        .value_kind:     by_value
      - .offset:         112
        .size:           8
        .value_kind:     by_value
      - .offset:         120
        .size:           4
        .value_kind:     by_value
    .group_segment_fixed_size: 8192
    .kernarg_segment_align: 8
    .kernarg_segment_size: 124
    .language:       OpenCL C
    .language_version:
      - 2
      - 0
    .max_flat_workgroup_size: 256
    .name:           _ZL29rocblas_internal_gemmt_kernelIlLi16ELi32ELi8ELc84ELc84ELc85ELb0ELb0E19rocblas_complex_numIdES1_PKPKS1_PKPS1_EviT_T9_T10_S9_lSB_S9_lSA_T11_S9_li
    .private_segment_fixed_size: 0
    .sgpr_count:     46
    .sgpr_spill_count: 0
    .symbol:         _ZL29rocblas_internal_gemmt_kernelIlLi16ELi32ELi8ELc84ELc84ELc85ELb0ELb0E19rocblas_complex_numIdES1_PKPKS1_PKPS1_EviT_T9_T10_S9_lSB_S9_lSA_T11_S9_li.kd
    .uniform_work_group_size: 1
    .uses_dynamic_stack: false
    .vgpr_count:     142
    .vgpr_spill_count: 0
    .wavefront_size: 32
    .workgroup_processor_mode: 1
  - .args:
      - .offset:         0
        .size:           4
        .value_kind:     by_value
      - .offset:         8
        .size:           8
        .value_kind:     by_value
      - .offset:         16
        .size:           16
        .value_kind:     by_value
      - .address_space:  global
        .offset:         32
        .size:           8
        .value_kind:     global_buffer
      - .offset:         40
        .size:           8
        .value_kind:     by_value
      - .offset:         48
        .size:           8
        .value_kind:     by_value
      - .address_space:  global
        .offset:         56
        .size:           8
        .value_kind:     global_buffer
      - .offset:         64
        .size:           8
        .value_kind:     by_value
      - .offset:         72
        .size:           8
        .value_kind:     by_value
      - .offset:         80
        .size:           16
        .value_kind:     by_value
      - .address_space:  global
        .offset:         96
        .size:           8
        .value_kind:     global_buffer
      - .offset:         104
        .size:           8
        .value_kind:     by_value
      - .offset:         112
        .size:           8
        .value_kind:     by_value
      - .offset:         120
        .size:           4
        .value_kind:     by_value
    .group_segment_fixed_size: 8192
    .kernarg_segment_align: 8
    .kernarg_segment_size: 124
    .language:       OpenCL C
    .language_version:
      - 2
      - 0
    .max_flat_workgroup_size: 256
    .name:           _ZL29rocblas_internal_gemmt_kernelIlLi16ELi32ELi8ELc84ELc67ELc85ELb0ELb1E19rocblas_complex_numIdES1_PKPKS1_PKPS1_EviT_T9_T10_S9_lSB_S9_lSA_T11_S9_li
    .private_segment_fixed_size: 0
    .sgpr_count:     46
    .sgpr_spill_count: 0
    .symbol:         _ZL29rocblas_internal_gemmt_kernelIlLi16ELi32ELi8ELc84ELc67ELc85ELb0ELb1E19rocblas_complex_numIdES1_PKPKS1_PKPS1_EviT_T9_T10_S9_lSB_S9_lSA_T11_S9_li.kd
    .uniform_work_group_size: 1
    .uses_dynamic_stack: false
    .vgpr_count:     120
    .vgpr_spill_count: 0
    .wavefront_size: 32
    .workgroup_processor_mode: 1
  - .args:
      - .offset:         0
        .size:           4
        .value_kind:     by_value
      - .offset:         8
        .size:           8
        .value_kind:     by_value
      - .offset:         16
        .size:           16
        .value_kind:     by_value
      - .address_space:  global
        .offset:         32
        .size:           8
        .value_kind:     global_buffer
      - .offset:         40
        .size:           8
        .value_kind:     by_value
      - .offset:         48
        .size:           8
        .value_kind:     by_value
      - .address_space:  global
        .offset:         56
        .size:           8
        .value_kind:     global_buffer
      - .offset:         64
        .size:           8
        .value_kind:     by_value
      - .offset:         72
        .size:           8
        .value_kind:     by_value
      - .offset:         80
        .size:           16
        .value_kind:     by_value
      - .address_space:  global
        .offset:         96
        .size:           8
        .value_kind:     global_buffer
      - .offset:         104
        .size:           8
        .value_kind:     by_value
      - .offset:         112
        .size:           8
        .value_kind:     by_value
      - .offset:         120
        .size:           4
        .value_kind:     by_value
    .group_segment_fixed_size: 8192
    .kernarg_segment_align: 8
    .kernarg_segment_size: 124
    .language:       OpenCL C
    .language_version:
      - 2
      - 0
    .max_flat_workgroup_size: 256
    .name:           _ZL29rocblas_internal_gemmt_kernelIlLi16ELi32ELi8ELc67ELc78ELc85ELb1ELb0E19rocblas_complex_numIdES1_PKPKS1_PKPS1_EviT_T9_T10_S9_lSB_S9_lSA_T11_S9_li
    .private_segment_fixed_size: 0
    .sgpr_count:     46
    .sgpr_spill_count: 0
    .symbol:         _ZL29rocblas_internal_gemmt_kernelIlLi16ELi32ELi8ELc67ELc78ELc85ELb1ELb0E19rocblas_complex_numIdES1_PKPKS1_PKPS1_EviT_T9_T10_S9_lSB_S9_lSA_T11_S9_li.kd
    .uniform_work_group_size: 1
    .uses_dynamic_stack: false
    .vgpr_count:     126
    .vgpr_spill_count: 0
    .wavefront_size: 32
    .workgroup_processor_mode: 1
  - .args:
      - .offset:         0
        .size:           4
        .value_kind:     by_value
      - .offset:         8
        .size:           8
        .value_kind:     by_value
      - .offset:         16
        .size:           16
        .value_kind:     by_value
      - .address_space:  global
        .offset:         32
        .size:           8
        .value_kind:     global_buffer
      - .offset:         40
        .size:           8
        .value_kind:     by_value
      - .offset:         48
        .size:           8
        .value_kind:     by_value
      - .address_space:  global
        .offset:         56
        .size:           8
        .value_kind:     global_buffer
      - .offset:         64
        .size:           8
        .value_kind:     by_value
      - .offset:         72
        .size:           8
        .value_kind:     by_value
      - .offset:         80
        .size:           16
        .value_kind:     by_value
      - .address_space:  global
        .offset:         96
        .size:           8
        .value_kind:     global_buffer
      - .offset:         104
        .size:           8
        .value_kind:     by_value
      - .offset:         112
        .size:           8
        .value_kind:     by_value
      - .offset:         120
        .size:           4
        .value_kind:     by_value
    .group_segment_fixed_size: 8192
    .kernarg_segment_align: 8
    .kernarg_segment_size: 124
    .language:       OpenCL C
    .language_version:
      - 2
      - 0
    .max_flat_workgroup_size: 256
    .name:           _ZL29rocblas_internal_gemmt_kernelIlLi16ELi32ELi8ELc67ELc84ELc85ELb1ELb0E19rocblas_complex_numIdES1_PKPKS1_PKPS1_EviT_T9_T10_S9_lSB_S9_lSA_T11_S9_li
    .private_segment_fixed_size: 0
    .sgpr_count:     46
    .sgpr_spill_count: 0
    .symbol:         _ZL29rocblas_internal_gemmt_kernelIlLi16ELi32ELi8ELc67ELc84ELc85ELb1ELb0E19rocblas_complex_numIdES1_PKPKS1_PKPS1_EviT_T9_T10_S9_lSB_S9_lSA_T11_S9_li.kd
    .uniform_work_group_size: 1
    .uses_dynamic_stack: false
    .vgpr_count:     126
    .vgpr_spill_count: 0
    .wavefront_size: 32
    .workgroup_processor_mode: 1
  - .args:
      - .offset:         0
        .size:           4
        .value_kind:     by_value
      - .offset:         8
        .size:           8
        .value_kind:     by_value
      - .offset:         16
        .size:           16
        .value_kind:     by_value
      - .address_space:  global
        .offset:         32
        .size:           8
        .value_kind:     global_buffer
      - .offset:         40
        .size:           8
        .value_kind:     by_value
      - .offset:         48
        .size:           8
        .value_kind:     by_value
      - .address_space:  global
        .offset:         56
        .size:           8
        .value_kind:     global_buffer
      - .offset:         64
        .size:           8
        .value_kind:     by_value
      - .offset:         72
        .size:           8
        .value_kind:     by_value
      - .offset:         80
        .size:           16
        .value_kind:     by_value
      - .address_space:  global
        .offset:         96
        .size:           8
        .value_kind:     global_buffer
      - .offset:         104
        .size:           8
        .value_kind:     by_value
      - .offset:         112
        .size:           8
        .value_kind:     by_value
      - .offset:         120
        .size:           4
        .value_kind:     by_value
    .group_segment_fixed_size: 8192
    .kernarg_segment_align: 8
    .kernarg_segment_size: 124
    .language:       OpenCL C
    .language_version:
      - 2
      - 0
    .max_flat_workgroup_size: 256
    .name:           _ZL29rocblas_internal_gemmt_kernelIlLi16ELi32ELi8ELc67ELc67ELc85ELb1ELb1E19rocblas_complex_numIdES1_PKPKS1_PKPS1_EviT_T9_T10_S9_lSB_S9_lSA_T11_S9_li
    .private_segment_fixed_size: 0
    .sgpr_count:     46
    .sgpr_spill_count: 0
    .symbol:         _ZL29rocblas_internal_gemmt_kernelIlLi16ELi32ELi8ELc67ELc67ELc85ELb1ELb1E19rocblas_complex_numIdES1_PKPKS1_PKPS1_EviT_T9_T10_S9_lSB_S9_lSA_T11_S9_li.kd
    .uniform_work_group_size: 1
    .uses_dynamic_stack: false
    .vgpr_count:     118
    .vgpr_spill_count: 0
    .wavefront_size: 32
    .workgroup_processor_mode: 1
  - .args:
      - .offset:         0
        .size:           4
        .value_kind:     by_value
      - .offset:         8
        .size:           8
        .value_kind:     by_value
      - .offset:         16
        .size:           16
        .value_kind:     by_value
      - .address_space:  global
        .offset:         32
        .size:           8
        .value_kind:     global_buffer
      - .offset:         40
        .size:           8
        .value_kind:     by_value
      - .offset:         48
        .size:           8
        .value_kind:     by_value
      - .address_space:  global
        .offset:         56
        .size:           8
        .value_kind:     global_buffer
      - .offset:         64
        .size:           8
        .value_kind:     by_value
      - .offset:         72
        .size:           8
        .value_kind:     by_value
      - .offset:         80
        .size:           16
        .value_kind:     by_value
      - .address_space:  global
        .offset:         96
        .size:           8
        .value_kind:     global_buffer
      - .offset:         104
        .size:           8
        .value_kind:     by_value
      - .offset:         112
        .size:           8
        .value_kind:     by_value
      - .offset:         120
        .size:           4
        .value_kind:     by_value
    .group_segment_fixed_size: 8192
    .kernarg_segment_align: 8
    .kernarg_segment_size: 124
    .language:       OpenCL C
    .language_version:
      - 2
      - 0
    .max_flat_workgroup_size: 256
    .name:           _ZL29rocblas_internal_gemmt_kernelIlLi16ELi32ELi8ELc78ELc78ELc76ELb0ELb0E19rocblas_complex_numIdES1_PKPKS1_PKPS1_EviT_T9_T10_S9_lSB_S9_lSA_T11_S9_li
    .private_segment_fixed_size: 0
    .sgpr_count:     46
    .sgpr_spill_count: 0
    .symbol:         _ZL29rocblas_internal_gemmt_kernelIlLi16ELi32ELi8ELc78ELc78ELc76ELb0ELb0E19rocblas_complex_numIdES1_PKPKS1_PKPS1_EviT_T9_T10_S9_lSB_S9_lSA_T11_S9_li.kd
    .uniform_work_group_size: 1
    .uses_dynamic_stack: false
    .vgpr_count:     142
    .vgpr_spill_count: 0
    .wavefront_size: 32
    .workgroup_processor_mode: 1
  - .args:
      - .offset:         0
        .size:           4
        .value_kind:     by_value
      - .offset:         8
        .size:           8
        .value_kind:     by_value
      - .offset:         16
        .size:           16
        .value_kind:     by_value
      - .address_space:  global
        .offset:         32
        .size:           8
        .value_kind:     global_buffer
      - .offset:         40
        .size:           8
        .value_kind:     by_value
      - .offset:         48
        .size:           8
        .value_kind:     by_value
      - .address_space:  global
        .offset:         56
        .size:           8
        .value_kind:     global_buffer
      - .offset:         64
        .size:           8
        .value_kind:     by_value
      - .offset:         72
        .size:           8
        .value_kind:     by_value
      - .offset:         80
        .size:           16
        .value_kind:     by_value
      - .address_space:  global
        .offset:         96
        .size:           8
        .value_kind:     global_buffer
      - .offset:         104
        .size:           8
        .value_kind:     by_value
      - .offset:         112
        .size:           8
        .value_kind:     by_value
      - .offset:         120
        .size:           4
        .value_kind:     by_value
    .group_segment_fixed_size: 8192
    .kernarg_segment_align: 8
    .kernarg_segment_size: 124
    .language:       OpenCL C
    .language_version:
      - 2
      - 0
    .max_flat_workgroup_size: 256
    .name:           _ZL29rocblas_internal_gemmt_kernelIlLi16ELi32ELi8ELc78ELc84ELc76ELb0ELb0E19rocblas_complex_numIdES1_PKPKS1_PKPS1_EviT_T9_T10_S9_lSB_S9_lSA_T11_S9_li
    .private_segment_fixed_size: 0
    .sgpr_count:     46
    .sgpr_spill_count: 0
    .symbol:         _ZL29rocblas_internal_gemmt_kernelIlLi16ELi32ELi8ELc78ELc84ELc76ELb0ELb0E19rocblas_complex_numIdES1_PKPKS1_PKPS1_EviT_T9_T10_S9_lSB_S9_lSA_T11_S9_li.kd
    .uniform_work_group_size: 1
    .uses_dynamic_stack: false
    .vgpr_count:     142
    .vgpr_spill_count: 0
    .wavefront_size: 32
    .workgroup_processor_mode: 1
  - .args:
      - .offset:         0
        .size:           4
        .value_kind:     by_value
      - .offset:         8
        .size:           8
        .value_kind:     by_value
      - .offset:         16
        .size:           16
        .value_kind:     by_value
      - .address_space:  global
        .offset:         32
        .size:           8
        .value_kind:     global_buffer
      - .offset:         40
        .size:           8
        .value_kind:     by_value
      - .offset:         48
        .size:           8
        .value_kind:     by_value
      - .address_space:  global
        .offset:         56
        .size:           8
        .value_kind:     global_buffer
      - .offset:         64
        .size:           8
        .value_kind:     by_value
      - .offset:         72
        .size:           8
        .value_kind:     by_value
      - .offset:         80
        .size:           16
        .value_kind:     by_value
      - .address_space:  global
        .offset:         96
        .size:           8
        .value_kind:     global_buffer
      - .offset:         104
        .size:           8
        .value_kind:     by_value
      - .offset:         112
        .size:           8
        .value_kind:     by_value
      - .offset:         120
        .size:           4
        .value_kind:     by_value
    .group_segment_fixed_size: 8192
    .kernarg_segment_align: 8
    .kernarg_segment_size: 124
    .language:       OpenCL C
    .language_version:
      - 2
      - 0
    .max_flat_workgroup_size: 256
    .name:           _ZL29rocblas_internal_gemmt_kernelIlLi16ELi32ELi8ELc78ELc67ELc76ELb0ELb1E19rocblas_complex_numIdES1_PKPKS1_PKPS1_EviT_T9_T10_S9_lSB_S9_lSA_T11_S9_li
    .private_segment_fixed_size: 0
    .sgpr_count:     46
    .sgpr_spill_count: 0
    .symbol:         _ZL29rocblas_internal_gemmt_kernelIlLi16ELi32ELi8ELc78ELc67ELc76ELb0ELb1E19rocblas_complex_numIdES1_PKPKS1_PKPS1_EviT_T9_T10_S9_lSB_S9_lSA_T11_S9_li.kd
    .uniform_work_group_size: 1
    .uses_dynamic_stack: false
    .vgpr_count:     120
    .vgpr_spill_count: 0
    .wavefront_size: 32
    .workgroup_processor_mode: 1
  - .args:
      - .offset:         0
        .size:           4
        .value_kind:     by_value
      - .offset:         8
        .size:           8
        .value_kind:     by_value
      - .offset:         16
        .size:           16
        .value_kind:     by_value
      - .address_space:  global
        .offset:         32
        .size:           8
        .value_kind:     global_buffer
      - .offset:         40
        .size:           8
        .value_kind:     by_value
      - .offset:         48
        .size:           8
        .value_kind:     by_value
      - .address_space:  global
        .offset:         56
        .size:           8
        .value_kind:     global_buffer
      - .offset:         64
        .size:           8
        .value_kind:     by_value
      - .offset:         72
        .size:           8
        .value_kind:     by_value
      - .offset:         80
        .size:           16
        .value_kind:     by_value
      - .address_space:  global
        .offset:         96
        .size:           8
        .value_kind:     global_buffer
      - .offset:         104
        .size:           8
        .value_kind:     by_value
      - .offset:         112
        .size:           8
        .value_kind:     by_value
      - .offset:         120
        .size:           4
        .value_kind:     by_value
    .group_segment_fixed_size: 8192
    .kernarg_segment_align: 8
    .kernarg_segment_size: 124
    .language:       OpenCL C
    .language_version:
      - 2
      - 0
    .max_flat_workgroup_size: 256
    .name:           _ZL29rocblas_internal_gemmt_kernelIlLi16ELi32ELi8ELc84ELc78ELc76ELb0ELb0E19rocblas_complex_numIdES1_PKPKS1_PKPS1_EviT_T9_T10_S9_lSB_S9_lSA_T11_S9_li
    .private_segment_fixed_size: 0
    .sgpr_count:     46
    .sgpr_spill_count: 0
    .symbol:         _ZL29rocblas_internal_gemmt_kernelIlLi16ELi32ELi8ELc84ELc78ELc76ELb0ELb0E19rocblas_complex_numIdES1_PKPKS1_PKPS1_EviT_T9_T10_S9_lSB_S9_lSA_T11_S9_li.kd
    .uniform_work_group_size: 1
    .uses_dynamic_stack: false
    .vgpr_count:     142
    .vgpr_spill_count: 0
    .wavefront_size: 32
    .workgroup_processor_mode: 1
  - .args:
      - .offset:         0
        .size:           4
        .value_kind:     by_value
      - .offset:         8
        .size:           8
        .value_kind:     by_value
      - .offset:         16
        .size:           16
        .value_kind:     by_value
      - .address_space:  global
        .offset:         32
        .size:           8
        .value_kind:     global_buffer
      - .offset:         40
        .size:           8
        .value_kind:     by_value
      - .offset:         48
        .size:           8
        .value_kind:     by_value
      - .address_space:  global
        .offset:         56
        .size:           8
        .value_kind:     global_buffer
      - .offset:         64
        .size:           8
        .value_kind:     by_value
      - .offset:         72
        .size:           8
        .value_kind:     by_value
      - .offset:         80
        .size:           16
        .value_kind:     by_value
      - .address_space:  global
        .offset:         96
        .size:           8
        .value_kind:     global_buffer
      - .offset:         104
        .size:           8
        .value_kind:     by_value
      - .offset:         112
        .size:           8
        .value_kind:     by_value
      - .offset:         120
        .size:           4
        .value_kind:     by_value
    .group_segment_fixed_size: 8192
    .kernarg_segment_align: 8
    .kernarg_segment_size: 124
    .language:       OpenCL C
    .language_version:
      - 2
      - 0
    .max_flat_workgroup_size: 256
    .name:           _ZL29rocblas_internal_gemmt_kernelIlLi16ELi32ELi8ELc84ELc84ELc76ELb0ELb0E19rocblas_complex_numIdES1_PKPKS1_PKPS1_EviT_T9_T10_S9_lSB_S9_lSA_T11_S9_li
    .private_segment_fixed_size: 0
    .sgpr_count:     46
    .sgpr_spill_count: 0
    .symbol:         _ZL29rocblas_internal_gemmt_kernelIlLi16ELi32ELi8ELc84ELc84ELc76ELb0ELb0E19rocblas_complex_numIdES1_PKPKS1_PKPS1_EviT_T9_T10_S9_lSB_S9_lSA_T11_S9_li.kd
    .uniform_work_group_size: 1
    .uses_dynamic_stack: false
    .vgpr_count:     142
    .vgpr_spill_count: 0
    .wavefront_size: 32
    .workgroup_processor_mode: 1
  - .args:
      - .offset:         0
        .size:           4
        .value_kind:     by_value
      - .offset:         8
        .size:           8
        .value_kind:     by_value
      - .offset:         16
        .size:           16
        .value_kind:     by_value
      - .address_space:  global
        .offset:         32
        .size:           8
        .value_kind:     global_buffer
      - .offset:         40
        .size:           8
        .value_kind:     by_value
      - .offset:         48
        .size:           8
        .value_kind:     by_value
      - .address_space:  global
        .offset:         56
        .size:           8
        .value_kind:     global_buffer
      - .offset:         64
        .size:           8
        .value_kind:     by_value
      - .offset:         72
        .size:           8
        .value_kind:     by_value
      - .offset:         80
        .size:           16
        .value_kind:     by_value
      - .address_space:  global
        .offset:         96
        .size:           8
        .value_kind:     global_buffer
      - .offset:         104
        .size:           8
        .value_kind:     by_value
      - .offset:         112
        .size:           8
        .value_kind:     by_value
      - .offset:         120
        .size:           4
        .value_kind:     by_value
    .group_segment_fixed_size: 8192
    .kernarg_segment_align: 8
    .kernarg_segment_size: 124
    .language:       OpenCL C
    .language_version:
      - 2
      - 0
    .max_flat_workgroup_size: 256
    .name:           _ZL29rocblas_internal_gemmt_kernelIlLi16ELi32ELi8ELc84ELc67ELc76ELb0ELb1E19rocblas_complex_numIdES1_PKPKS1_PKPS1_EviT_T9_T10_S9_lSB_S9_lSA_T11_S9_li
    .private_segment_fixed_size: 0
    .sgpr_count:     46
    .sgpr_spill_count: 0
    .symbol:         _ZL29rocblas_internal_gemmt_kernelIlLi16ELi32ELi8ELc84ELc67ELc76ELb0ELb1E19rocblas_complex_numIdES1_PKPKS1_PKPS1_EviT_T9_T10_S9_lSB_S9_lSA_T11_S9_li.kd
    .uniform_work_group_size: 1
    .uses_dynamic_stack: false
    .vgpr_count:     120
    .vgpr_spill_count: 0
    .wavefront_size: 32
    .workgroup_processor_mode: 1
  - .args:
      - .offset:         0
        .size:           4
        .value_kind:     by_value
      - .offset:         8
        .size:           8
        .value_kind:     by_value
      - .offset:         16
        .size:           16
        .value_kind:     by_value
      - .address_space:  global
        .offset:         32
        .size:           8
        .value_kind:     global_buffer
      - .offset:         40
        .size:           8
        .value_kind:     by_value
      - .offset:         48
        .size:           8
        .value_kind:     by_value
      - .address_space:  global
        .offset:         56
        .size:           8
        .value_kind:     global_buffer
      - .offset:         64
        .size:           8
        .value_kind:     by_value
      - .offset:         72
        .size:           8
        .value_kind:     by_value
      - .offset:         80
        .size:           16
        .value_kind:     by_value
      - .address_space:  global
        .offset:         96
        .size:           8
        .value_kind:     global_buffer
      - .offset:         104
        .size:           8
        .value_kind:     by_value
      - .offset:         112
        .size:           8
        .value_kind:     by_value
      - .offset:         120
        .size:           4
        .value_kind:     by_value
    .group_segment_fixed_size: 8192
    .kernarg_segment_align: 8
    .kernarg_segment_size: 124
    .language:       OpenCL C
    .language_version:
      - 2
      - 0
    .max_flat_workgroup_size: 256
    .name:           _ZL29rocblas_internal_gemmt_kernelIlLi16ELi32ELi8ELc67ELc78ELc76ELb1ELb0E19rocblas_complex_numIdES1_PKPKS1_PKPS1_EviT_T9_T10_S9_lSB_S9_lSA_T11_S9_li
    .private_segment_fixed_size: 0
    .sgpr_count:     46
    .sgpr_spill_count: 0
    .symbol:         _ZL29rocblas_internal_gemmt_kernelIlLi16ELi32ELi8ELc67ELc78ELc76ELb1ELb0E19rocblas_complex_numIdES1_PKPKS1_PKPS1_EviT_T9_T10_S9_lSB_S9_lSA_T11_S9_li.kd
    .uniform_work_group_size: 1
    .uses_dynamic_stack: false
    .vgpr_count:     126
    .vgpr_spill_count: 0
    .wavefront_size: 32
    .workgroup_processor_mode: 1
  - .args:
      - .offset:         0
        .size:           4
        .value_kind:     by_value
      - .offset:         8
        .size:           8
        .value_kind:     by_value
      - .offset:         16
        .size:           16
        .value_kind:     by_value
      - .address_space:  global
        .offset:         32
        .size:           8
        .value_kind:     global_buffer
      - .offset:         40
        .size:           8
        .value_kind:     by_value
      - .offset:         48
        .size:           8
        .value_kind:     by_value
      - .address_space:  global
        .offset:         56
        .size:           8
        .value_kind:     global_buffer
      - .offset:         64
        .size:           8
        .value_kind:     by_value
      - .offset:         72
        .size:           8
        .value_kind:     by_value
      - .offset:         80
        .size:           16
        .value_kind:     by_value
      - .address_space:  global
        .offset:         96
        .size:           8
        .value_kind:     global_buffer
      - .offset:         104
        .size:           8
        .value_kind:     by_value
      - .offset:         112
        .size:           8
        .value_kind:     by_value
      - .offset:         120
        .size:           4
        .value_kind:     by_value
    .group_segment_fixed_size: 8192
    .kernarg_segment_align: 8
    .kernarg_segment_size: 124
    .language:       OpenCL C
    .language_version:
      - 2
      - 0
    .max_flat_workgroup_size: 256
    .name:           _ZL29rocblas_internal_gemmt_kernelIlLi16ELi32ELi8ELc67ELc84ELc76ELb1ELb0E19rocblas_complex_numIdES1_PKPKS1_PKPS1_EviT_T9_T10_S9_lSB_S9_lSA_T11_S9_li
    .private_segment_fixed_size: 0
    .sgpr_count:     46
    .sgpr_spill_count: 0
    .symbol:         _ZL29rocblas_internal_gemmt_kernelIlLi16ELi32ELi8ELc67ELc84ELc76ELb1ELb0E19rocblas_complex_numIdES1_PKPKS1_PKPS1_EviT_T9_T10_S9_lSB_S9_lSA_T11_S9_li.kd
    .uniform_work_group_size: 1
    .uses_dynamic_stack: false
    .vgpr_count:     126
    .vgpr_spill_count: 0
    .wavefront_size: 32
    .workgroup_processor_mode: 1
  - .args:
      - .offset:         0
        .size:           4
        .value_kind:     by_value
      - .offset:         8
        .size:           8
        .value_kind:     by_value
      - .offset:         16
        .size:           16
        .value_kind:     by_value
      - .address_space:  global
        .offset:         32
        .size:           8
        .value_kind:     global_buffer
      - .offset:         40
        .size:           8
        .value_kind:     by_value
      - .offset:         48
        .size:           8
        .value_kind:     by_value
      - .address_space:  global
        .offset:         56
        .size:           8
        .value_kind:     global_buffer
      - .offset:         64
        .size:           8
        .value_kind:     by_value
      - .offset:         72
        .size:           8
        .value_kind:     by_value
      - .offset:         80
        .size:           16
        .value_kind:     by_value
      - .address_space:  global
        .offset:         96
        .size:           8
        .value_kind:     global_buffer
      - .offset:         104
        .size:           8
        .value_kind:     by_value
      - .offset:         112
        .size:           8
        .value_kind:     by_value
      - .offset:         120
        .size:           4
        .value_kind:     by_value
    .group_segment_fixed_size: 8192
    .kernarg_segment_align: 8
    .kernarg_segment_size: 124
    .language:       OpenCL C
    .language_version:
      - 2
      - 0
    .max_flat_workgroup_size: 256
    .name:           _ZL29rocblas_internal_gemmt_kernelIlLi16ELi32ELi8ELc67ELc67ELc76ELb1ELb1E19rocblas_complex_numIdES1_PKPKS1_PKPS1_EviT_T9_T10_S9_lSB_S9_lSA_T11_S9_li
    .private_segment_fixed_size: 0
    .sgpr_count:     46
    .sgpr_spill_count: 0
    .symbol:         _ZL29rocblas_internal_gemmt_kernelIlLi16ELi32ELi8ELc67ELc67ELc76ELb1ELb1E19rocblas_complex_numIdES1_PKPKS1_PKPS1_EviT_T9_T10_S9_lSB_S9_lSA_T11_S9_li.kd
    .uniform_work_group_size: 1
    .uses_dynamic_stack: false
    .vgpr_count:     118
    .vgpr_spill_count: 0
    .wavefront_size: 32
    .workgroup_processor_mode: 1
amdhsa.target:   amdgcn-amd-amdhsa--gfx1030
amdhsa.version:
  - 1
  - 2
...

	.end_amdgpu_metadata
